;; amdgpu-corpus repo=ROCm/aiter kind=compiled arch=gfx1100 opt=O3
	.text
	.amdgcn_target "amdgcn-amd-amdhsa--gfx1100"
	.amdhsa_code_object_version 6
	.section	.text._ZN7ck_tileL11flush_cacheEv,"axG",@progbits,_ZN7ck_tileL11flush_cacheEv,comdat
	.globl	_ZN7ck_tileL11flush_cacheEv     ; -- Begin function _ZN7ck_tileL11flush_cacheEv
	.p2align	8
	.type	_ZN7ck_tileL11flush_cacheEv,@function
_ZN7ck_tileL11flush_cacheEv:            ; @_ZN7ck_tileL11flush_cacheEv
; %bb.0:
	;;#ASMSTART
	s_icache_inv 
	s_nop 0 
	s_nop 0 
	;; [unrolled: 1-line block ×16, first 2 shown]
	
	;;#ASMEND
	s_endpgm
	.section	.rodata,"a",@progbits
	.p2align	6, 0x0
	.amdhsa_kernel _ZN7ck_tileL11flush_cacheEv
		.amdhsa_group_segment_fixed_size 0
		.amdhsa_private_segment_fixed_size 0
		.amdhsa_kernarg_size 0
		.amdhsa_user_sgpr_count 15
		.amdhsa_user_sgpr_dispatch_ptr 0
		.amdhsa_user_sgpr_queue_ptr 0
		.amdhsa_user_sgpr_kernarg_segment_ptr 0
		.amdhsa_user_sgpr_dispatch_id 0
		.amdhsa_user_sgpr_private_segment_size 0
		.amdhsa_wavefront_size32 1
		.amdhsa_uses_dynamic_stack 0
		.amdhsa_enable_private_segment 0
		.amdhsa_system_sgpr_workgroup_id_x 1
		.amdhsa_system_sgpr_workgroup_id_y 0
		.amdhsa_system_sgpr_workgroup_id_z 0
		.amdhsa_system_sgpr_workgroup_info 0
		.amdhsa_system_vgpr_workitem_id 0
		.amdhsa_next_free_vgpr 1
		.amdhsa_next_free_sgpr 1
		.amdhsa_reserve_vcc 0
		.amdhsa_float_round_mode_32 0
		.amdhsa_float_round_mode_16_64 0
		.amdhsa_float_denorm_mode_32 3
		.amdhsa_float_denorm_mode_16_64 3
		.amdhsa_dx10_clamp 1
		.amdhsa_ieee_mode 1
		.amdhsa_fp16_overflow 0
		.amdhsa_workgroup_processor_mode 1
		.amdhsa_memory_ordered 1
		.amdhsa_forward_progress 0
		.amdhsa_shared_vgpr_count 0
		.amdhsa_exception_fp_ieee_invalid_op 0
		.amdhsa_exception_fp_denorm_src 0
		.amdhsa_exception_fp_ieee_div_zero 0
		.amdhsa_exception_fp_ieee_overflow 0
		.amdhsa_exception_fp_ieee_underflow 0
		.amdhsa_exception_fp_ieee_inexact 0
		.amdhsa_exception_int_div_zero 0
	.end_amdhsa_kernel
	.section	.text._ZN7ck_tileL11flush_cacheEv,"axG",@progbits,_ZN7ck_tileL11flush_cacheEv,comdat
.Lfunc_end0:
	.size	_ZN7ck_tileL11flush_cacheEv, .Lfunc_end0-_ZN7ck_tileL11flush_cacheEv
                                        ; -- End function
	.section	.AMDGPU.csdata,"",@progbits
; Kernel info:
; codeLenInByte = 344
; NumSgprs: 0
; NumVgprs: 0
; ScratchSize: 0
; MemoryBound: 0
; FloatMode: 240
; IeeeMode: 1
; LDSByteSize: 0 bytes/workgroup (compile time only)
; SGPRBlocks: 0
; VGPRBlocks: 0
; NumSGPRsForWavesPerEU: 1
; NumVGPRsForWavesPerEU: 1
; Occupancy: 16
; WaveLimiterHint : 0
; COMPUTE_PGM_RSRC2:SCRATCH_EN: 0
; COMPUTE_PGM_RSRC2:USER_SGPR: 15
; COMPUTE_PGM_RSRC2:TRAP_HANDLER: 0
; COMPUTE_PGM_RSRC2:TGID_X_EN: 1
; COMPUTE_PGM_RSRC2:TGID_Y_EN: 0
; COMPUTE_PGM_RSRC2:TGID_Z_EN: 0
; COMPUTE_PGM_RSRC2:TIDIG_COMP_CNT: 0
	.section	.text._ZN5aiter18quant_mxfp4_kernelI6__halfLNS_16MxScaleRoundModeE0ELb1ELb0ELb1EEEvPKT_PhPfliiib,"axG",@progbits,_ZN5aiter18quant_mxfp4_kernelI6__halfLNS_16MxScaleRoundModeE0ELb1ELb0ELb1EEEvPKT_PhPfliiib,comdat
	.protected	_ZN5aiter18quant_mxfp4_kernelI6__halfLNS_16MxScaleRoundModeE0ELb1ELb0ELb1EEEvPKT_PhPfliiib ; -- Begin function _ZN5aiter18quant_mxfp4_kernelI6__halfLNS_16MxScaleRoundModeE0ELb1ELb0ELb1EEEvPKT_PhPfliiib
	.globl	_ZN5aiter18quant_mxfp4_kernelI6__halfLNS_16MxScaleRoundModeE0ELb1ELb0ELb1EEEvPKT_PhPfliiib
	.p2align	8
	.type	_ZN5aiter18quant_mxfp4_kernelI6__halfLNS_16MxScaleRoundModeE0ELb1ELb0ELb1EEEvPKT_PhPfliiib,@function
_ZN5aiter18quant_mxfp4_kernelI6__halfLNS_16MxScaleRoundModeE0ELb1ELb0ELb1EEEvPKT_PhPfliiib: ; @_ZN5aiter18quant_mxfp4_kernelI6__halfLNS_16MxScaleRoundModeE0ELb1ELb0ELb1EEEvPKT_PhPfliiib
; %bb.0:
	s_clause 0x1
	s_load_b32 s2, s[0:1], 0x3c
	s_load_b128 s[4:7], s[0:1], 0x20
	v_mov_b32_e32 v1, 0
	s_mov_b32 s3, exec_lo
	s_delay_alu instid0(VALU_DEP_1) | instskip(SKIP_2) | instid1(SALU_CYCLE_1)
	v_mov_b32_e32 v4, v1
	s_waitcnt lgkmcnt(0)
	s_and_b32 s2, s2, 0xffff
	v_mad_u64_u32 v[2:3], null, s2, s15, v[0:1]
	s_ashr_i32 s2, s6, 31
                                        ; implicit-def: $vgpr0_vgpr1
	s_delay_alu instid0(VALU_DEP_1) | instid1(SALU_CYCLE_1)
	v_or_b32_e32 v5, s2, v3
	s_delay_alu instid0(VALU_DEP_1)
	v_cmpx_ne_u64_e32 0, v[4:5]
	s_xor_b32 s3, exec_lo, s3
	s_cbranch_execz .LBB1_2
; %bb.1:
	s_add_u32 s10, s6, s2
	s_mov_b32 s8, s2
	s_mov_b32 s9, s2
	s_addc_u32 s11, s2, s2
	s_delay_alu instid0(SALU_CYCLE_1) | instskip(NEXT) | instid1(SALU_CYCLE_1)
	s_xor_b64 s[10:11], s[10:11], s[8:9]
	v_cvt_f32_u32_e32 v0, s10
	v_cvt_f32_u32_e32 v1, s11
	s_sub_u32 s2, 0, s10
	s_subb_u32 s7, 0, s11
	s_delay_alu instid0(VALU_DEP_1) | instskip(NEXT) | instid1(VALU_DEP_1)
	v_fmamk_f32 v0, v1, 0x4f800000, v0
	v_rcp_f32_e32 v0, v0
	s_waitcnt_depctr 0xfff
	v_mul_f32_e32 v0, 0x5f7ffffc, v0
	s_delay_alu instid0(VALU_DEP_1) | instskip(NEXT) | instid1(VALU_DEP_1)
	v_mul_f32_e32 v1, 0x2f800000, v0
	v_trunc_f32_e32 v1, v1
	s_delay_alu instid0(VALU_DEP_1) | instskip(SKIP_1) | instid1(VALU_DEP_2)
	v_fmamk_f32 v0, v1, 0xcf800000, v0
	v_cvt_u32_f32_e32 v1, v1
	v_cvt_u32_f32_e32 v0, v0
	s_delay_alu instid0(VALU_DEP_2) | instskip(NEXT) | instid1(VALU_DEP_2)
	v_mul_lo_u32 v4, s2, v1
	v_mul_hi_u32 v5, s2, v0
	v_mul_lo_u32 v6, s7, v0
	s_delay_alu instid0(VALU_DEP_2) | instskip(SKIP_1) | instid1(VALU_DEP_2)
	v_add_nc_u32_e32 v4, v5, v4
	v_mul_lo_u32 v5, s2, v0
	v_add_nc_u32_e32 v4, v4, v6
	s_delay_alu instid0(VALU_DEP_2) | instskip(NEXT) | instid1(VALU_DEP_2)
	v_mul_hi_u32 v6, v0, v5
	v_mul_lo_u32 v7, v0, v4
	v_mul_hi_u32 v8, v0, v4
	v_mul_hi_u32 v9, v1, v5
	v_mul_lo_u32 v5, v1, v5
	v_mul_hi_u32 v10, v1, v4
	v_mul_lo_u32 v4, v1, v4
	v_add_co_u32 v6, vcc_lo, v6, v7
	v_add_co_ci_u32_e32 v7, vcc_lo, 0, v8, vcc_lo
	s_delay_alu instid0(VALU_DEP_2) | instskip(NEXT) | instid1(VALU_DEP_2)
	v_add_co_u32 v5, vcc_lo, v6, v5
	v_add_co_ci_u32_e32 v5, vcc_lo, v7, v9, vcc_lo
	v_add_co_ci_u32_e32 v6, vcc_lo, 0, v10, vcc_lo
	v_ashrrev_i32_e32 v9, 31, v3
	s_delay_alu instid0(VALU_DEP_3) | instskip(NEXT) | instid1(VALU_DEP_3)
	v_add_co_u32 v4, vcc_lo, v5, v4
	v_add_co_ci_u32_e32 v5, vcc_lo, 0, v6, vcc_lo
	s_delay_alu instid0(VALU_DEP_2) | instskip(NEXT) | instid1(VALU_DEP_2)
	v_add_co_u32 v0, vcc_lo, v0, v4
	v_add_co_ci_u32_e32 v1, vcc_lo, v1, v5, vcc_lo
	s_delay_alu instid0(VALU_DEP_2) | instskip(SKIP_1) | instid1(VALU_DEP_3)
	v_mul_hi_u32 v4, s2, v0
	v_mul_lo_u32 v6, s7, v0
	v_mul_lo_u32 v5, s2, v1
	s_delay_alu instid0(VALU_DEP_1) | instskip(SKIP_1) | instid1(VALU_DEP_2)
	v_add_nc_u32_e32 v4, v4, v5
	v_mul_lo_u32 v5, s2, v0
	v_add_nc_u32_e32 v4, v4, v6
	s_delay_alu instid0(VALU_DEP_2) | instskip(NEXT) | instid1(VALU_DEP_2)
	v_mul_hi_u32 v6, v0, v5
	v_mul_lo_u32 v7, v0, v4
	v_mul_hi_u32 v8, v0, v4
	v_mul_hi_u32 v10, v1, v5
	v_mul_lo_u32 v5, v1, v5
	v_mul_hi_u32 v11, v1, v4
	v_mul_lo_u32 v4, v1, v4
	v_add_co_u32 v6, vcc_lo, v6, v7
	v_add_co_ci_u32_e32 v7, vcc_lo, 0, v8, vcc_lo
	s_delay_alu instid0(VALU_DEP_2) | instskip(NEXT) | instid1(VALU_DEP_2)
	v_add_co_u32 v5, vcc_lo, v6, v5
	v_add_co_ci_u32_e32 v5, vcc_lo, v7, v10, vcc_lo
	v_add_co_ci_u32_e32 v6, vcc_lo, 0, v11, vcc_lo
	v_add_co_u32 v7, vcc_lo, v2, v9
	v_add_co_ci_u32_e32 v3, vcc_lo, v3, v9, vcc_lo
	s_delay_alu instid0(VALU_DEP_4) | instskip(NEXT) | instid1(VALU_DEP_4)
	v_add_co_u32 v4, vcc_lo, v5, v4
	v_add_co_ci_u32_e32 v5, vcc_lo, 0, v6, vcc_lo
	s_delay_alu instid0(VALU_DEP_4) | instskip(NEXT) | instid1(VALU_DEP_3)
	v_xor_b32_e32 v7, v7, v9
	v_add_co_u32 v6, vcc_lo, v0, v4
	s_delay_alu instid0(VALU_DEP_3) | instskip(SKIP_1) | instid1(VALU_DEP_3)
	v_add_co_ci_u32_e32 v8, vcc_lo, v1, v5, vcc_lo
	v_xor_b32_e32 v10, v3, v9
	v_mul_hi_u32 v11, v7, v6
	s_delay_alu instid0(VALU_DEP_3) | instskip(NEXT) | instid1(VALU_DEP_3)
	v_mad_u64_u32 v[0:1], null, v7, v8, 0
	v_mad_u64_u32 v[3:4], null, v10, v6, 0
	;; [unrolled: 1-line block ×3, first 2 shown]
	s_delay_alu instid0(VALU_DEP_3) | instskip(NEXT) | instid1(VALU_DEP_4)
	v_add_co_u32 v0, vcc_lo, v11, v0
	v_add_co_ci_u32_e32 v1, vcc_lo, 0, v1, vcc_lo
	s_delay_alu instid0(VALU_DEP_2) | instskip(NEXT) | instid1(VALU_DEP_2)
	v_add_co_u32 v0, vcc_lo, v0, v3
	v_add_co_ci_u32_e32 v0, vcc_lo, v1, v4, vcc_lo
	v_add_co_ci_u32_e32 v1, vcc_lo, 0, v6, vcc_lo
	s_delay_alu instid0(VALU_DEP_2) | instskip(NEXT) | instid1(VALU_DEP_2)
	v_add_co_u32 v3, vcc_lo, v0, v5
	v_add_co_ci_u32_e32 v4, vcc_lo, 0, v1, vcc_lo
	s_delay_alu instid0(VALU_DEP_2) | instskip(SKIP_1) | instid1(VALU_DEP_3)
	v_mul_lo_u32 v5, s11, v3
	v_mad_u64_u32 v[0:1], null, s10, v3, 0
	v_mul_lo_u32 v6, s10, v4
	s_delay_alu instid0(VALU_DEP_2) | instskip(NEXT) | instid1(VALU_DEP_2)
	v_sub_co_u32 v0, vcc_lo, v7, v0
	v_add3_u32 v1, v1, v6, v5
	s_delay_alu instid0(VALU_DEP_1) | instskip(NEXT) | instid1(VALU_DEP_1)
	v_sub_nc_u32_e32 v5, v10, v1
	v_subrev_co_ci_u32_e64 v5, s2, s11, v5, vcc_lo
	v_add_co_u32 v6, s2, v3, 2
	s_delay_alu instid0(VALU_DEP_1) | instskip(SKIP_3) | instid1(VALU_DEP_3)
	v_add_co_ci_u32_e64 v7, s2, 0, v4, s2
	v_sub_co_u32 v8, s2, v0, s10
	v_sub_co_ci_u32_e32 v1, vcc_lo, v10, v1, vcc_lo
	v_subrev_co_ci_u32_e64 v5, s2, 0, v5, s2
	v_cmp_le_u32_e32 vcc_lo, s10, v8
	s_delay_alu instid0(VALU_DEP_3) | instskip(SKIP_1) | instid1(VALU_DEP_4)
	v_cmp_eq_u32_e64 s2, s11, v1
	v_cndmask_b32_e64 v8, 0, -1, vcc_lo
	v_cmp_le_u32_e32 vcc_lo, s11, v5
	v_cndmask_b32_e64 v10, 0, -1, vcc_lo
	v_cmp_le_u32_e32 vcc_lo, s10, v0
	;; [unrolled: 2-line block ×3, first 2 shown]
	v_cndmask_b32_e64 v11, 0, -1, vcc_lo
	v_cmp_eq_u32_e32 vcc_lo, s11, v5
	s_delay_alu instid0(VALU_DEP_2) | instskip(SKIP_3) | instid1(VALU_DEP_3)
	v_cndmask_b32_e64 v0, v11, v0, s2
	v_cndmask_b32_e32 v5, v10, v8, vcc_lo
	v_add_co_u32 v8, vcc_lo, v3, 1
	v_add_co_ci_u32_e32 v10, vcc_lo, 0, v4, vcc_lo
	v_cmp_ne_u32_e32 vcc_lo, 0, v5
	s_delay_alu instid0(VALU_DEP_2) | instskip(NEXT) | instid1(VALU_DEP_4)
	v_cndmask_b32_e32 v1, v10, v7, vcc_lo
	v_cndmask_b32_e32 v5, v8, v6, vcc_lo
	v_cmp_ne_u32_e32 vcc_lo, 0, v0
	v_xor_b32_e32 v0, s8, v9
	s_delay_alu instid0(VALU_DEP_3) | instskip(SKIP_2) | instid1(VALU_DEP_3)
	v_cndmask_b32_e32 v3, v3, v5, vcc_lo
	v_cndmask_b32_e32 v1, v4, v1, vcc_lo
	v_xor_b32_e32 v4, s9, v9
	v_xor_b32_e32 v3, v3, v0
	s_delay_alu instid0(VALU_DEP_2) | instskip(NEXT) | instid1(VALU_DEP_2)
	v_xor_b32_e32 v1, v1, v4
	v_sub_co_u32 v0, vcc_lo, v3, v0
	s_delay_alu instid0(VALU_DEP_2)
	v_sub_co_ci_u32_e32 v1, vcc_lo, v1, v4, vcc_lo
.LBB1_2:
	s_and_not1_saveexec_b32 s2, s3
	s_cbranch_execz .LBB1_4
; %bb.3:
	v_cvt_f32_u32_e32 v0, s6
	s_sub_i32 s3, 0, s6
	s_delay_alu instid0(VALU_DEP_1) | instskip(SKIP_2) | instid1(VALU_DEP_1)
	v_rcp_iflag_f32_e32 v0, v0
	s_waitcnt_depctr 0xfff
	v_mul_f32_e32 v0, 0x4f7ffffe, v0
	v_cvt_u32_f32_e32 v0, v0
	s_delay_alu instid0(VALU_DEP_1) | instskip(NEXT) | instid1(VALU_DEP_1)
	v_mul_lo_u32 v1, s3, v0
	v_mul_hi_u32 v1, v0, v1
	s_delay_alu instid0(VALU_DEP_1) | instskip(NEXT) | instid1(VALU_DEP_1)
	v_add_nc_u32_e32 v0, v0, v1
	v_mul_hi_u32 v0, v2, v0
	s_delay_alu instid0(VALU_DEP_1) | instskip(SKIP_1) | instid1(VALU_DEP_2)
	v_mul_lo_u32 v1, v0, s6
	v_add_nc_u32_e32 v3, 1, v0
	v_sub_nc_u32_e32 v1, v2, v1
	s_delay_alu instid0(VALU_DEP_1) | instskip(SKIP_1) | instid1(VALU_DEP_2)
	v_subrev_nc_u32_e32 v4, s6, v1
	v_cmp_le_u32_e32 vcc_lo, s6, v1
	v_dual_cndmask_b32 v1, v1, v4 :: v_dual_cndmask_b32 v0, v0, v3
	s_delay_alu instid0(VALU_DEP_1) | instskip(NEXT) | instid1(VALU_DEP_2)
	v_cmp_le_u32_e32 vcc_lo, s6, v1
	v_add_nc_u32_e32 v3, 1, v0
	s_delay_alu instid0(VALU_DEP_1)
	v_dual_mov_b32 v1, 0 :: v_dual_cndmask_b32 v0, v0, v3
.LBB1_4:
	s_or_b32 exec_lo, exec_lo, s2
	s_load_b64 s[2:3], s[0:1], 0x18
	s_delay_alu instid0(VALU_DEP_1) | instskip(NEXT) | instid1(VALU_DEP_1)
	v_mad_u64_u32 v[3:4], null, v0, s6, 0
	v_sub_co_u32 v2, null, v2, v3
	s_waitcnt lgkmcnt(0)
	v_cmp_gt_i64_e32 vcc_lo, s[2:3], v[0:1]
	s_delay_alu instid0(VALU_DEP_2) | instskip(NEXT) | instid1(VALU_DEP_1)
	v_cmp_gt_i32_e64 s2, s5, v2
	s_and_b32 s2, vcc_lo, s2
	s_delay_alu instid0(SALU_CYCLE_1)
	s_and_saveexec_b32 s3, s2
	s_cbranch_execz .LBB1_390
; %bb.5:
	s_ashr_i32 s5, s4, 31
	s_load_b64 s[2:3], s[0:1], 0x0
	v_mul_lo_u32 v5, v1, s4
	v_mad_u64_u32 v[3:4], null, v0, s4, 0
	v_mul_lo_u32 v6, v0, s5
	s_delay_alu instid0(VALU_DEP_1) | instskip(SKIP_1) | instid1(VALU_DEP_2)
	v_add3_u32 v4, v4, v6, v5
	v_dual_mov_b32 v6, 0 :: v_dual_lshlrev_b32 v5, 5, v2
	v_lshlrev_b64 v[3:4], 1, v[3:4]
	s_delay_alu instid0(VALU_DEP_2) | instskip(SKIP_1) | instid1(VALU_DEP_2)
	v_lshlrev_b64 v[5:6], 1, v[5:6]
	s_waitcnt lgkmcnt(0)
	v_add_co_u32 v3, vcc_lo, s2, v3
	s_delay_alu instid0(VALU_DEP_3) | instskip(SKIP_1) | instid1(VALU_DEP_2)
	v_add_co_ci_u32_e32 v4, vcc_lo, s3, v4, vcc_lo
	s_mov_b32 s2, exec_lo
	v_add_co_u32 v7, vcc_lo, v3, v5
	s_delay_alu instid0(VALU_DEP_2)
	v_add_co_ci_u32_e32 v8, vcc_lo, v4, v6, vcc_lo
	s_clause 0x3
	global_load_b128 v[3:6], v[7:8], off
	global_load_b128 v[10:13], v[7:8], off offset:16
	global_load_b128 v[52:55], v[7:8], off offset:32
	;; [unrolled: 1-line block ×3, first 2 shown]
	s_waitcnt vmcnt(3)
	v_lshrrev_b32_e32 v7, 16, v3
	v_cvt_f32_f16_e32 v17, v3
	v_lshrrev_b32_e32 v3, 16, v4
	v_cvt_f32_f16_e32 v9, v4
	;; [unrolled: 2-line block ×3, first 2 shown]
	v_cvt_f32_f16_e32 v16, v5
	v_cvt_f32_f16_e32 v14, v3
	v_lshrrev_b32_e32 v5, 16, v6
	v_cvt_f32_f16_e32 v20, v4
	v_max3_f32 v3, |v17|, 0, |v7|
	v_cvt_f32_f16_e32 v22, v6
	s_waitcnt vmcnt(2)
	v_lshrrev_b32_e32 v4, 16, v10
	v_cvt_f32_f16_e32 v26, v5
	v_cvt_f32_f16_e32 v28, v10
	v_max3_f32 v3, v3, |v9|, |v14|
	v_lshrrev_b32_e32 v5, 16, v11
	v_cvt_f32_f16_e32 v32, v4
	v_cvt_f32_f16_e32 v34, v11
	v_lshrrev_b32_e32 v4, 16, v12
	v_max3_f32 v3, v3, |v16|, |v20|
	v_cvt_f32_f16_e32 v38, v5
	v_cvt_f32_f16_e32 v40, v12
	v_lshrrev_b32_e32 v5, 16, v13
	v_cvt_f32_f16_e32 v42, v4
	v_max3_f32 v3, v3, |v22|, |v26|
	v_cvt_f32_f16_e32 v46, v13
	s_waitcnt vmcnt(1)
	v_lshrrev_b32_e32 v4, 16, v52
	v_cvt_f32_f16_e32 v47, v5
	v_cvt_f32_f16_e32 v52, v52
	v_max3_f32 v3, v3, |v28|, |v32|
	v_lshrrev_b32_e32 v5, 16, v53
	v_cvt_f32_f16_e32 v51, v4
	v_cvt_f32_f16_e32 v48, v53
	v_lshrrev_b32_e32 v4, 16, v54
	v_max3_f32 v3, v3, |v34|, |v38|
	v_cvt_f32_f16_e32 v45, v5
	v_cvt_f32_f16_e32 v41, v54
	v_lshrrev_b32_e32 v5, 16, v55
	v_cvt_f32_f16_e32 v39, v4
	v_max3_f32 v3, v3, |v40|, |v42|
	;; [unrolled: 16-line block ×3, first 2 shown]
	v_cvt_f32_f16_e32 v13, v59
	s_delay_alu instid0(VALU_DEP_4) | instskip(NEXT) | instid1(VALU_DEP_3)
	v_cvt_f32_f16_e32 v8, v5
	v_max3_f32 v3, v3, |v41|, |v39|
	s_delay_alu instid0(VALU_DEP_1) | instskip(NEXT) | instid1(VALU_DEP_1)
	v_max3_f32 v3, v3, |v37|, |v33|
	v_max3_f32 v3, v3, |v31|, |v27|
	s_delay_alu instid0(VALU_DEP_1) | instskip(NEXT) | instid1(VALU_DEP_1)
	v_max3_f32 v3, v3, |v25|, |v21|
	;; [unrolled: 3-line block ×3, first 2 shown]
	v_mul_f32_e32 v3, 0x3e800000, v3
	s_delay_alu instid0(VALU_DEP_1) | instskip(NEXT) | instid1(VALU_DEP_1)
	v_and_b32_e32 v4, 0x7f800000, v3
	v_div_scale_f32 v5, null, v4, v4, 1.0
	v_div_scale_f32 v11, vcc_lo, 1.0, v4, 1.0
	s_delay_alu instid0(VALU_DEP_2) | instskip(SKIP_2) | instid1(VALU_DEP_1)
	v_rcp_f32_e32 v6, v5
	s_waitcnt_depctr 0xfff
	v_fma_f32 v10, -v5, v6, 1.0
	v_fmac_f32_e32 v6, v10, v6
	s_delay_alu instid0(VALU_DEP_1) | instskip(NEXT) | instid1(VALU_DEP_1)
	v_mul_f32_e32 v10, v11, v6
	v_fma_f32 v12, -v5, v10, v11
	s_delay_alu instid0(VALU_DEP_1) | instskip(NEXT) | instid1(VALU_DEP_1)
	v_fmac_f32_e32 v10, v12, v6
	v_fma_f32 v5, -v5, v10, v11
	s_delay_alu instid0(VALU_DEP_1) | instskip(SKIP_2) | instid1(VALU_DEP_3)
	v_div_fmas_f32 v5, v5, v6, v10
	v_cmp_neq_f32_e32 vcc_lo, 0, v4
	v_mov_b32_e32 v6, 7
	v_div_fixup_f32 v5, v5, v4, 1.0
	v_mov_b32_e32 v4, 7
	s_delay_alu instid0(VALU_DEP_2) | instskip(NEXT) | instid1(VALU_DEP_1)
	v_cndmask_b32_e32 v12, 0, v5, vcc_lo
	v_mul_f32_e32 v5, v12, v17
	s_delay_alu instid0(VALU_DEP_1)
	v_cmpx_nle_f32_e64 0x40a00000, |v5|
	s_cbranch_execz .LBB1_17
; %bb.6:
	v_mov_b32_e32 v4, 6
	s_mov_b32 s3, exec_lo
	v_cmpx_nle_f32_e64 0x40600000, |v5|
	s_cbranch_execz .LBB1_16
; %bb.7:
	v_mov_b32_e32 v4, 5
	s_mov_b32 s5, exec_lo
	;; [unrolled: 5-line block ×5, first 2 shown]
	v_cmpx_nle_f32_e64 0x3f400000, |v5|
; %bb.11:
	v_cmp_le_f32_e64 s10, 0x3e800000, |v5|
	s_delay_alu instid0(VALU_DEP_1)
	v_cndmask_b32_e64 v4, 0, 1, s10
; %bb.12:
	s_or_b32 exec_lo, exec_lo, s9
.LBB1_13:
	s_delay_alu instid0(SALU_CYCLE_1)
	s_or_b32 exec_lo, exec_lo, s8
.LBB1_14:
	s_delay_alu instid0(SALU_CYCLE_1)
	s_or_b32 exec_lo, exec_lo, s7
.LBB1_15:
	s_delay_alu instid0(SALU_CYCLE_1)
	s_or_b32 exec_lo, exec_lo, s5
.LBB1_16:
	s_delay_alu instid0(SALU_CYCLE_1)
	s_or_b32 exec_lo, exec_lo, s3
.LBB1_17:
	s_delay_alu instid0(SALU_CYCLE_1) | instskip(SKIP_2) | instid1(VALU_DEP_1)
	s_or_b32 exec_lo, exec_lo, s2
	v_mul_f32_e32 v7, v12, v7
	s_mov_b32 s2, exec_lo
	v_cmpx_nle_f32_e64 0x40a00000, |v7|
	s_cbranch_execz .LBB1_29
; %bb.18:
	v_mov_b32_e32 v6, 6
	s_mov_b32 s3, exec_lo
	v_cmpx_nle_f32_e64 0x40600000, |v7|
	s_cbranch_execz .LBB1_28
; %bb.19:
	v_mov_b32_e32 v6, 5
	;; [unrolled: 5-line block ×5, first 2 shown]
	s_mov_b32 s9, exec_lo
	v_cmpx_nle_f32_e64 0x3f400000, |v7|
; %bb.23:
	v_cmp_le_f32_e64 s10, 0x3e800000, |v7|
	s_delay_alu instid0(VALU_DEP_1)
	v_cndmask_b32_e64 v6, 0, 1, s10
; %bb.24:
	s_or_b32 exec_lo, exec_lo, s9
.LBB1_25:
	s_delay_alu instid0(SALU_CYCLE_1)
	s_or_b32 exec_lo, exec_lo, s8
.LBB1_26:
	s_delay_alu instid0(SALU_CYCLE_1)
	s_or_b32 exec_lo, exec_lo, s7
.LBB1_27:
	s_delay_alu instid0(SALU_CYCLE_1)
	s_or_b32 exec_lo, exec_lo, s5
.LBB1_28:
	s_delay_alu instid0(SALU_CYCLE_1)
	s_or_b32 exec_lo, exec_lo, s3
.LBB1_29:
	s_delay_alu instid0(SALU_CYCLE_1) | instskip(SKIP_3) | instid1(VALU_DEP_2)
	s_or_b32 exec_lo, exec_lo, s2
	v_dual_mul_f32 v10, v12, v9 :: v_dual_mov_b32 v11, 7
	v_mov_b32_e32 v9, 7
	s_mov_b32 s2, exec_lo
	v_cmpx_nle_f32_e64 0x40a00000, |v10|
	s_cbranch_execz .LBB1_41
; %bb.30:
	v_mov_b32_e32 v9, 6
	s_mov_b32 s3, exec_lo
	v_cmpx_nle_f32_e64 0x40600000, |v10|
	s_cbranch_execz .LBB1_40
; %bb.31:
	;; [unrolled: 5-line block ×5, first 2 shown]
	v_mov_b32_e32 v9, 2
	s_mov_b32 s9, exec_lo
	v_cmpx_nle_f32_e64 0x3f400000, |v10|
; %bb.35:
	v_cmp_le_f32_e64 s10, 0x3e800000, |v10|
	s_delay_alu instid0(VALU_DEP_1)
	v_cndmask_b32_e64 v9, 0, 1, s10
; %bb.36:
	s_or_b32 exec_lo, exec_lo, s9
.LBB1_37:
	s_delay_alu instid0(SALU_CYCLE_1)
	s_or_b32 exec_lo, exec_lo, s8
.LBB1_38:
	s_delay_alu instid0(SALU_CYCLE_1)
	s_or_b32 exec_lo, exec_lo, s7
.LBB1_39:
	s_delay_alu instid0(SALU_CYCLE_1)
	s_or_b32 exec_lo, exec_lo, s5
.LBB1_40:
	s_delay_alu instid0(SALU_CYCLE_1)
	s_or_b32 exec_lo, exec_lo, s3
.LBB1_41:
	s_delay_alu instid0(SALU_CYCLE_1) | instskip(SKIP_2) | instid1(VALU_DEP_1)
	s_or_b32 exec_lo, exec_lo, s2
	v_mul_f32_e32 v14, v12, v14
	s_mov_b32 s2, exec_lo
	v_cmpx_nle_f32_e64 0x40a00000, |v14|
	s_cbranch_execz .LBB1_53
; %bb.42:
	v_mov_b32_e32 v11, 6
	s_mov_b32 s3, exec_lo
	v_cmpx_nle_f32_e64 0x40600000, |v14|
	s_cbranch_execz .LBB1_52
; %bb.43:
	v_mov_b32_e32 v11, 5
	;; [unrolled: 5-line block ×5, first 2 shown]
	s_mov_b32 s9, exec_lo
	v_cmpx_nle_f32_e64 0x3f400000, |v14|
; %bb.47:
	v_cmp_le_f32_e64 s10, 0x3e800000, |v14|
	s_delay_alu instid0(VALU_DEP_1)
	v_cndmask_b32_e64 v11, 0, 1, s10
; %bb.48:
	s_or_b32 exec_lo, exec_lo, s9
.LBB1_49:
	s_delay_alu instid0(SALU_CYCLE_1)
	s_or_b32 exec_lo, exec_lo, s8
.LBB1_50:
	s_delay_alu instid0(SALU_CYCLE_1)
	s_or_b32 exec_lo, exec_lo, s7
.LBB1_51:
	s_delay_alu instid0(SALU_CYCLE_1)
	s_or_b32 exec_lo, exec_lo, s5
.LBB1_52:
	s_delay_alu instid0(SALU_CYCLE_1)
	s_or_b32 exec_lo, exec_lo, s3
.LBB1_53:
	s_delay_alu instid0(SALU_CYCLE_1) | instskip(SKIP_3) | instid1(VALU_DEP_2)
	s_or_b32 exec_lo, exec_lo, s2
	v_dual_mul_f32 v18, v12, v16 :: v_dual_mov_b32 v17, 7
	v_mov_b32_e32 v16, 7
	s_mov_b32 s2, exec_lo
	v_cmpx_nle_f32_e64 0x40a00000, |v18|
	s_cbranch_execz .LBB1_65
; %bb.54:
	v_mov_b32_e32 v17, 6
	s_mov_b32 s3, exec_lo
	v_cmpx_nle_f32_e64 0x40600000, |v18|
	s_cbranch_execz .LBB1_64
; %bb.55:
	;; [unrolled: 5-line block ×5, first 2 shown]
	v_mov_b32_e32 v17, 2
	s_mov_b32 s9, exec_lo
	v_cmpx_nle_f32_e64 0x3f400000, |v18|
; %bb.59:
	v_cmp_le_f32_e64 s10, 0x3e800000, |v18|
	s_delay_alu instid0(VALU_DEP_1)
	v_cndmask_b32_e64 v17, 0, 1, s10
; %bb.60:
	s_or_b32 exec_lo, exec_lo, s9
.LBB1_61:
	s_delay_alu instid0(SALU_CYCLE_1)
	s_or_b32 exec_lo, exec_lo, s8
.LBB1_62:
	s_delay_alu instid0(SALU_CYCLE_1)
	s_or_b32 exec_lo, exec_lo, s7
.LBB1_63:
	s_delay_alu instid0(SALU_CYCLE_1)
	s_or_b32 exec_lo, exec_lo, s5
.LBB1_64:
	s_delay_alu instid0(SALU_CYCLE_1)
	s_or_b32 exec_lo, exec_lo, s3
.LBB1_65:
	s_delay_alu instid0(SALU_CYCLE_1) | instskip(SKIP_2) | instid1(VALU_DEP_1)
	s_or_b32 exec_lo, exec_lo, s2
	v_mul_f32_e32 v20, v12, v20
	s_mov_b32 s2, exec_lo
	v_cmpx_nle_f32_e64 0x40a00000, |v20|
	s_cbranch_execz .LBB1_77
; %bb.66:
	v_mov_b32_e32 v16, 6
	s_mov_b32 s3, exec_lo
	v_cmpx_nle_f32_e64 0x40600000, |v20|
	s_cbranch_execz .LBB1_76
; %bb.67:
	v_mov_b32_e32 v16, 5
	;; [unrolled: 5-line block ×5, first 2 shown]
	s_mov_b32 s9, exec_lo
	v_cmpx_nle_f32_e64 0x3f400000, |v20|
; %bb.71:
	v_cmp_le_f32_e64 s10, 0x3e800000, |v20|
	s_delay_alu instid0(VALU_DEP_1)
	v_cndmask_b32_e64 v16, 0, 1, s10
; %bb.72:
	s_or_b32 exec_lo, exec_lo, s9
.LBB1_73:
	s_delay_alu instid0(SALU_CYCLE_1)
	s_or_b32 exec_lo, exec_lo, s8
.LBB1_74:
	s_delay_alu instid0(SALU_CYCLE_1)
	s_or_b32 exec_lo, exec_lo, s7
.LBB1_75:
	s_delay_alu instid0(SALU_CYCLE_1)
	s_or_b32 exec_lo, exec_lo, s5
.LBB1_76:
	s_delay_alu instid0(SALU_CYCLE_1)
	s_or_b32 exec_lo, exec_lo, s3
.LBB1_77:
	s_delay_alu instid0(SALU_CYCLE_1) | instskip(SKIP_3) | instid1(VALU_DEP_2)
	s_or_b32 exec_lo, exec_lo, s2
	v_dual_mul_f32 v24, v12, v22 :: v_dual_mov_b32 v23, 7
	v_mov_b32_e32 v22, 7
	s_mov_b32 s2, exec_lo
	v_cmpx_nle_f32_e64 0x40a00000, |v24|
	s_cbranch_execz .LBB1_89
; %bb.78:
	v_mov_b32_e32 v23, 6
	s_mov_b32 s3, exec_lo
	v_cmpx_nle_f32_e64 0x40600000, |v24|
	s_cbranch_execz .LBB1_88
; %bb.79:
	;; [unrolled: 5-line block ×5, first 2 shown]
	v_mov_b32_e32 v23, 2
	s_mov_b32 s9, exec_lo
	v_cmpx_nle_f32_e64 0x3f400000, |v24|
; %bb.83:
	v_cmp_le_f32_e64 s10, 0x3e800000, |v24|
	s_delay_alu instid0(VALU_DEP_1)
	v_cndmask_b32_e64 v23, 0, 1, s10
; %bb.84:
	s_or_b32 exec_lo, exec_lo, s9
.LBB1_85:
	s_delay_alu instid0(SALU_CYCLE_1)
	s_or_b32 exec_lo, exec_lo, s8
.LBB1_86:
	s_delay_alu instid0(SALU_CYCLE_1)
	s_or_b32 exec_lo, exec_lo, s7
.LBB1_87:
	s_delay_alu instid0(SALU_CYCLE_1)
	s_or_b32 exec_lo, exec_lo, s5
.LBB1_88:
	s_delay_alu instid0(SALU_CYCLE_1)
	s_or_b32 exec_lo, exec_lo, s3
.LBB1_89:
	s_delay_alu instid0(SALU_CYCLE_1) | instskip(SKIP_2) | instid1(VALU_DEP_1)
	s_or_b32 exec_lo, exec_lo, s2
	v_mul_f32_e32 v26, v12, v26
	s_mov_b32 s2, exec_lo
	v_cmpx_nle_f32_e64 0x40a00000, |v26|
	s_cbranch_execz .LBB1_101
; %bb.90:
	v_mov_b32_e32 v22, 6
	s_mov_b32 s3, exec_lo
	v_cmpx_nle_f32_e64 0x40600000, |v26|
	s_cbranch_execz .LBB1_100
; %bb.91:
	v_mov_b32_e32 v22, 5
	;; [unrolled: 5-line block ×5, first 2 shown]
	s_mov_b32 s9, exec_lo
	v_cmpx_nle_f32_e64 0x3f400000, |v26|
; %bb.95:
	v_cmp_le_f32_e64 s10, 0x3e800000, |v26|
	s_delay_alu instid0(VALU_DEP_1)
	v_cndmask_b32_e64 v22, 0, 1, s10
; %bb.96:
	s_or_b32 exec_lo, exec_lo, s9
.LBB1_97:
	s_delay_alu instid0(SALU_CYCLE_1)
	s_or_b32 exec_lo, exec_lo, s8
.LBB1_98:
	s_delay_alu instid0(SALU_CYCLE_1)
	s_or_b32 exec_lo, exec_lo, s7
.LBB1_99:
	s_delay_alu instid0(SALU_CYCLE_1)
	s_or_b32 exec_lo, exec_lo, s5
.LBB1_100:
	s_delay_alu instid0(SALU_CYCLE_1)
	s_or_b32 exec_lo, exec_lo, s3
.LBB1_101:
	s_delay_alu instid0(SALU_CYCLE_1) | instskip(SKIP_3) | instid1(VALU_DEP_2)
	s_or_b32 exec_lo, exec_lo, s2
	v_dual_mul_f32 v29, v12, v28 :: v_dual_mov_b32 v28, 7
	v_mov_b32_e32 v30, 7
	s_mov_b32 s2, exec_lo
	v_cmpx_nle_f32_e64 0x40a00000, |v29|
	s_cbranch_execz .LBB1_113
; %bb.102:
	v_mov_b32_e32 v30, 6
	s_mov_b32 s3, exec_lo
	v_cmpx_nle_f32_e64 0x40600000, |v29|
	s_cbranch_execz .LBB1_112
; %bb.103:
	;; [unrolled: 5-line block ×5, first 2 shown]
	v_mov_b32_e32 v30, 2
	s_mov_b32 s9, exec_lo
	v_cmpx_nle_f32_e64 0x3f400000, |v29|
; %bb.107:
	v_cmp_le_f32_e64 s10, 0x3e800000, |v29|
	s_delay_alu instid0(VALU_DEP_1)
	v_cndmask_b32_e64 v30, 0, 1, s10
; %bb.108:
	s_or_b32 exec_lo, exec_lo, s9
.LBB1_109:
	s_delay_alu instid0(SALU_CYCLE_1)
	s_or_b32 exec_lo, exec_lo, s8
.LBB1_110:
	s_delay_alu instid0(SALU_CYCLE_1)
	s_or_b32 exec_lo, exec_lo, s7
.LBB1_111:
	s_delay_alu instid0(SALU_CYCLE_1)
	s_or_b32 exec_lo, exec_lo, s5
.LBB1_112:
	s_delay_alu instid0(SALU_CYCLE_1)
	s_or_b32 exec_lo, exec_lo, s3
.LBB1_113:
	s_delay_alu instid0(SALU_CYCLE_1) | instskip(SKIP_2) | instid1(VALU_DEP_1)
	s_or_b32 exec_lo, exec_lo, s2
	v_mul_f32_e32 v32, v12, v32
	s_mov_b32 s2, exec_lo
	v_cmpx_nle_f32_e64 0x40a00000, |v32|
	s_cbranch_execz .LBB1_125
; %bb.114:
	v_mov_b32_e32 v28, 6
	s_mov_b32 s3, exec_lo
	v_cmpx_nle_f32_e64 0x40600000, |v32|
	s_cbranch_execz .LBB1_124
; %bb.115:
	v_mov_b32_e32 v28, 5
	;; [unrolled: 5-line block ×5, first 2 shown]
	s_mov_b32 s9, exec_lo
	v_cmpx_nle_f32_e64 0x3f400000, |v32|
; %bb.119:
	v_cmp_le_f32_e64 s10, 0x3e800000, |v32|
	s_delay_alu instid0(VALU_DEP_1)
	v_cndmask_b32_e64 v28, 0, 1, s10
; %bb.120:
	s_or_b32 exec_lo, exec_lo, s9
.LBB1_121:
	s_delay_alu instid0(SALU_CYCLE_1)
	s_or_b32 exec_lo, exec_lo, s8
.LBB1_122:
	s_delay_alu instid0(SALU_CYCLE_1)
	s_or_b32 exec_lo, exec_lo, s7
.LBB1_123:
	s_delay_alu instid0(SALU_CYCLE_1)
	s_or_b32 exec_lo, exec_lo, s5
.LBB1_124:
	s_delay_alu instid0(SALU_CYCLE_1)
	s_or_b32 exec_lo, exec_lo, s3
.LBB1_125:
	s_delay_alu instid0(SALU_CYCLE_1) | instskip(SKIP_3) | instid1(VALU_DEP_2)
	s_or_b32 exec_lo, exec_lo, s2
	v_dual_mul_f32 v36, v12, v34 :: v_dual_mov_b32 v35, 7
	v_mov_b32_e32 v34, 7
	s_mov_b32 s2, exec_lo
	v_cmpx_nle_f32_e64 0x40a00000, |v36|
	s_cbranch_execz .LBB1_137
; %bb.126:
	v_mov_b32_e32 v35, 6
	s_mov_b32 s3, exec_lo
	v_cmpx_nle_f32_e64 0x40600000, |v36|
	s_cbranch_execz .LBB1_136
; %bb.127:
	;; [unrolled: 5-line block ×5, first 2 shown]
	v_mov_b32_e32 v35, 2
	s_mov_b32 s9, exec_lo
	v_cmpx_nle_f32_e64 0x3f400000, |v36|
; %bb.131:
	v_cmp_le_f32_e64 s10, 0x3e800000, |v36|
	s_delay_alu instid0(VALU_DEP_1)
	v_cndmask_b32_e64 v35, 0, 1, s10
; %bb.132:
	s_or_b32 exec_lo, exec_lo, s9
.LBB1_133:
	s_delay_alu instid0(SALU_CYCLE_1)
	s_or_b32 exec_lo, exec_lo, s8
.LBB1_134:
	s_delay_alu instid0(SALU_CYCLE_1)
	s_or_b32 exec_lo, exec_lo, s7
.LBB1_135:
	s_delay_alu instid0(SALU_CYCLE_1)
	s_or_b32 exec_lo, exec_lo, s5
.LBB1_136:
	s_delay_alu instid0(SALU_CYCLE_1)
	s_or_b32 exec_lo, exec_lo, s3
.LBB1_137:
	s_delay_alu instid0(SALU_CYCLE_1) | instskip(SKIP_2) | instid1(VALU_DEP_1)
	s_or_b32 exec_lo, exec_lo, s2
	v_mul_f32_e32 v38, v12, v38
	s_mov_b32 s2, exec_lo
	v_cmpx_nle_f32_e64 0x40a00000, |v38|
	s_cbranch_execz .LBB1_149
; %bb.138:
	v_mov_b32_e32 v34, 6
	s_mov_b32 s3, exec_lo
	v_cmpx_nle_f32_e64 0x40600000, |v38|
	s_cbranch_execz .LBB1_148
; %bb.139:
	v_mov_b32_e32 v34, 5
	s_mov_b32 s5, exec_lo
	v_cmpx_nle_f32_e64 0x40200000, |v38|
	s_cbranch_execz .LBB1_147
; %bb.140:
	v_mov_b32_e32 v34, 4
	s_mov_b32 s7, exec_lo
	v_cmpx_nle_f32_e64 0x3fe00000, |v38|
	s_cbranch_execz .LBB1_146
; %bb.141:
	v_mov_b32_e32 v34, 3
	s_mov_b32 s8, exec_lo
	v_cmpx_nle_f32_e64 0x3fa00000, |v38|
	s_cbranch_execz .LBB1_145
; %bb.142:
	v_mov_b32_e32 v34, 2
	s_mov_b32 s9, exec_lo
	v_cmpx_nle_f32_e64 0x3f400000, |v38|
; %bb.143:
	v_cmp_le_f32_e64 s10, 0x3e800000, |v38|
	s_delay_alu instid0(VALU_DEP_1)
	v_cndmask_b32_e64 v34, 0, 1, s10
; %bb.144:
	s_or_b32 exec_lo, exec_lo, s9
.LBB1_145:
	s_delay_alu instid0(SALU_CYCLE_1)
	s_or_b32 exec_lo, exec_lo, s8
.LBB1_146:
	s_delay_alu instid0(SALU_CYCLE_1)
	s_or_b32 exec_lo, exec_lo, s7
.LBB1_147:
	s_delay_alu instid0(SALU_CYCLE_1)
	s_or_b32 exec_lo, exec_lo, s5
.LBB1_148:
	s_delay_alu instid0(SALU_CYCLE_1)
	s_or_b32 exec_lo, exec_lo, s3
.LBB1_149:
	s_delay_alu instid0(SALU_CYCLE_1) | instskip(SKIP_3) | instid1(VALU_DEP_2)
	s_or_b32 exec_lo, exec_lo, s2
	v_dual_mul_f32 v44, v12, v40 :: v_dual_mov_b32 v43, 7
	v_mov_b32_e32 v40, 7
	s_mov_b32 s2, exec_lo
	v_cmpx_nle_f32_e64 0x40a00000, |v44|
	s_cbranch_execz .LBB1_161
; %bb.150:
	v_mov_b32_e32 v43, 6
	s_mov_b32 s3, exec_lo
	v_cmpx_nle_f32_e64 0x40600000, |v44|
	s_cbranch_execz .LBB1_160
; %bb.151:
	;; [unrolled: 5-line block ×5, first 2 shown]
	v_mov_b32_e32 v43, 2
	s_mov_b32 s9, exec_lo
	v_cmpx_nle_f32_e64 0x3f400000, |v44|
; %bb.155:
	v_cmp_le_f32_e64 s10, 0x3e800000, |v44|
	s_delay_alu instid0(VALU_DEP_1)
	v_cndmask_b32_e64 v43, 0, 1, s10
; %bb.156:
	s_or_b32 exec_lo, exec_lo, s9
.LBB1_157:
	s_delay_alu instid0(SALU_CYCLE_1)
	s_or_b32 exec_lo, exec_lo, s8
.LBB1_158:
	s_delay_alu instid0(SALU_CYCLE_1)
	s_or_b32 exec_lo, exec_lo, s7
.LBB1_159:
	s_delay_alu instid0(SALU_CYCLE_1)
	s_or_b32 exec_lo, exec_lo, s5
.LBB1_160:
	s_delay_alu instid0(SALU_CYCLE_1)
	s_or_b32 exec_lo, exec_lo, s3
.LBB1_161:
	s_delay_alu instid0(SALU_CYCLE_1) | instskip(SKIP_2) | instid1(VALU_DEP_1)
	s_or_b32 exec_lo, exec_lo, s2
	v_mul_f32_e32 v42, v12, v42
	s_mov_b32 s2, exec_lo
	v_cmpx_nle_f32_e64 0x40a00000, |v42|
	s_cbranch_execz .LBB1_173
; %bb.162:
	v_mov_b32_e32 v40, 6
	s_mov_b32 s3, exec_lo
	v_cmpx_nle_f32_e64 0x40600000, |v42|
	s_cbranch_execz .LBB1_172
; %bb.163:
	v_mov_b32_e32 v40, 5
	s_mov_b32 s5, exec_lo
	v_cmpx_nle_f32_e64 0x40200000, |v42|
	s_cbranch_execz .LBB1_171
; %bb.164:
	v_mov_b32_e32 v40, 4
	s_mov_b32 s7, exec_lo
	v_cmpx_nle_f32_e64 0x3fe00000, |v42|
	s_cbranch_execz .LBB1_170
; %bb.165:
	v_mov_b32_e32 v40, 3
	s_mov_b32 s8, exec_lo
	v_cmpx_nle_f32_e64 0x3fa00000, |v42|
	s_cbranch_execz .LBB1_169
; %bb.166:
	v_mov_b32_e32 v40, 2
	s_mov_b32 s9, exec_lo
	v_cmpx_nle_f32_e64 0x3f400000, |v42|
; %bb.167:
	v_cmp_le_f32_e64 s10, 0x3e800000, |v42|
	s_delay_alu instid0(VALU_DEP_1)
	v_cndmask_b32_e64 v40, 0, 1, s10
; %bb.168:
	s_or_b32 exec_lo, exec_lo, s9
.LBB1_169:
	s_delay_alu instid0(SALU_CYCLE_1)
	s_or_b32 exec_lo, exec_lo, s8
.LBB1_170:
	s_delay_alu instid0(SALU_CYCLE_1)
	s_or_b32 exec_lo, exec_lo, s7
.LBB1_171:
	s_delay_alu instid0(SALU_CYCLE_1)
	s_or_b32 exec_lo, exec_lo, s5
.LBB1_172:
	s_delay_alu instid0(SALU_CYCLE_1)
	s_or_b32 exec_lo, exec_lo, s3
.LBB1_173:
	s_delay_alu instid0(SALU_CYCLE_1) | instskip(SKIP_3) | instid1(VALU_DEP_2)
	s_or_b32 exec_lo, exec_lo, s2
	v_dual_mul_f32 v50, v12, v46 :: v_dual_mov_b32 v49, 7
	v_mov_b32_e32 v46, 7
	s_mov_b32 s2, exec_lo
	v_cmpx_nle_f32_e64 0x40a00000, |v50|
	s_cbranch_execz .LBB1_185
; %bb.174:
	v_mov_b32_e32 v49, 6
	s_mov_b32 s3, exec_lo
	v_cmpx_nle_f32_e64 0x40600000, |v50|
	s_cbranch_execz .LBB1_184
; %bb.175:
	;; [unrolled: 5-line block ×5, first 2 shown]
	v_mov_b32_e32 v49, 2
	s_mov_b32 s9, exec_lo
	v_cmpx_nle_f32_e64 0x3f400000, |v50|
; %bb.179:
	v_cmp_le_f32_e64 s10, 0x3e800000, |v50|
	s_delay_alu instid0(VALU_DEP_1)
	v_cndmask_b32_e64 v49, 0, 1, s10
; %bb.180:
	s_or_b32 exec_lo, exec_lo, s9
.LBB1_181:
	s_delay_alu instid0(SALU_CYCLE_1)
	s_or_b32 exec_lo, exec_lo, s8
.LBB1_182:
	s_delay_alu instid0(SALU_CYCLE_1)
	s_or_b32 exec_lo, exec_lo, s7
.LBB1_183:
	s_delay_alu instid0(SALU_CYCLE_1)
	s_or_b32 exec_lo, exec_lo, s5
.LBB1_184:
	s_delay_alu instid0(SALU_CYCLE_1)
	s_or_b32 exec_lo, exec_lo, s3
.LBB1_185:
	s_delay_alu instid0(SALU_CYCLE_1) | instskip(SKIP_2) | instid1(VALU_DEP_1)
	s_or_b32 exec_lo, exec_lo, s2
	v_mul_f32_e32 v47, v12, v47
	s_mov_b32 s2, exec_lo
	v_cmpx_nle_f32_e64 0x40a00000, |v47|
	s_cbranch_execz .LBB1_197
; %bb.186:
	v_mov_b32_e32 v46, 6
	s_mov_b32 s3, exec_lo
	v_cmpx_nle_f32_e64 0x40600000, |v47|
	s_cbranch_execz .LBB1_196
; %bb.187:
	v_mov_b32_e32 v46, 5
	;; [unrolled: 5-line block ×5, first 2 shown]
	s_mov_b32 s9, exec_lo
	v_cmpx_nle_f32_e64 0x3f400000, |v47|
; %bb.191:
	v_cmp_le_f32_e64 s10, 0x3e800000, |v47|
	s_delay_alu instid0(VALU_DEP_1)
	v_cndmask_b32_e64 v46, 0, 1, s10
; %bb.192:
	s_or_b32 exec_lo, exec_lo, s9
.LBB1_193:
	s_delay_alu instid0(SALU_CYCLE_1)
	s_or_b32 exec_lo, exec_lo, s8
.LBB1_194:
	s_delay_alu instid0(SALU_CYCLE_1)
	s_or_b32 exec_lo, exec_lo, s7
.LBB1_195:
	s_delay_alu instid0(SALU_CYCLE_1)
	s_or_b32 exec_lo, exec_lo, s5
.LBB1_196:
	s_delay_alu instid0(SALU_CYCLE_1)
	s_or_b32 exec_lo, exec_lo, s3
.LBB1_197:
	s_delay_alu instid0(SALU_CYCLE_1) | instskip(SKIP_3) | instid1(VALU_DEP_2)
	s_or_b32 exec_lo, exec_lo, s2
	v_dual_mul_f32 v54, v12, v52 :: v_dual_mov_b32 v53, 7
	v_mov_b32_e32 v52, 7
	s_mov_b32 s2, exec_lo
	v_cmpx_nle_f32_e64 0x40a00000, |v54|
	s_cbranch_execz .LBB1_209
; %bb.198:
	v_mov_b32_e32 v53, 6
	s_mov_b32 s3, exec_lo
	v_cmpx_nle_f32_e64 0x40600000, |v54|
	s_cbranch_execz .LBB1_208
; %bb.199:
	;; [unrolled: 5-line block ×5, first 2 shown]
	v_mov_b32_e32 v53, 2
	s_mov_b32 s9, exec_lo
	v_cmpx_nle_f32_e64 0x3f400000, |v54|
; %bb.203:
	v_cmp_le_f32_e64 s10, 0x3e800000, |v54|
	s_delay_alu instid0(VALU_DEP_1)
	v_cndmask_b32_e64 v53, 0, 1, s10
; %bb.204:
	s_or_b32 exec_lo, exec_lo, s9
.LBB1_205:
	s_delay_alu instid0(SALU_CYCLE_1)
	s_or_b32 exec_lo, exec_lo, s8
.LBB1_206:
	s_delay_alu instid0(SALU_CYCLE_1)
	s_or_b32 exec_lo, exec_lo, s7
.LBB1_207:
	s_delay_alu instid0(SALU_CYCLE_1)
	s_or_b32 exec_lo, exec_lo, s5
.LBB1_208:
	s_delay_alu instid0(SALU_CYCLE_1)
	s_or_b32 exec_lo, exec_lo, s3
.LBB1_209:
	s_delay_alu instid0(SALU_CYCLE_1) | instskip(SKIP_2) | instid1(VALU_DEP_1)
	s_or_b32 exec_lo, exec_lo, s2
	v_mul_f32_e32 v51, v12, v51
	s_mov_b32 s2, exec_lo
	v_cmpx_nle_f32_e64 0x40a00000, |v51|
	s_cbranch_execz .LBB1_221
; %bb.210:
	v_mov_b32_e32 v52, 6
	s_mov_b32 s3, exec_lo
	v_cmpx_nle_f32_e64 0x40600000, |v51|
	s_cbranch_execz .LBB1_220
; %bb.211:
	v_mov_b32_e32 v52, 5
	;; [unrolled: 5-line block ×5, first 2 shown]
	s_mov_b32 s9, exec_lo
	v_cmpx_nle_f32_e64 0x3f400000, |v51|
; %bb.215:
	v_cmp_le_f32_e64 s10, 0x3e800000, |v51|
	s_delay_alu instid0(VALU_DEP_1)
	v_cndmask_b32_e64 v52, 0, 1, s10
; %bb.216:
	s_or_b32 exec_lo, exec_lo, s9
.LBB1_217:
	s_delay_alu instid0(SALU_CYCLE_1)
	s_or_b32 exec_lo, exec_lo, s8
.LBB1_218:
	s_delay_alu instid0(SALU_CYCLE_1)
	s_or_b32 exec_lo, exec_lo, s7
.LBB1_219:
	s_delay_alu instid0(SALU_CYCLE_1)
	s_or_b32 exec_lo, exec_lo, s5
.LBB1_220:
	s_delay_alu instid0(SALU_CYCLE_1)
	s_or_b32 exec_lo, exec_lo, s3
.LBB1_221:
	s_delay_alu instid0(SALU_CYCLE_1) | instskip(SKIP_3) | instid1(VALU_DEP_2)
	s_or_b32 exec_lo, exec_lo, s2
	v_dual_mul_f32 v55, v12, v48 :: v_dual_mov_b32 v48, 7
	v_mov_b32_e32 v56, 7
	s_mov_b32 s2, exec_lo
	v_cmpx_nle_f32_e64 0x40a00000, |v55|
	s_cbranch_execz .LBB1_233
; %bb.222:
	v_mov_b32_e32 v56, 6
	s_mov_b32 s3, exec_lo
	v_cmpx_nle_f32_e64 0x40600000, |v55|
	s_cbranch_execz .LBB1_232
; %bb.223:
	;; [unrolled: 5-line block ×5, first 2 shown]
	v_mov_b32_e32 v56, 2
	s_mov_b32 s9, exec_lo
	v_cmpx_nle_f32_e64 0x3f400000, |v55|
; %bb.227:
	v_cmp_le_f32_e64 s10, 0x3e800000, |v55|
	s_delay_alu instid0(VALU_DEP_1)
	v_cndmask_b32_e64 v56, 0, 1, s10
; %bb.228:
	s_or_b32 exec_lo, exec_lo, s9
.LBB1_229:
	s_delay_alu instid0(SALU_CYCLE_1)
	s_or_b32 exec_lo, exec_lo, s8
.LBB1_230:
	s_delay_alu instid0(SALU_CYCLE_1)
	s_or_b32 exec_lo, exec_lo, s7
.LBB1_231:
	s_delay_alu instid0(SALU_CYCLE_1)
	s_or_b32 exec_lo, exec_lo, s5
.LBB1_232:
	s_delay_alu instid0(SALU_CYCLE_1)
	s_or_b32 exec_lo, exec_lo, s3
.LBB1_233:
	s_delay_alu instid0(SALU_CYCLE_1) | instskip(SKIP_2) | instid1(VALU_DEP_1)
	s_or_b32 exec_lo, exec_lo, s2
	v_mul_f32_e32 v45, v12, v45
	s_mov_b32 s2, exec_lo
	v_cmpx_nle_f32_e64 0x40a00000, |v45|
	s_cbranch_execz .LBB1_245
; %bb.234:
	v_mov_b32_e32 v48, 6
	s_mov_b32 s3, exec_lo
	v_cmpx_nle_f32_e64 0x40600000, |v45|
	s_cbranch_execz .LBB1_244
; %bb.235:
	v_mov_b32_e32 v48, 5
	;; [unrolled: 5-line block ×5, first 2 shown]
	s_mov_b32 s9, exec_lo
	v_cmpx_nle_f32_e64 0x3f400000, |v45|
; %bb.239:
	v_cmp_le_f32_e64 s10, 0x3e800000, |v45|
	s_delay_alu instid0(VALU_DEP_1)
	v_cndmask_b32_e64 v48, 0, 1, s10
; %bb.240:
	s_or_b32 exec_lo, exec_lo, s9
.LBB1_241:
	s_delay_alu instid0(SALU_CYCLE_1)
	s_or_b32 exec_lo, exec_lo, s8
.LBB1_242:
	s_delay_alu instid0(SALU_CYCLE_1)
	s_or_b32 exec_lo, exec_lo, s7
.LBB1_243:
	s_delay_alu instid0(SALU_CYCLE_1)
	s_or_b32 exec_lo, exec_lo, s5
.LBB1_244:
	s_delay_alu instid0(SALU_CYCLE_1)
	s_or_b32 exec_lo, exec_lo, s3
.LBB1_245:
	s_delay_alu instid0(SALU_CYCLE_1) | instskip(SKIP_3) | instid1(VALU_DEP_2)
	s_or_b32 exec_lo, exec_lo, s2
	v_dual_mul_f32 v58, v12, v41 :: v_dual_mov_b32 v41, 7
	v_mov_b32_e32 v57, 7
	s_mov_b32 s2, exec_lo
	v_cmpx_nle_f32_e64 0x40a00000, |v58|
	s_cbranch_execz .LBB1_257
; %bb.246:
	v_mov_b32_e32 v57, 6
	s_mov_b32 s3, exec_lo
	v_cmpx_nle_f32_e64 0x40600000, |v58|
	s_cbranch_execz .LBB1_256
; %bb.247:
	;; [unrolled: 5-line block ×5, first 2 shown]
	v_mov_b32_e32 v57, 2
	s_mov_b32 s9, exec_lo
	v_cmpx_nle_f32_e64 0x3f400000, |v58|
; %bb.251:
	v_cmp_le_f32_e64 s10, 0x3e800000, |v58|
	s_delay_alu instid0(VALU_DEP_1)
	v_cndmask_b32_e64 v57, 0, 1, s10
; %bb.252:
	s_or_b32 exec_lo, exec_lo, s9
.LBB1_253:
	s_delay_alu instid0(SALU_CYCLE_1)
	s_or_b32 exec_lo, exec_lo, s8
.LBB1_254:
	s_delay_alu instid0(SALU_CYCLE_1)
	s_or_b32 exec_lo, exec_lo, s7
.LBB1_255:
	s_delay_alu instid0(SALU_CYCLE_1)
	s_or_b32 exec_lo, exec_lo, s5
.LBB1_256:
	s_delay_alu instid0(SALU_CYCLE_1)
	s_or_b32 exec_lo, exec_lo, s3
.LBB1_257:
	s_delay_alu instid0(SALU_CYCLE_1) | instskip(SKIP_2) | instid1(VALU_DEP_1)
	s_or_b32 exec_lo, exec_lo, s2
	v_mul_f32_e32 v39, v12, v39
	s_mov_b32 s2, exec_lo
	v_cmpx_nle_f32_e64 0x40a00000, |v39|
	s_cbranch_execz .LBB1_269
; %bb.258:
	v_mov_b32_e32 v41, 6
	s_mov_b32 s3, exec_lo
	v_cmpx_nle_f32_e64 0x40600000, |v39|
	s_cbranch_execz .LBB1_268
; %bb.259:
	v_mov_b32_e32 v41, 5
	;; [unrolled: 5-line block ×5, first 2 shown]
	s_mov_b32 s9, exec_lo
	v_cmpx_nle_f32_e64 0x3f400000, |v39|
; %bb.263:
	v_cmp_le_f32_e64 s10, 0x3e800000, |v39|
	s_delay_alu instid0(VALU_DEP_1)
	v_cndmask_b32_e64 v41, 0, 1, s10
; %bb.264:
	s_or_b32 exec_lo, exec_lo, s9
.LBB1_265:
	s_delay_alu instid0(SALU_CYCLE_1)
	s_or_b32 exec_lo, exec_lo, s8
.LBB1_266:
	s_delay_alu instid0(SALU_CYCLE_1)
	s_or_b32 exec_lo, exec_lo, s7
.LBB1_267:
	s_delay_alu instid0(SALU_CYCLE_1)
	s_or_b32 exec_lo, exec_lo, s5
.LBB1_268:
	s_delay_alu instid0(SALU_CYCLE_1)
	s_or_b32 exec_lo, exec_lo, s3
.LBB1_269:
	s_delay_alu instid0(SALU_CYCLE_1) | instskip(SKIP_3) | instid1(VALU_DEP_2)
	s_or_b32 exec_lo, exec_lo, s2
	v_dual_mul_f32 v60, v12, v37 :: v_dual_mov_b32 v37, 7
	v_mov_b32_e32 v59, 7
	s_mov_b32 s2, exec_lo
	v_cmpx_nle_f32_e64 0x40a00000, |v60|
	s_cbranch_execz .LBB1_281
; %bb.270:
	v_mov_b32_e32 v59, 6
	s_mov_b32 s3, exec_lo
	v_cmpx_nle_f32_e64 0x40600000, |v60|
	s_cbranch_execz .LBB1_280
; %bb.271:
	;; [unrolled: 5-line block ×5, first 2 shown]
	v_mov_b32_e32 v59, 2
	s_mov_b32 s9, exec_lo
	v_cmpx_nle_f32_e64 0x3f400000, |v60|
; %bb.275:
	v_cmp_le_f32_e64 s10, 0x3e800000, |v60|
	s_delay_alu instid0(VALU_DEP_1)
	v_cndmask_b32_e64 v59, 0, 1, s10
; %bb.276:
	s_or_b32 exec_lo, exec_lo, s9
.LBB1_277:
	s_delay_alu instid0(SALU_CYCLE_1)
	s_or_b32 exec_lo, exec_lo, s8
.LBB1_278:
	s_delay_alu instid0(SALU_CYCLE_1)
	s_or_b32 exec_lo, exec_lo, s7
.LBB1_279:
	s_delay_alu instid0(SALU_CYCLE_1)
	s_or_b32 exec_lo, exec_lo, s5
.LBB1_280:
	s_delay_alu instid0(SALU_CYCLE_1)
	s_or_b32 exec_lo, exec_lo, s3
.LBB1_281:
	s_delay_alu instid0(SALU_CYCLE_1) | instskip(SKIP_2) | instid1(VALU_DEP_1)
	s_or_b32 exec_lo, exec_lo, s2
	v_mul_f32_e32 v33, v12, v33
	s_mov_b32 s2, exec_lo
	v_cmpx_nle_f32_e64 0x40a00000, |v33|
	s_cbranch_execz .LBB1_293
; %bb.282:
	v_mov_b32_e32 v37, 6
	s_mov_b32 s3, exec_lo
	v_cmpx_nle_f32_e64 0x40600000, |v33|
	s_cbranch_execz .LBB1_292
; %bb.283:
	v_mov_b32_e32 v37, 5
	;; [unrolled: 5-line block ×5, first 2 shown]
	s_mov_b32 s9, exec_lo
	v_cmpx_nle_f32_e64 0x3f400000, |v33|
; %bb.287:
	v_cmp_le_f32_e64 s10, 0x3e800000, |v33|
	s_delay_alu instid0(VALU_DEP_1)
	v_cndmask_b32_e64 v37, 0, 1, s10
; %bb.288:
	s_or_b32 exec_lo, exec_lo, s9
.LBB1_289:
	s_delay_alu instid0(SALU_CYCLE_1)
	s_or_b32 exec_lo, exec_lo, s8
.LBB1_290:
	s_delay_alu instid0(SALU_CYCLE_1)
	s_or_b32 exec_lo, exec_lo, s7
.LBB1_291:
	s_delay_alu instid0(SALU_CYCLE_1)
	s_or_b32 exec_lo, exec_lo, s5
.LBB1_292:
	s_delay_alu instid0(SALU_CYCLE_1)
	s_or_b32 exec_lo, exec_lo, s3
.LBB1_293:
	s_delay_alu instid0(SALU_CYCLE_1) | instskip(SKIP_3) | instid1(VALU_DEP_2)
	s_or_b32 exec_lo, exec_lo, s2
	v_dual_mul_f32 v62, v12, v31 :: v_dual_mov_b32 v31, 7
	v_mov_b32_e32 v61, 7
	s_mov_b32 s2, exec_lo
	v_cmpx_nle_f32_e64 0x40a00000, |v62|
	s_cbranch_execz .LBB1_305
; %bb.294:
	v_mov_b32_e32 v61, 6
	s_mov_b32 s3, exec_lo
	v_cmpx_nle_f32_e64 0x40600000, |v62|
	s_cbranch_execz .LBB1_304
; %bb.295:
	;; [unrolled: 5-line block ×5, first 2 shown]
	v_mov_b32_e32 v61, 2
	s_mov_b32 s9, exec_lo
	v_cmpx_nle_f32_e64 0x3f400000, |v62|
; %bb.299:
	v_cmp_le_f32_e64 s10, 0x3e800000, |v62|
	s_delay_alu instid0(VALU_DEP_1)
	v_cndmask_b32_e64 v61, 0, 1, s10
; %bb.300:
	s_or_b32 exec_lo, exec_lo, s9
.LBB1_301:
	s_delay_alu instid0(SALU_CYCLE_1)
	s_or_b32 exec_lo, exec_lo, s8
.LBB1_302:
	s_delay_alu instid0(SALU_CYCLE_1)
	s_or_b32 exec_lo, exec_lo, s7
.LBB1_303:
	s_delay_alu instid0(SALU_CYCLE_1)
	s_or_b32 exec_lo, exec_lo, s5
.LBB1_304:
	s_delay_alu instid0(SALU_CYCLE_1)
	s_or_b32 exec_lo, exec_lo, s3
.LBB1_305:
	s_delay_alu instid0(SALU_CYCLE_1) | instskip(SKIP_2) | instid1(VALU_DEP_1)
	s_or_b32 exec_lo, exec_lo, s2
	v_mul_f32_e32 v27, v12, v27
	s_mov_b32 s2, exec_lo
	v_cmpx_nle_f32_e64 0x40a00000, |v27|
	s_cbranch_execz .LBB1_317
; %bb.306:
	v_mov_b32_e32 v31, 6
	s_mov_b32 s3, exec_lo
	v_cmpx_nle_f32_e64 0x40600000, |v27|
	s_cbranch_execz .LBB1_316
; %bb.307:
	v_mov_b32_e32 v31, 5
	;; [unrolled: 5-line block ×5, first 2 shown]
	s_mov_b32 s9, exec_lo
	v_cmpx_nle_f32_e64 0x3f400000, |v27|
; %bb.311:
	v_cmp_le_f32_e64 s10, 0x3e800000, |v27|
	s_delay_alu instid0(VALU_DEP_1)
	v_cndmask_b32_e64 v31, 0, 1, s10
; %bb.312:
	s_or_b32 exec_lo, exec_lo, s9
.LBB1_313:
	s_delay_alu instid0(SALU_CYCLE_1)
	s_or_b32 exec_lo, exec_lo, s8
.LBB1_314:
	s_delay_alu instid0(SALU_CYCLE_1)
	s_or_b32 exec_lo, exec_lo, s7
.LBB1_315:
	s_delay_alu instid0(SALU_CYCLE_1)
	s_or_b32 exec_lo, exec_lo, s5
.LBB1_316:
	s_delay_alu instid0(SALU_CYCLE_1)
	s_or_b32 exec_lo, exec_lo, s3
.LBB1_317:
	s_delay_alu instid0(SALU_CYCLE_1) | instskip(SKIP_3) | instid1(VALU_DEP_2)
	s_or_b32 exec_lo, exec_lo, s2
	v_dual_mul_f32 v64, v12, v25 :: v_dual_mov_b32 v25, 7
	v_mov_b32_e32 v63, 7
	s_mov_b32 s2, exec_lo
	v_cmpx_nle_f32_e64 0x40a00000, |v64|
	s_cbranch_execz .LBB1_329
; %bb.318:
	v_mov_b32_e32 v63, 6
	s_mov_b32 s3, exec_lo
	v_cmpx_nle_f32_e64 0x40600000, |v64|
	s_cbranch_execz .LBB1_328
; %bb.319:
	;; [unrolled: 5-line block ×5, first 2 shown]
	v_mov_b32_e32 v63, 2
	s_mov_b32 s9, exec_lo
	v_cmpx_nle_f32_e64 0x3f400000, |v64|
; %bb.323:
	v_cmp_le_f32_e64 s10, 0x3e800000, |v64|
	s_delay_alu instid0(VALU_DEP_1)
	v_cndmask_b32_e64 v63, 0, 1, s10
; %bb.324:
	s_or_b32 exec_lo, exec_lo, s9
.LBB1_325:
	s_delay_alu instid0(SALU_CYCLE_1)
	s_or_b32 exec_lo, exec_lo, s8
.LBB1_326:
	s_delay_alu instid0(SALU_CYCLE_1)
	s_or_b32 exec_lo, exec_lo, s7
.LBB1_327:
	s_delay_alu instid0(SALU_CYCLE_1)
	s_or_b32 exec_lo, exec_lo, s5
.LBB1_328:
	s_delay_alu instid0(SALU_CYCLE_1)
	s_or_b32 exec_lo, exec_lo, s3
.LBB1_329:
	s_delay_alu instid0(SALU_CYCLE_1) | instskip(SKIP_2) | instid1(VALU_DEP_1)
	s_or_b32 exec_lo, exec_lo, s2
	v_mul_f32_e32 v21, v12, v21
	s_mov_b32 s2, exec_lo
	v_cmpx_nle_f32_e64 0x40a00000, |v21|
	s_cbranch_execz .LBB1_341
; %bb.330:
	v_mov_b32_e32 v25, 6
	s_mov_b32 s3, exec_lo
	v_cmpx_nle_f32_e64 0x40600000, |v21|
	s_cbranch_execz .LBB1_340
; %bb.331:
	v_mov_b32_e32 v25, 5
	;; [unrolled: 5-line block ×5, first 2 shown]
	s_mov_b32 s9, exec_lo
	v_cmpx_nle_f32_e64 0x3f400000, |v21|
; %bb.335:
	v_cmp_le_f32_e64 s10, 0x3e800000, |v21|
	s_delay_alu instid0(VALU_DEP_1)
	v_cndmask_b32_e64 v25, 0, 1, s10
; %bb.336:
	s_or_b32 exec_lo, exec_lo, s9
.LBB1_337:
	s_delay_alu instid0(SALU_CYCLE_1)
	s_or_b32 exec_lo, exec_lo, s8
.LBB1_338:
	s_delay_alu instid0(SALU_CYCLE_1)
	s_or_b32 exec_lo, exec_lo, s7
.LBB1_339:
	s_delay_alu instid0(SALU_CYCLE_1)
	s_or_b32 exec_lo, exec_lo, s5
.LBB1_340:
	s_delay_alu instid0(SALU_CYCLE_1)
	s_or_b32 exec_lo, exec_lo, s3
.LBB1_341:
	s_delay_alu instid0(SALU_CYCLE_1) | instskip(SKIP_3) | instid1(VALU_DEP_2)
	s_or_b32 exec_lo, exec_lo, s2
	v_dual_mul_f32 v65, v12, v19 :: v_dual_mov_b32 v66, 7
	v_mov_b32_e32 v19, 7
	s_mov_b32 s2, exec_lo
	v_cmpx_nle_f32_e64 0x40a00000, |v65|
	s_cbranch_execz .LBB1_353
; %bb.342:
	v_mov_b32_e32 v66, 6
	s_mov_b32 s3, exec_lo
	v_cmpx_nle_f32_e64 0x40600000, |v65|
	s_cbranch_execz .LBB1_352
; %bb.343:
	;; [unrolled: 5-line block ×5, first 2 shown]
	v_mov_b32_e32 v66, 2
	s_mov_b32 s9, exec_lo
	v_cmpx_nle_f32_e64 0x3f400000, |v65|
; %bb.347:
	v_cmp_le_f32_e64 s10, 0x3e800000, |v65|
	s_delay_alu instid0(VALU_DEP_1)
	v_cndmask_b32_e64 v66, 0, 1, s10
; %bb.348:
	s_or_b32 exec_lo, exec_lo, s9
.LBB1_349:
	s_delay_alu instid0(SALU_CYCLE_1)
	s_or_b32 exec_lo, exec_lo, s8
.LBB1_350:
	s_delay_alu instid0(SALU_CYCLE_1)
	s_or_b32 exec_lo, exec_lo, s7
.LBB1_351:
	s_delay_alu instid0(SALU_CYCLE_1)
	s_or_b32 exec_lo, exec_lo, s5
.LBB1_352:
	s_delay_alu instid0(SALU_CYCLE_1)
	s_or_b32 exec_lo, exec_lo, s3
.LBB1_353:
	s_delay_alu instid0(SALU_CYCLE_1) | instskip(SKIP_2) | instid1(VALU_DEP_1)
	s_or_b32 exec_lo, exec_lo, s2
	v_mul_f32_e32 v15, v12, v15
	s_mov_b32 s2, exec_lo
	v_cmpx_nle_f32_e64 0x40a00000, |v15|
	s_cbranch_execz .LBB1_365
; %bb.354:
	v_mov_b32_e32 v19, 6
	s_mov_b32 s3, exec_lo
	v_cmpx_nle_f32_e64 0x40600000, |v15|
	s_cbranch_execz .LBB1_364
; %bb.355:
	v_mov_b32_e32 v19, 5
	;; [unrolled: 5-line block ×5, first 2 shown]
	s_mov_b32 s9, exec_lo
	v_cmpx_nle_f32_e64 0x3f400000, |v15|
; %bb.359:
	v_cmp_le_f32_e64 s10, 0x3e800000, |v15|
	s_delay_alu instid0(VALU_DEP_1)
	v_cndmask_b32_e64 v19, 0, 1, s10
; %bb.360:
	s_or_b32 exec_lo, exec_lo, s9
.LBB1_361:
	s_delay_alu instid0(SALU_CYCLE_1)
	s_or_b32 exec_lo, exec_lo, s8
.LBB1_362:
	s_delay_alu instid0(SALU_CYCLE_1)
	s_or_b32 exec_lo, exec_lo, s7
.LBB1_363:
	s_delay_alu instid0(SALU_CYCLE_1)
	s_or_b32 exec_lo, exec_lo, s5
.LBB1_364:
	s_delay_alu instid0(SALU_CYCLE_1)
	s_or_b32 exec_lo, exec_lo, s3
.LBB1_365:
	s_delay_alu instid0(SALU_CYCLE_1) | instskip(SKIP_4) | instid1(VALU_DEP_2)
	s_or_b32 exec_lo, exec_lo, s2
	s_load_b64 s[2:3], s[0:1], 0x10
	v_dual_mul_f32 v67, v12, v13 :: v_dual_mov_b32 v68, 7
	v_mov_b32_e32 v13, 7
	s_mov_b32 s5, exec_lo
	v_cmpx_nle_f32_e64 0x40a00000, |v67|
	s_cbranch_execz .LBB1_377
; %bb.366:
	v_mov_b32_e32 v68, 6
	s_mov_b32 s7, exec_lo
	v_cmpx_nle_f32_e64 0x40600000, |v67|
	s_cbranch_execz .LBB1_376
; %bb.367:
	;; [unrolled: 5-line block ×5, first 2 shown]
	v_mov_b32_e32 v68, 2
	s_mov_b32 s11, exec_lo
	v_cmpx_nle_f32_e64 0x3f400000, |v67|
; %bb.371:
	v_cmp_le_f32_e64 s12, 0x3e800000, |v67|
	s_delay_alu instid0(VALU_DEP_1)
	v_cndmask_b32_e64 v68, 0, 1, s12
; %bb.372:
	s_or_b32 exec_lo, exec_lo, s11
.LBB1_373:
	s_delay_alu instid0(SALU_CYCLE_1)
	s_or_b32 exec_lo, exec_lo, s10
.LBB1_374:
	s_delay_alu instid0(SALU_CYCLE_1)
	s_or_b32 exec_lo, exec_lo, s9
.LBB1_375:
	s_delay_alu instid0(SALU_CYCLE_1)
	s_or_b32 exec_lo, exec_lo, s8
.LBB1_376:
	s_delay_alu instid0(SALU_CYCLE_1)
	s_or_b32 exec_lo, exec_lo, s7
.LBB1_377:
	s_delay_alu instid0(SALU_CYCLE_1) | instskip(SKIP_3) | instid1(VALU_DEP_1)
	s_or_b32 exec_lo, exec_lo, s5
	s_load_b64 s[0:1], s[0:1], 0x8
	v_mul_f32_e32 v8, v12, v8
	s_mov_b32 s5, exec_lo
	v_cmpx_nle_f32_e64 0x40a00000, |v8|
	s_cbranch_execz .LBB1_389
; %bb.378:
	v_mov_b32_e32 v13, 6
	s_mov_b32 s7, exec_lo
	v_cmpx_nle_f32_e64 0x40600000, |v8|
	s_cbranch_execz .LBB1_388
; %bb.379:
	v_mov_b32_e32 v13, 5
	;; [unrolled: 5-line block ×5, first 2 shown]
	s_mov_b32 s11, exec_lo
	v_cmpx_nle_f32_e64 0x3f400000, |v8|
; %bb.383:
	v_cmp_le_f32_e64 s12, 0x3e800000, |v8|
	s_delay_alu instid0(VALU_DEP_1)
	v_cndmask_b32_e64 v13, 0, 1, s12
; %bb.384:
	s_or_b32 exec_lo, exec_lo, s11
.LBB1_385:
	s_delay_alu instid0(SALU_CYCLE_1)
	s_or_b32 exec_lo, exec_lo, s10
.LBB1_386:
	s_delay_alu instid0(SALU_CYCLE_1)
	s_or_b32 exec_lo, exec_lo, s9
.LBB1_387:
	s_delay_alu instid0(SALU_CYCLE_1)
	s_or_b32 exec_lo, exec_lo, s8
.LBB1_388:
	s_delay_alu instid0(SALU_CYCLE_1)
	s_or_b32 exec_lo, exec_lo, s7
.LBB1_389:
	s_delay_alu instid0(SALU_CYCLE_1)
	s_or_b32 exec_lo, exec_lo, s5
	v_cmp_gt_f32_e32 vcc_lo, 0, v67
	v_lshlrev_b16 v6, 4, v6
	v_lshlrev_b16 v25, 4, v25
	;; [unrolled: 1-line block ×4, first 2 shown]
	v_cndmask_b32_e64 v12, 0, 1, vcc_lo
	v_cmp_gt_f32_e32 vcc_lo, 0, v65
	s_lshr_b32 s5, s4, 31
	s_delay_alu instid0(SALU_CYCLE_1) | instskip(NEXT) | instid1(VALU_DEP_2)
	s_add_i32 s4, s4, s5
	v_lshlrev_b16 v12, 3, v12
	v_cndmask_b32_e64 v65, 0, 1, vcc_lo
	v_cmp_gt_f32_e32 vcc_lo, 0, v64
	s_ashr_i32 s4, s4, 1
	s_delay_alu instid0(SALU_CYCLE_1) | instskip(NEXT) | instid1(VALU_DEP_2)
	s_ashr_i32 s5, s4, 31
	v_lshlrev_b16 v65, 3, v65
	v_cndmask_b32_e64 v64, 0, 1, vcc_lo
	v_cmp_gt_f32_e32 vcc_lo, 0, v62
	v_or_b32_e32 v12, v12, v68
	v_mul_lo_u32 v1, v1, s4
	v_or_b32_e32 v65, v65, v66
	v_lshlrev_b16 v64, 3, v64
	v_cndmask_b32_e64 v62, 0, 1, vcc_lo
	v_cmp_gt_f32_e32 vcc_lo, 0, v60
	s_delay_alu instid0(VALU_DEP_3) | instskip(NEXT) | instid1(VALU_DEP_3)
	v_or_b32_e32 v63, v64, v63
	v_lshlrev_b16 v62, 3, v62
	v_cndmask_b32_e64 v60, 0, 1, vcc_lo
	v_cmp_gt_f32_e32 vcc_lo, 0, v58
	s_delay_alu instid0(VALU_DEP_3) | instskip(NEXT) | instid1(VALU_DEP_3)
	;; [unrolled: 5-line block ×10, first 2 shown]
	v_or_b32_e32 v29, v29, v30
	v_lshlrev_b16 v24, 3, v24
	v_cndmask_b32_e64 v18, 0, 1, vcc_lo
	v_cmp_gt_f32_e32 vcc_lo, 0, v5
	s_delay_alu instid0(VALU_DEP_2) | instskip(SKIP_2) | instid1(VALU_DEP_2)
	v_lshlrev_b16 v18, 3, v18
	v_cndmask_b32_e64 v5, 0, 1, vcc_lo
	v_cmp_gt_f32_e32 vcc_lo, 0, v7
	v_lshlrev_b16 v5, 3, v5
	v_cndmask_b32_e64 v7, 0, 1, vcc_lo
	v_cmp_gt_f32_e32 vcc_lo, 0, v10
	s_delay_alu instid0(VALU_DEP_3) | instskip(NEXT) | instid1(VALU_DEP_3)
	v_or_b32_e32 v4, v5, v4
	v_lshlrev_b16 v7, 7, v7
	v_cndmask_b32_e64 v10, 0, 1, vcc_lo
	v_cmp_gt_f32_e32 vcc_lo, 0, v14
	s_delay_alu instid0(VALU_DEP_3)
	v_or_b32_e32 v5, v7, v6
	v_lshlrev_b16 v6, 4, v11
	v_cndmask_b32_e64 v14, 0, 1, vcc_lo
	v_cmp_gt_f32_e32 vcc_lo, 0, v20
	v_lshlrev_b16 v10, 3, v10
	v_or_b32_e32 v4, v5, v4
	v_or_b32_e32 v11, v24, v23
	v_lshlrev_b16 v7, 7, v14
	v_or_b32_e32 v14, v18, v17
	v_or_b32_e32 v9, v10, v9
	v_lshlrev_b16 v10, 4, v22
	v_lshlrev_b16 v22, 4, v34
	v_or_b32_e32 v5, v7, v6
	v_cndmask_b32_e64 v6, 0, 1, vcc_lo
	v_cmp_gt_f32_e32 vcc_lo, 0, v26
	v_lshlrev_b16 v23, 4, v40
	s_delay_alu instid0(VALU_DEP_4)
	v_or_b32_e32 v9, v5, v9
	v_lshlrev_b16 v5, 4, v16
	v_cndmask_b32_e64 v7, 0, 1, vcc_lo
	v_cmp_gt_f32_e32 vcc_lo, 0, v32
	v_lshlrev_b16 v6, 7, v6
	v_lshlrev_b16 v16, 4, v28
	;; [unrolled: 1-line block ×4, first 2 shown]
	v_cndmask_b32_e64 v17, 0, 1, vcc_lo
	v_cmp_gt_f32_e32 vcc_lo, 0, v38
	v_or_b32_e32 v5, v6, v5
	v_or_b32_e32 v4, v4, v9
	;; [unrolled: 1-line block ×3, first 2 shown]
	v_lshlrev_b16 v17, 7, v17
	v_cndmask_b32_e64 v18, 0, 1, vcc_lo
	v_cmp_gt_f32_e32 vcc_lo, 0, v42
	v_or_b32_e32 v14, v5, v14
	v_or_b32_e32 v11, v6, v11
	;; [unrolled: 1-line block ×3, first 2 shown]
	v_lshlrev_b16 v18, 7, v18
	v_cndmask_b32_e64 v20, 0, 1, vcc_lo
	v_cmp_gt_f32_e32 vcc_lo, 0, v51
	v_lshlrev_b16 v6, 4, v52
	v_lshlrev_b16 v5, 4, v46
	v_or_b32_e32 v10, v18, v22
	v_lshlrev_b16 v20, 7, v20
	v_cndmask_b32_e64 v17, 0, 1, vcc_lo
	v_cmp_gt_f32_e32 vcc_lo, 0, v45
	v_lshlrev_b16 v22, 4, v48
	v_or_b32_e32 v10, v10, v35
	v_or_b32_e32 v16, v20, v23
	v_lshlrev_b16 v17, 7, v17
	v_cndmask_b32_e64 v18, 0, 1, vcc_lo
	v_cmp_gt_f32_e32 vcc_lo, 0, v39
	v_lshlrev_b16 v23, 4, v41
	v_or_b32_e32 v7, v7, v29
	v_or_b32_e32 v6, v17, v6
	v_lshlrev_b16 v18, 7, v18
	v_cndmask_b32_e64 v20, 0, 1, vcc_lo
	v_cmp_gt_f32_e32 vcc_lo, 0, v47
	v_or_b32_e32 v16, v16, v43
	v_or_b32_e32 v6, v6, v53
	;; [unrolled: 1-line block ×3, first 2 shown]
	v_lshlrev_b16 v20, 7, v20
	v_cndmask_b32_e64 v24, 0, 1, vcc_lo
	v_cmp_gt_f32_e32 vcc_lo, 0, v33
	v_lshlrev_b16 v22, 4, v37
	v_or_b32_e32 v17, v17, v55
	v_or_b32_e32 v18, v20, v23
	v_lshlrev_b16 v23, 4, v31
	v_cndmask_b32_e64 v20, 0, 1, vcc_lo
	v_cmp_gt_f32_e32 vcc_lo, 0, v21
	v_lshlrev_b16 v17, 8, v17
	v_or_b32_e32 v18, v18, v57
	v_lshlrev_b16 v11, 8, v11
	v_lshlrev_b16 v20, 7, v20
	v_cndmask_b32_e64 v21, 0, 1, vcc_lo
	v_cmp_gt_f32_e32 vcc_lo, 0, v27
	v_or_b32_e32 v6, v6, v17
	s_delay_alu instid0(VALU_DEP_3) | instskip(SKIP_2) | instid1(VALU_DEP_3)
	v_lshlrev_b16 v21, 7, v21
	v_cndmask_b32_e64 v26, 0, 1, vcc_lo
	v_cmp_gt_f32_e32 vcc_lo, 0, v8
	v_or_b32_e32 v21, v21, v25
	s_delay_alu instid0(VALU_DEP_3) | instskip(SKIP_2) | instid1(VALU_DEP_2)
	v_lshlrev_b16 v26, 7, v26
	v_cndmask_b32_e64 v8, 0, 1, vcc_lo
	v_cmp_gt_f32_e32 vcc_lo, 0, v15
	v_lshlrev_b16 v8, 7, v8
	v_cndmask_b32_e64 v15, 0, 1, vcc_lo
	s_delay_alu instid0(VALU_DEP_2) | instskip(NEXT) | instid1(VALU_DEP_2)
	v_or_b32_e32 v8, v8, v13
	v_lshlrev_b16 v15, 7, v15
	v_or_b32_e32 v13, v20, v22
	v_or_b32_e32 v20, v26, v23
	s_delay_alu instid0(VALU_DEP_4) | instskip(NEXT) | instid1(VALU_DEP_4)
	v_or_b32_e32 v8, v8, v12
	v_or_b32_e32 v15, v15, v19
	;; [unrolled: 1-line block ×5, first 2 shown]
	v_lshlrev_b16 v8, 8, v8
	v_or_b32_e32 v15, v15, v65
	v_lshlrev_b16 v19, 8, v19
	v_lshlrev_b16 v12, 8, v12
	;; [unrolled: 1-line block ×3, first 2 shown]
	s_delay_alu instid0(VALU_DEP_4) | instskip(NEXT) | instid1(VALU_DEP_4)
	v_or_b32_e32 v8, v15, v8
	v_or_b32_e32 v13, v13, v19
	s_delay_alu instid0(VALU_DEP_4) | instskip(NEXT) | instid1(VALU_DEP_4)
	v_or_b32_e32 v12, v18, v12
	v_or_b32_e32 v5, v20, v5
	v_ashrrev_i32_e32 v18, 31, v0
	v_lshlrev_b32_e32 v8, 16, v8
	v_and_b32_e32 v13, 0xffff, v13
	v_and_b32_e32 v15, 0xffff, v6
	v_lshlrev_b32_e32 v12, 16, v12
	v_or_b32_e32 v17, v5, v49
	v_lshrrev_b32_e32 v19, 23, v3
	v_or_b32_e32 v6, v13, v8
	v_lshrrev_b32_e32 v8, 27, v18
	v_or_b32_e32 v5, v15, v12
	v_lshlrev_b16 v3, 8, v10
	v_lshlrev_b16 v10, 8, v17
	s_delay_alu instid0(VALU_DEP_4) | instskip(SKIP_1) | instid1(VALU_DEP_4)
	v_add_nc_u32_e32 v12, v0, v8
	v_or_b32_e32 v8, v14, v11
	v_or_b32_e32 v3, v7, v3
	s_delay_alu instid0(VALU_DEP_4)
	v_or_b32_e32 v7, v16, v10
	v_and_b32_e32 v10, 0xffff, v4
	v_and_b32_e32 v9, 0xffe0, v12
	v_lshlrev_b32_e32 v8, 16, v8
	v_and_b32_e32 v3, 0xffff, v3
	v_lshlrev_b32_e32 v7, 16, v7
	v_lshrrev_b32_e32 v11, 28, v18
	v_sub_nc_u32_e32 v9, v0, v9
	v_lshlrev_b32_e32 v14, 8, v2
	s_delay_alu instid0(VALU_DEP_4) | instskip(SKIP_1) | instid1(VALU_DEP_4)
	v_or_b32_e32 v4, v3, v7
	v_or_b32_e32 v3, v10, v8
	v_bfe_i32 v7, v9, 0, 8
	v_lshlrev_b32_e32 v8, 4, v0
	v_and_b32_e32 v10, -16, v0
	v_add_nc_u32_e32 v11, v0, v11
	s_delay_alu instid0(VALU_DEP_4) | instskip(NEXT) | instid1(VALU_DEP_4)
	v_lshrrev_b16 v7, 11, v7
	v_and_b32_e32 v13, 0xf0, v8
	s_delay_alu instid0(VALU_DEP_4) | instskip(NEXT) | instid1(VALU_DEP_4)
	v_mul_lo_u32 v15, v10, s5
	v_and_b32_e32 v11, 0x3ffffff0, v11
	s_delay_alu instid0(VALU_DEP_4)
	v_and_b32_e32 v16, 15, v7
	s_waitcnt lgkmcnt(0)
	v_mad_u64_u32 v[7:8], null, v10, s4, s[0:1]
	v_lshrrev_b32_e32 v10, 5, v12
	v_lshlrev_b32_e32 v12, 6, v2
	v_add_nc_u16 v9, v9, v16
	v_sub_nc_u32_e32 v0, v0, v11
	v_and_b32_e32 v16, 0x3fffff8, v2
	v_mul_lo_u32 v10, v10, s6
	v_and_b32_e32 v12, 0xc0, v12
	v_bfe_i32 v9, v9, 0, 8
	v_lshrrev_b32_e32 v2, 1, v2
	v_add3_u32 v1, v1, v8, v15
	v_and_b32_e32 v11, 0x7ffffe00, v14
	v_lshl_add_u32 v0, v0, 2, v12
	v_ashrrev_i16 v9, 4, v9
	v_add_lshl_u32 v8, v10, v16, 5
	v_and_b32_e32 v12, 0x100, v14
	s_delay_alu instid0(VALU_DEP_4) | instskip(NEXT) | instid1(VALU_DEP_4)
	v_and_or_b32 v0, v2, 2, v0
	v_bfe_i32 v9, v9, 0, 16
	v_add_co_u32 v2, vcc_lo, v7, v13
	v_add_co_ci_u32_e32 v1, vcc_lo, 0, v1, vcc_lo
	s_delay_alu instid0(VALU_DEP_3) | instskip(NEXT) | instid1(VALU_DEP_3)
	v_add3_u32 v7, v0, v8, v9
	v_add_co_u32 v0, vcc_lo, v2, v11
	s_delay_alu instid0(VALU_DEP_3) | instskip(NEXT) | instid1(VALU_DEP_3)
	v_add_co_ci_u32_e32 v1, vcc_lo, 0, v1, vcc_lo
	v_ashrrev_i32_e32 v2, 31, v7
	s_delay_alu instid0(VALU_DEP_3) | instskip(NEXT) | instid1(VALU_DEP_3)
	v_add_co_u32 v0, vcc_lo, v0, v12
	v_add_co_ci_u32_e32 v1, vcc_lo, 0, v1, vcc_lo
	v_add_co_u32 v7, vcc_lo, s2, v7
	s_delay_alu instid0(VALU_DEP_4)
	v_add_co_ci_u32_e32 v8, vcc_lo, s3, v2, vcc_lo
	global_store_b128 v[0:1], v[3:6], off
	global_store_b8 v[7:8], v19, off
.LBB1_390:
	s_nop 0
	s_sendmsg sendmsg(MSG_DEALLOC_VGPRS)
	s_endpgm
	.section	.rodata,"a",@progbits
	.p2align	6, 0x0
	.amdhsa_kernel _ZN5aiter18quant_mxfp4_kernelI6__halfLNS_16MxScaleRoundModeE0ELb1ELb0ELb1EEEvPKT_PhPfliiib
		.amdhsa_group_segment_fixed_size 0
		.amdhsa_private_segment_fixed_size 0
		.amdhsa_kernarg_size 304
		.amdhsa_user_sgpr_count 15
		.amdhsa_user_sgpr_dispatch_ptr 0
		.amdhsa_user_sgpr_queue_ptr 0
		.amdhsa_user_sgpr_kernarg_segment_ptr 1
		.amdhsa_user_sgpr_dispatch_id 0
		.amdhsa_user_sgpr_private_segment_size 0
		.amdhsa_wavefront_size32 1
		.amdhsa_uses_dynamic_stack 0
		.amdhsa_enable_private_segment 0
		.amdhsa_system_sgpr_workgroup_id_x 1
		.amdhsa_system_sgpr_workgroup_id_y 0
		.amdhsa_system_sgpr_workgroup_id_z 0
		.amdhsa_system_sgpr_workgroup_info 0
		.amdhsa_system_vgpr_workitem_id 0
		.amdhsa_next_free_vgpr 69
		.amdhsa_next_free_sgpr 16
		.amdhsa_reserve_vcc 1
		.amdhsa_float_round_mode_32 0
		.amdhsa_float_round_mode_16_64 0
		.amdhsa_float_denorm_mode_32 3
		.amdhsa_float_denorm_mode_16_64 3
		.amdhsa_dx10_clamp 1
		.amdhsa_ieee_mode 1
		.amdhsa_fp16_overflow 0
		.amdhsa_workgroup_processor_mode 1
		.amdhsa_memory_ordered 1
		.amdhsa_forward_progress 0
		.amdhsa_shared_vgpr_count 0
		.amdhsa_exception_fp_ieee_invalid_op 0
		.amdhsa_exception_fp_denorm_src 0
		.amdhsa_exception_fp_ieee_div_zero 0
		.amdhsa_exception_fp_ieee_overflow 0
		.amdhsa_exception_fp_ieee_underflow 0
		.amdhsa_exception_fp_ieee_inexact 0
		.amdhsa_exception_int_div_zero 0
	.end_amdhsa_kernel
	.section	.text._ZN5aiter18quant_mxfp4_kernelI6__halfLNS_16MxScaleRoundModeE0ELb1ELb0ELb1EEEvPKT_PhPfliiib,"axG",@progbits,_ZN5aiter18quant_mxfp4_kernelI6__halfLNS_16MxScaleRoundModeE0ELb1ELb0ELb1EEEvPKT_PhPfliiib,comdat
.Lfunc_end1:
	.size	_ZN5aiter18quant_mxfp4_kernelI6__halfLNS_16MxScaleRoundModeE0ELb1ELb0ELb1EEEvPKT_PhPfliiib, .Lfunc_end1-_ZN5aiter18quant_mxfp4_kernelI6__halfLNS_16MxScaleRoundModeE0ELb1ELb0ELb1EEEvPKT_PhPfliiib
                                        ; -- End function
	.section	.AMDGPU.csdata,"",@progbits
; Kernel info:
; codeLenInByte = 10136
; NumSgprs: 18
; NumVgprs: 69
; ScratchSize: 0
; MemoryBound: 0
; FloatMode: 240
; IeeeMode: 1
; LDSByteSize: 0 bytes/workgroup (compile time only)
; SGPRBlocks: 2
; VGPRBlocks: 8
; NumSGPRsForWavesPerEU: 18
; NumVGPRsForWavesPerEU: 69
; Occupancy: 16
; WaveLimiterHint : 0
; COMPUTE_PGM_RSRC2:SCRATCH_EN: 0
; COMPUTE_PGM_RSRC2:USER_SGPR: 15
; COMPUTE_PGM_RSRC2:TRAP_HANDLER: 0
; COMPUTE_PGM_RSRC2:TGID_X_EN: 1
; COMPUTE_PGM_RSRC2:TGID_Y_EN: 0
; COMPUTE_PGM_RSRC2:TGID_Z_EN: 0
; COMPUTE_PGM_RSRC2:TIDIG_COMP_CNT: 0
	.section	.text._ZN5aiter18quant_mxfp4_kernelI6__halfLNS_16MxScaleRoundModeE0ELb1ELb0ELb0EEEvPKT_PhPfliiib,"axG",@progbits,_ZN5aiter18quant_mxfp4_kernelI6__halfLNS_16MxScaleRoundModeE0ELb1ELb0ELb0EEEvPKT_PhPfliiib,comdat
	.protected	_ZN5aiter18quant_mxfp4_kernelI6__halfLNS_16MxScaleRoundModeE0ELb1ELb0ELb0EEEvPKT_PhPfliiib ; -- Begin function _ZN5aiter18quant_mxfp4_kernelI6__halfLNS_16MxScaleRoundModeE0ELb1ELb0ELb0EEEvPKT_PhPfliiib
	.globl	_ZN5aiter18quant_mxfp4_kernelI6__halfLNS_16MxScaleRoundModeE0ELb1ELb0ELb0EEEvPKT_PhPfliiib
	.p2align	8
	.type	_ZN5aiter18quant_mxfp4_kernelI6__halfLNS_16MxScaleRoundModeE0ELb1ELb0ELb0EEEvPKT_PhPfliiib,@function
_ZN5aiter18quant_mxfp4_kernelI6__halfLNS_16MxScaleRoundModeE0ELb1ELb0ELb0EEEvPKT_PhPfliiib: ; @_ZN5aiter18quant_mxfp4_kernelI6__halfLNS_16MxScaleRoundModeE0ELb1ELb0ELb0EEEvPKT_PhPfliiib
; %bb.0:
	s_clause 0x1
	s_load_b32 s2, s[0:1], 0x3c
	s_load_b128 s[4:7], s[0:1], 0x20
	v_mov_b32_e32 v1, 0
	s_mov_b32 s3, exec_lo
	s_delay_alu instid0(VALU_DEP_1) | instskip(SKIP_2) | instid1(SALU_CYCLE_1)
	v_mov_b32_e32 v4, v1
	s_waitcnt lgkmcnt(0)
	s_and_b32 s2, s2, 0xffff
	v_mad_u64_u32 v[2:3], null, s2, s15, v[0:1]
	s_ashr_i32 s2, s6, 31
                                        ; implicit-def: $vgpr0_vgpr1
	s_delay_alu instid0(VALU_DEP_1) | instid1(SALU_CYCLE_1)
	v_or_b32_e32 v5, s2, v3
	s_delay_alu instid0(VALU_DEP_1)
	v_cmpx_ne_u64_e32 0, v[4:5]
	s_xor_b32 s3, exec_lo, s3
	s_cbranch_execz .LBB2_2
; %bb.1:
	s_add_u32 s10, s6, s2
	s_mov_b32 s8, s2
	s_mov_b32 s9, s2
	s_addc_u32 s11, s2, s2
	s_delay_alu instid0(SALU_CYCLE_1) | instskip(NEXT) | instid1(SALU_CYCLE_1)
	s_xor_b64 s[10:11], s[10:11], s[8:9]
	v_cvt_f32_u32_e32 v0, s10
	v_cvt_f32_u32_e32 v1, s11
	s_sub_u32 s2, 0, s10
	s_subb_u32 s7, 0, s11
	s_delay_alu instid0(VALU_DEP_1) | instskip(NEXT) | instid1(VALU_DEP_1)
	v_fmamk_f32 v0, v1, 0x4f800000, v0
	v_rcp_f32_e32 v0, v0
	s_waitcnt_depctr 0xfff
	v_mul_f32_e32 v0, 0x5f7ffffc, v0
	s_delay_alu instid0(VALU_DEP_1) | instskip(NEXT) | instid1(VALU_DEP_1)
	v_mul_f32_e32 v1, 0x2f800000, v0
	v_trunc_f32_e32 v1, v1
	s_delay_alu instid0(VALU_DEP_1) | instskip(SKIP_1) | instid1(VALU_DEP_2)
	v_fmamk_f32 v0, v1, 0xcf800000, v0
	v_cvt_u32_f32_e32 v1, v1
	v_cvt_u32_f32_e32 v0, v0
	s_delay_alu instid0(VALU_DEP_2) | instskip(NEXT) | instid1(VALU_DEP_2)
	v_mul_lo_u32 v4, s2, v1
	v_mul_hi_u32 v5, s2, v0
	v_mul_lo_u32 v6, s7, v0
	s_delay_alu instid0(VALU_DEP_2) | instskip(SKIP_1) | instid1(VALU_DEP_2)
	v_add_nc_u32_e32 v4, v5, v4
	v_mul_lo_u32 v5, s2, v0
	v_add_nc_u32_e32 v4, v4, v6
	s_delay_alu instid0(VALU_DEP_2) | instskip(NEXT) | instid1(VALU_DEP_2)
	v_mul_hi_u32 v6, v0, v5
	v_mul_lo_u32 v7, v0, v4
	v_mul_hi_u32 v8, v0, v4
	v_mul_hi_u32 v9, v1, v5
	v_mul_lo_u32 v5, v1, v5
	v_mul_hi_u32 v10, v1, v4
	v_mul_lo_u32 v4, v1, v4
	v_add_co_u32 v6, vcc_lo, v6, v7
	v_add_co_ci_u32_e32 v7, vcc_lo, 0, v8, vcc_lo
	s_delay_alu instid0(VALU_DEP_2) | instskip(NEXT) | instid1(VALU_DEP_2)
	v_add_co_u32 v5, vcc_lo, v6, v5
	v_add_co_ci_u32_e32 v5, vcc_lo, v7, v9, vcc_lo
	v_add_co_ci_u32_e32 v6, vcc_lo, 0, v10, vcc_lo
	v_ashrrev_i32_e32 v9, 31, v3
	s_delay_alu instid0(VALU_DEP_3) | instskip(NEXT) | instid1(VALU_DEP_3)
	v_add_co_u32 v4, vcc_lo, v5, v4
	v_add_co_ci_u32_e32 v5, vcc_lo, 0, v6, vcc_lo
	s_delay_alu instid0(VALU_DEP_2) | instskip(NEXT) | instid1(VALU_DEP_2)
	v_add_co_u32 v0, vcc_lo, v0, v4
	v_add_co_ci_u32_e32 v1, vcc_lo, v1, v5, vcc_lo
	s_delay_alu instid0(VALU_DEP_2) | instskip(SKIP_1) | instid1(VALU_DEP_3)
	v_mul_hi_u32 v4, s2, v0
	v_mul_lo_u32 v6, s7, v0
	v_mul_lo_u32 v5, s2, v1
	s_delay_alu instid0(VALU_DEP_1) | instskip(SKIP_1) | instid1(VALU_DEP_2)
	v_add_nc_u32_e32 v4, v4, v5
	v_mul_lo_u32 v5, s2, v0
	v_add_nc_u32_e32 v4, v4, v6
	s_delay_alu instid0(VALU_DEP_2) | instskip(NEXT) | instid1(VALU_DEP_2)
	v_mul_hi_u32 v6, v0, v5
	v_mul_lo_u32 v7, v0, v4
	v_mul_hi_u32 v8, v0, v4
	v_mul_hi_u32 v10, v1, v5
	v_mul_lo_u32 v5, v1, v5
	v_mul_hi_u32 v11, v1, v4
	v_mul_lo_u32 v4, v1, v4
	v_add_co_u32 v6, vcc_lo, v6, v7
	v_add_co_ci_u32_e32 v7, vcc_lo, 0, v8, vcc_lo
	s_delay_alu instid0(VALU_DEP_2) | instskip(NEXT) | instid1(VALU_DEP_2)
	v_add_co_u32 v5, vcc_lo, v6, v5
	v_add_co_ci_u32_e32 v5, vcc_lo, v7, v10, vcc_lo
	v_add_co_ci_u32_e32 v6, vcc_lo, 0, v11, vcc_lo
	v_add_co_u32 v7, vcc_lo, v2, v9
	v_add_co_ci_u32_e32 v3, vcc_lo, v3, v9, vcc_lo
	s_delay_alu instid0(VALU_DEP_4) | instskip(NEXT) | instid1(VALU_DEP_4)
	v_add_co_u32 v4, vcc_lo, v5, v4
	v_add_co_ci_u32_e32 v5, vcc_lo, 0, v6, vcc_lo
	s_delay_alu instid0(VALU_DEP_4) | instskip(NEXT) | instid1(VALU_DEP_3)
	v_xor_b32_e32 v7, v7, v9
	v_add_co_u32 v6, vcc_lo, v0, v4
	s_delay_alu instid0(VALU_DEP_3) | instskip(SKIP_1) | instid1(VALU_DEP_3)
	v_add_co_ci_u32_e32 v8, vcc_lo, v1, v5, vcc_lo
	v_xor_b32_e32 v10, v3, v9
	v_mul_hi_u32 v11, v7, v6
	s_delay_alu instid0(VALU_DEP_3) | instskip(NEXT) | instid1(VALU_DEP_3)
	v_mad_u64_u32 v[0:1], null, v7, v8, 0
	v_mad_u64_u32 v[3:4], null, v10, v6, 0
	;; [unrolled: 1-line block ×3, first 2 shown]
	s_delay_alu instid0(VALU_DEP_3) | instskip(NEXT) | instid1(VALU_DEP_4)
	v_add_co_u32 v0, vcc_lo, v11, v0
	v_add_co_ci_u32_e32 v1, vcc_lo, 0, v1, vcc_lo
	s_delay_alu instid0(VALU_DEP_2) | instskip(NEXT) | instid1(VALU_DEP_2)
	v_add_co_u32 v0, vcc_lo, v0, v3
	v_add_co_ci_u32_e32 v0, vcc_lo, v1, v4, vcc_lo
	v_add_co_ci_u32_e32 v1, vcc_lo, 0, v6, vcc_lo
	s_delay_alu instid0(VALU_DEP_2) | instskip(NEXT) | instid1(VALU_DEP_2)
	v_add_co_u32 v3, vcc_lo, v0, v5
	v_add_co_ci_u32_e32 v4, vcc_lo, 0, v1, vcc_lo
	s_delay_alu instid0(VALU_DEP_2) | instskip(SKIP_1) | instid1(VALU_DEP_3)
	v_mul_lo_u32 v5, s11, v3
	v_mad_u64_u32 v[0:1], null, s10, v3, 0
	v_mul_lo_u32 v6, s10, v4
	s_delay_alu instid0(VALU_DEP_2) | instskip(NEXT) | instid1(VALU_DEP_2)
	v_sub_co_u32 v0, vcc_lo, v7, v0
	v_add3_u32 v1, v1, v6, v5
	s_delay_alu instid0(VALU_DEP_1) | instskip(NEXT) | instid1(VALU_DEP_1)
	v_sub_nc_u32_e32 v5, v10, v1
	v_subrev_co_ci_u32_e64 v5, s2, s11, v5, vcc_lo
	v_add_co_u32 v6, s2, v3, 2
	s_delay_alu instid0(VALU_DEP_1) | instskip(SKIP_3) | instid1(VALU_DEP_3)
	v_add_co_ci_u32_e64 v7, s2, 0, v4, s2
	v_sub_co_u32 v8, s2, v0, s10
	v_sub_co_ci_u32_e32 v1, vcc_lo, v10, v1, vcc_lo
	v_subrev_co_ci_u32_e64 v5, s2, 0, v5, s2
	v_cmp_le_u32_e32 vcc_lo, s10, v8
	s_delay_alu instid0(VALU_DEP_3) | instskip(SKIP_1) | instid1(VALU_DEP_4)
	v_cmp_eq_u32_e64 s2, s11, v1
	v_cndmask_b32_e64 v8, 0, -1, vcc_lo
	v_cmp_le_u32_e32 vcc_lo, s11, v5
	v_cndmask_b32_e64 v10, 0, -1, vcc_lo
	v_cmp_le_u32_e32 vcc_lo, s10, v0
	;; [unrolled: 2-line block ×3, first 2 shown]
	v_cndmask_b32_e64 v11, 0, -1, vcc_lo
	v_cmp_eq_u32_e32 vcc_lo, s11, v5
	s_delay_alu instid0(VALU_DEP_2) | instskip(SKIP_3) | instid1(VALU_DEP_3)
	v_cndmask_b32_e64 v0, v11, v0, s2
	v_cndmask_b32_e32 v5, v10, v8, vcc_lo
	v_add_co_u32 v8, vcc_lo, v3, 1
	v_add_co_ci_u32_e32 v10, vcc_lo, 0, v4, vcc_lo
	v_cmp_ne_u32_e32 vcc_lo, 0, v5
	s_delay_alu instid0(VALU_DEP_2) | instskip(NEXT) | instid1(VALU_DEP_4)
	v_cndmask_b32_e32 v1, v10, v7, vcc_lo
	v_cndmask_b32_e32 v5, v8, v6, vcc_lo
	v_cmp_ne_u32_e32 vcc_lo, 0, v0
	v_xor_b32_e32 v0, s8, v9
	s_delay_alu instid0(VALU_DEP_3) | instskip(SKIP_2) | instid1(VALU_DEP_3)
	v_cndmask_b32_e32 v3, v3, v5, vcc_lo
	v_cndmask_b32_e32 v1, v4, v1, vcc_lo
	v_xor_b32_e32 v4, s9, v9
	v_xor_b32_e32 v3, v3, v0
	s_delay_alu instid0(VALU_DEP_2) | instskip(NEXT) | instid1(VALU_DEP_2)
	v_xor_b32_e32 v1, v1, v4
	v_sub_co_u32 v0, vcc_lo, v3, v0
	s_delay_alu instid0(VALU_DEP_2)
	v_sub_co_ci_u32_e32 v1, vcc_lo, v1, v4, vcc_lo
.LBB2_2:
	s_and_not1_saveexec_b32 s2, s3
	s_cbranch_execz .LBB2_4
; %bb.3:
	v_cvt_f32_u32_e32 v0, s6
	s_sub_i32 s3, 0, s6
	s_delay_alu instid0(VALU_DEP_1) | instskip(SKIP_2) | instid1(VALU_DEP_1)
	v_rcp_iflag_f32_e32 v0, v0
	s_waitcnt_depctr 0xfff
	v_mul_f32_e32 v0, 0x4f7ffffe, v0
	v_cvt_u32_f32_e32 v0, v0
	s_delay_alu instid0(VALU_DEP_1) | instskip(NEXT) | instid1(VALU_DEP_1)
	v_mul_lo_u32 v1, s3, v0
	v_mul_hi_u32 v1, v0, v1
	s_delay_alu instid0(VALU_DEP_1) | instskip(NEXT) | instid1(VALU_DEP_1)
	v_add_nc_u32_e32 v0, v0, v1
	v_mul_hi_u32 v0, v2, v0
	s_delay_alu instid0(VALU_DEP_1) | instskip(SKIP_1) | instid1(VALU_DEP_2)
	v_mul_lo_u32 v1, v0, s6
	v_add_nc_u32_e32 v3, 1, v0
	v_sub_nc_u32_e32 v1, v2, v1
	s_delay_alu instid0(VALU_DEP_1) | instskip(SKIP_1) | instid1(VALU_DEP_2)
	v_subrev_nc_u32_e32 v4, s6, v1
	v_cmp_le_u32_e32 vcc_lo, s6, v1
	v_dual_cndmask_b32 v1, v1, v4 :: v_dual_cndmask_b32 v0, v0, v3
	s_delay_alu instid0(VALU_DEP_1) | instskip(NEXT) | instid1(VALU_DEP_2)
	v_cmp_le_u32_e32 vcc_lo, s6, v1
	v_add_nc_u32_e32 v3, 1, v0
	s_delay_alu instid0(VALU_DEP_1)
	v_dual_mov_b32 v1, 0 :: v_dual_cndmask_b32 v0, v0, v3
.LBB2_4:
	s_or_b32 exec_lo, exec_lo, s2
	s_load_b64 s[2:3], s[0:1], 0x18
	s_delay_alu instid0(VALU_DEP_1) | instskip(NEXT) | instid1(VALU_DEP_1)
	v_mad_u64_u32 v[3:4], null, v0, s6, 0
	v_sub_co_u32 v2, null, v2, v3
	s_waitcnt lgkmcnt(0)
	v_cmp_gt_i64_e32 vcc_lo, s[2:3], v[0:1]
	s_delay_alu instid0(VALU_DEP_2) | instskip(NEXT) | instid1(VALU_DEP_1)
	v_cmp_gt_i32_e64 s2, s5, v2
	s_and_b32 s2, vcc_lo, s2
	s_delay_alu instid0(SALU_CYCLE_1)
	s_and_saveexec_b32 s3, s2
	s_cbranch_execz .LBB2_390
; %bb.5:
	s_ashr_i32 s5, s4, 31
	s_load_b64 s[2:3], s[0:1], 0x0
	v_mul_lo_u32 v5, v1, s4
	v_mad_u64_u32 v[3:4], null, v0, s4, 0
	v_mul_lo_u32 v6, v0, s5
	s_delay_alu instid0(VALU_DEP_1) | instskip(SKIP_1) | instid1(VALU_DEP_2)
	v_add3_u32 v4, v4, v6, v5
	v_dual_mov_b32 v6, 0 :: v_dual_lshlrev_b32 v5, 5, v2
	v_lshlrev_b64 v[3:4], 1, v[3:4]
	s_delay_alu instid0(VALU_DEP_2) | instskip(SKIP_1) | instid1(VALU_DEP_2)
	v_lshlrev_b64 v[5:6], 1, v[5:6]
	s_waitcnt lgkmcnt(0)
	v_add_co_u32 v3, vcc_lo, s2, v3
	s_delay_alu instid0(VALU_DEP_3) | instskip(SKIP_1) | instid1(VALU_DEP_2)
	v_add_co_ci_u32_e32 v4, vcc_lo, s3, v4, vcc_lo
	s_mov_b32 s2, exec_lo
	v_add_co_u32 v7, vcc_lo, v3, v5
	s_delay_alu instid0(VALU_DEP_2)
	v_add_co_ci_u32_e32 v8, vcc_lo, v4, v6, vcc_lo
	s_clause 0x3
	global_load_b128 v[3:6], v[7:8], off
	global_load_b128 v[10:13], v[7:8], off offset:16
	global_load_b128 v[52:55], v[7:8], off offset:32
	;; [unrolled: 1-line block ×3, first 2 shown]
	s_waitcnt vmcnt(3)
	v_lshrrev_b32_e32 v7, 16, v3
	v_cvt_f32_f16_e32 v17, v3
	v_lshrrev_b32_e32 v3, 16, v4
	v_cvt_f32_f16_e32 v9, v4
	;; [unrolled: 2-line block ×3, first 2 shown]
	v_cvt_f32_f16_e32 v16, v5
	v_cvt_f32_f16_e32 v14, v3
	v_lshrrev_b32_e32 v5, 16, v6
	v_cvt_f32_f16_e32 v20, v4
	v_max3_f32 v3, |v17|, 0, |v7|
	v_cvt_f32_f16_e32 v22, v6
	s_waitcnt vmcnt(2)
	v_lshrrev_b32_e32 v4, 16, v10
	v_cvt_f32_f16_e32 v26, v5
	v_cvt_f32_f16_e32 v28, v10
	v_max3_f32 v3, v3, |v9|, |v14|
	v_lshrrev_b32_e32 v5, 16, v11
	v_cvt_f32_f16_e32 v32, v4
	v_cvt_f32_f16_e32 v33, v11
	v_lshrrev_b32_e32 v4, 16, v12
	v_max3_f32 v3, v3, |v16|, |v20|
	v_cvt_f32_f16_e32 v36, v5
	v_cvt_f32_f16_e32 v40, v12
	v_lshrrev_b32_e32 v5, 16, v13
	v_cvt_f32_f16_e32 v42, v4
	v_max3_f32 v3, v3, |v22|, |v26|
	v_cvt_f32_f16_e32 v46, v13
	s_waitcnt vmcnt(1)
	v_lshrrev_b32_e32 v4, 16, v52
	v_cvt_f32_f16_e32 v47, v5
	v_cvt_f32_f16_e32 v51, v52
	v_max3_f32 v3, v3, |v28|, |v32|
	v_lshrrev_b32_e32 v5, 16, v53
	v_cvt_f32_f16_e32 v52, v4
	v_cvt_f32_f16_e32 v48, v53
	v_lshrrev_b32_e32 v4, 16, v54
	v_max3_f32 v3, v3, |v33|, |v36|
	v_cvt_f32_f16_e32 v45, v5
	v_cvt_f32_f16_e32 v41, v54
	v_lshrrev_b32_e32 v5, 16, v55
	v_cvt_f32_f16_e32 v39, v4
	v_max3_f32 v3, v3, |v40|, |v42|
	;; [unrolled: 16-line block ×3, first 2 shown]
	v_cvt_f32_f16_e32 v13, v59
	s_delay_alu instid0(VALU_DEP_4) | instskip(NEXT) | instid1(VALU_DEP_3)
	v_cvt_f32_f16_e32 v8, v5
	v_max3_f32 v3, v3, |v41|, |v39|
	s_delay_alu instid0(VALU_DEP_1) | instskip(NEXT) | instid1(VALU_DEP_1)
	v_max3_f32 v3, v3, |v38|, |v34|
	v_max3_f32 v3, v3, |v31|, |v27|
	s_delay_alu instid0(VALU_DEP_1) | instskip(NEXT) | instid1(VALU_DEP_1)
	v_max3_f32 v3, v3, |v25|, |v21|
	;; [unrolled: 3-line block ×3, first 2 shown]
	v_mul_f32_e32 v3, 0x3e800000, v3
	s_delay_alu instid0(VALU_DEP_1) | instskip(NEXT) | instid1(VALU_DEP_1)
	v_and_b32_e32 v4, 0x7f800000, v3
	v_div_scale_f32 v5, null, v4, v4, 1.0
	v_div_scale_f32 v11, vcc_lo, 1.0, v4, 1.0
	s_delay_alu instid0(VALU_DEP_2) | instskip(SKIP_2) | instid1(VALU_DEP_1)
	v_rcp_f32_e32 v6, v5
	s_waitcnt_depctr 0xfff
	v_fma_f32 v10, -v5, v6, 1.0
	v_fmac_f32_e32 v6, v10, v6
	s_delay_alu instid0(VALU_DEP_1) | instskip(NEXT) | instid1(VALU_DEP_1)
	v_mul_f32_e32 v10, v11, v6
	v_fma_f32 v12, -v5, v10, v11
	s_delay_alu instid0(VALU_DEP_1) | instskip(NEXT) | instid1(VALU_DEP_1)
	v_fmac_f32_e32 v10, v12, v6
	v_fma_f32 v5, -v5, v10, v11
	s_delay_alu instid0(VALU_DEP_1) | instskip(SKIP_2) | instid1(VALU_DEP_3)
	v_div_fmas_f32 v5, v5, v6, v10
	v_cmp_neq_f32_e32 vcc_lo, 0, v4
	v_mov_b32_e32 v6, 7
	v_div_fixup_f32 v5, v5, v4, 1.0
	s_delay_alu instid0(VALU_DEP_1) | instskip(NEXT) | instid1(VALU_DEP_1)
	v_dual_cndmask_b32 v12, 0, v5 :: v_dual_mov_b32 v5, 7
	v_mul_f32_e32 v4, v12, v17
	s_delay_alu instid0(VALU_DEP_1)
	v_cmpx_nle_f32_e64 0x40a00000, |v4|
	s_cbranch_execz .LBB2_17
; %bb.6:
	v_mov_b32_e32 v5, 6
	s_mov_b32 s3, exec_lo
	v_cmpx_nle_f32_e64 0x40600000, |v4|
	s_cbranch_execz .LBB2_16
; %bb.7:
	v_mov_b32_e32 v5, 5
	s_mov_b32 s5, exec_lo
	;; [unrolled: 5-line block ×5, first 2 shown]
	v_cmpx_nle_f32_e64 0x3f400000, |v4|
; %bb.11:
	v_cmp_le_f32_e64 s10, 0x3e800000, |v4|
	s_delay_alu instid0(VALU_DEP_1)
	v_cndmask_b32_e64 v5, 0, 1, s10
; %bb.12:
	s_or_b32 exec_lo, exec_lo, s9
.LBB2_13:
	s_delay_alu instid0(SALU_CYCLE_1)
	s_or_b32 exec_lo, exec_lo, s8
.LBB2_14:
	s_delay_alu instid0(SALU_CYCLE_1)
	s_or_b32 exec_lo, exec_lo, s7
.LBB2_15:
	s_delay_alu instid0(SALU_CYCLE_1)
	s_or_b32 exec_lo, exec_lo, s5
.LBB2_16:
	s_delay_alu instid0(SALU_CYCLE_1)
	s_or_b32 exec_lo, exec_lo, s3
.LBB2_17:
	s_delay_alu instid0(SALU_CYCLE_1) | instskip(SKIP_2) | instid1(VALU_DEP_1)
	s_or_b32 exec_lo, exec_lo, s2
	v_mul_f32_e32 v7, v12, v7
	s_mov_b32 s2, exec_lo
	v_cmpx_nle_f32_e64 0x40a00000, |v7|
	s_cbranch_execz .LBB2_29
; %bb.18:
	v_mov_b32_e32 v6, 6
	s_mov_b32 s3, exec_lo
	v_cmpx_nle_f32_e64 0x40600000, |v7|
	s_cbranch_execz .LBB2_28
; %bb.19:
	v_mov_b32_e32 v6, 5
	;; [unrolled: 5-line block ×5, first 2 shown]
	s_mov_b32 s9, exec_lo
	v_cmpx_nle_f32_e64 0x3f400000, |v7|
; %bb.23:
	v_cmp_le_f32_e64 s10, 0x3e800000, |v7|
	s_delay_alu instid0(VALU_DEP_1)
	v_cndmask_b32_e64 v6, 0, 1, s10
; %bb.24:
	s_or_b32 exec_lo, exec_lo, s9
.LBB2_25:
	s_delay_alu instid0(SALU_CYCLE_1)
	s_or_b32 exec_lo, exec_lo, s8
.LBB2_26:
	s_delay_alu instid0(SALU_CYCLE_1)
	s_or_b32 exec_lo, exec_lo, s7
.LBB2_27:
	s_delay_alu instid0(SALU_CYCLE_1)
	s_or_b32 exec_lo, exec_lo, s5
.LBB2_28:
	s_delay_alu instid0(SALU_CYCLE_1)
	s_or_b32 exec_lo, exec_lo, s3
.LBB2_29:
	s_delay_alu instid0(SALU_CYCLE_1) | instskip(SKIP_3) | instid1(VALU_DEP_2)
	s_or_b32 exec_lo, exec_lo, s2
	v_dual_mul_f32 v10, v12, v9 :: v_dual_mov_b32 v9, 7
	v_mov_b32_e32 v11, 7
	s_mov_b32 s2, exec_lo
	v_cmpx_nle_f32_e64 0x40a00000, |v10|
	s_cbranch_execz .LBB2_41
; %bb.30:
	v_mov_b32_e32 v11, 6
	s_mov_b32 s3, exec_lo
	v_cmpx_nle_f32_e64 0x40600000, |v10|
	s_cbranch_execz .LBB2_40
; %bb.31:
	;; [unrolled: 5-line block ×5, first 2 shown]
	v_mov_b32_e32 v11, 2
	s_mov_b32 s9, exec_lo
	v_cmpx_nle_f32_e64 0x3f400000, |v10|
; %bb.35:
	v_cmp_le_f32_e64 s10, 0x3e800000, |v10|
	s_delay_alu instid0(VALU_DEP_1)
	v_cndmask_b32_e64 v11, 0, 1, s10
; %bb.36:
	s_or_b32 exec_lo, exec_lo, s9
.LBB2_37:
	s_delay_alu instid0(SALU_CYCLE_1)
	s_or_b32 exec_lo, exec_lo, s8
.LBB2_38:
	s_delay_alu instid0(SALU_CYCLE_1)
	s_or_b32 exec_lo, exec_lo, s7
.LBB2_39:
	s_delay_alu instid0(SALU_CYCLE_1)
	s_or_b32 exec_lo, exec_lo, s5
.LBB2_40:
	s_delay_alu instid0(SALU_CYCLE_1)
	s_or_b32 exec_lo, exec_lo, s3
.LBB2_41:
	s_delay_alu instid0(SALU_CYCLE_1) | instskip(SKIP_2) | instid1(VALU_DEP_1)
	s_or_b32 exec_lo, exec_lo, s2
	v_mul_f32_e32 v14, v12, v14
	s_mov_b32 s2, exec_lo
	v_cmpx_nle_f32_e64 0x40a00000, |v14|
	s_cbranch_execz .LBB2_53
; %bb.42:
	v_mov_b32_e32 v9, 6
	s_mov_b32 s3, exec_lo
	v_cmpx_nle_f32_e64 0x40600000, |v14|
	s_cbranch_execz .LBB2_52
; %bb.43:
	v_mov_b32_e32 v9, 5
	;; [unrolled: 5-line block ×5, first 2 shown]
	s_mov_b32 s9, exec_lo
	v_cmpx_nle_f32_e64 0x3f400000, |v14|
; %bb.47:
	v_cmp_le_f32_e64 s10, 0x3e800000, |v14|
	s_delay_alu instid0(VALU_DEP_1)
	v_cndmask_b32_e64 v9, 0, 1, s10
; %bb.48:
	s_or_b32 exec_lo, exec_lo, s9
.LBB2_49:
	s_delay_alu instid0(SALU_CYCLE_1)
	s_or_b32 exec_lo, exec_lo, s8
.LBB2_50:
	s_delay_alu instid0(SALU_CYCLE_1)
	s_or_b32 exec_lo, exec_lo, s7
.LBB2_51:
	s_delay_alu instid0(SALU_CYCLE_1)
	s_or_b32 exec_lo, exec_lo, s5
.LBB2_52:
	s_delay_alu instid0(SALU_CYCLE_1)
	s_or_b32 exec_lo, exec_lo, s3
.LBB2_53:
	s_delay_alu instid0(SALU_CYCLE_1) | instskip(SKIP_3) | instid1(VALU_DEP_2)
	s_or_b32 exec_lo, exec_lo, s2
	v_dual_mul_f32 v18, v12, v16 :: v_dual_mov_b32 v17, 7
	v_mov_b32_e32 v16, 7
	s_mov_b32 s2, exec_lo
	v_cmpx_nle_f32_e64 0x40a00000, |v18|
	s_cbranch_execz .LBB2_65
; %bb.54:
	v_mov_b32_e32 v17, 6
	s_mov_b32 s3, exec_lo
	v_cmpx_nle_f32_e64 0x40600000, |v18|
	s_cbranch_execz .LBB2_64
; %bb.55:
	;; [unrolled: 5-line block ×5, first 2 shown]
	v_mov_b32_e32 v17, 2
	s_mov_b32 s9, exec_lo
	v_cmpx_nle_f32_e64 0x3f400000, |v18|
; %bb.59:
	v_cmp_le_f32_e64 s10, 0x3e800000, |v18|
	s_delay_alu instid0(VALU_DEP_1)
	v_cndmask_b32_e64 v17, 0, 1, s10
; %bb.60:
	s_or_b32 exec_lo, exec_lo, s9
.LBB2_61:
	s_delay_alu instid0(SALU_CYCLE_1)
	s_or_b32 exec_lo, exec_lo, s8
.LBB2_62:
	s_delay_alu instid0(SALU_CYCLE_1)
	s_or_b32 exec_lo, exec_lo, s7
.LBB2_63:
	s_delay_alu instid0(SALU_CYCLE_1)
	s_or_b32 exec_lo, exec_lo, s5
.LBB2_64:
	s_delay_alu instid0(SALU_CYCLE_1)
	s_or_b32 exec_lo, exec_lo, s3
.LBB2_65:
	s_delay_alu instid0(SALU_CYCLE_1) | instskip(SKIP_2) | instid1(VALU_DEP_1)
	s_or_b32 exec_lo, exec_lo, s2
	v_mul_f32_e32 v20, v12, v20
	s_mov_b32 s2, exec_lo
	v_cmpx_nle_f32_e64 0x40a00000, |v20|
	s_cbranch_execz .LBB2_77
; %bb.66:
	v_mov_b32_e32 v16, 6
	s_mov_b32 s3, exec_lo
	v_cmpx_nle_f32_e64 0x40600000, |v20|
	s_cbranch_execz .LBB2_76
; %bb.67:
	v_mov_b32_e32 v16, 5
	;; [unrolled: 5-line block ×5, first 2 shown]
	s_mov_b32 s9, exec_lo
	v_cmpx_nle_f32_e64 0x3f400000, |v20|
; %bb.71:
	v_cmp_le_f32_e64 s10, 0x3e800000, |v20|
	s_delay_alu instid0(VALU_DEP_1)
	v_cndmask_b32_e64 v16, 0, 1, s10
; %bb.72:
	s_or_b32 exec_lo, exec_lo, s9
.LBB2_73:
	s_delay_alu instid0(SALU_CYCLE_1)
	s_or_b32 exec_lo, exec_lo, s8
.LBB2_74:
	s_delay_alu instid0(SALU_CYCLE_1)
	s_or_b32 exec_lo, exec_lo, s7
.LBB2_75:
	s_delay_alu instid0(SALU_CYCLE_1)
	s_or_b32 exec_lo, exec_lo, s5
.LBB2_76:
	s_delay_alu instid0(SALU_CYCLE_1)
	s_or_b32 exec_lo, exec_lo, s3
.LBB2_77:
	s_delay_alu instid0(SALU_CYCLE_1) | instskip(SKIP_3) | instid1(VALU_DEP_2)
	s_or_b32 exec_lo, exec_lo, s2
	v_dual_mul_f32 v24, v12, v22 :: v_dual_mov_b32 v23, 7
	v_mov_b32_e32 v22, 7
	s_mov_b32 s2, exec_lo
	v_cmpx_nle_f32_e64 0x40a00000, |v24|
	s_cbranch_execz .LBB2_89
; %bb.78:
	v_mov_b32_e32 v23, 6
	s_mov_b32 s3, exec_lo
	v_cmpx_nle_f32_e64 0x40600000, |v24|
	s_cbranch_execz .LBB2_88
; %bb.79:
	v_mov_b32_e32 v23, 5
	s_mov_b32 s5, exec_lo
	v_cmpx_nle_f32_e64 0x40200000, |v24|
	s_cbranch_execz .LBB2_87
; %bb.80:
	v_mov_b32_e32 v23, 4
	s_mov_b32 s7, exec_lo
	v_cmpx_nle_f32_e64 0x3fe00000, |v24|
	s_cbranch_execz .LBB2_86
; %bb.81:
	v_mov_b32_e32 v23, 3
	s_mov_b32 s8, exec_lo
	v_cmpx_nle_f32_e64 0x3fa00000, |v24|
	s_cbranch_execz .LBB2_85
; %bb.82:
	v_mov_b32_e32 v23, 2
	s_mov_b32 s9, exec_lo
	v_cmpx_nle_f32_e64 0x3f400000, |v24|
; %bb.83:
	v_cmp_le_f32_e64 s10, 0x3e800000, |v24|
	s_delay_alu instid0(VALU_DEP_1)
	v_cndmask_b32_e64 v23, 0, 1, s10
; %bb.84:
	s_or_b32 exec_lo, exec_lo, s9
.LBB2_85:
	s_delay_alu instid0(SALU_CYCLE_1)
	s_or_b32 exec_lo, exec_lo, s8
.LBB2_86:
	s_delay_alu instid0(SALU_CYCLE_1)
	s_or_b32 exec_lo, exec_lo, s7
.LBB2_87:
	s_delay_alu instid0(SALU_CYCLE_1)
	s_or_b32 exec_lo, exec_lo, s5
.LBB2_88:
	s_delay_alu instid0(SALU_CYCLE_1)
	s_or_b32 exec_lo, exec_lo, s3
.LBB2_89:
	s_delay_alu instid0(SALU_CYCLE_1) | instskip(SKIP_2) | instid1(VALU_DEP_1)
	s_or_b32 exec_lo, exec_lo, s2
	v_mul_f32_e32 v26, v12, v26
	s_mov_b32 s2, exec_lo
	v_cmpx_nle_f32_e64 0x40a00000, |v26|
	s_cbranch_execz .LBB2_101
; %bb.90:
	v_mov_b32_e32 v22, 6
	s_mov_b32 s3, exec_lo
	v_cmpx_nle_f32_e64 0x40600000, |v26|
	s_cbranch_execz .LBB2_100
; %bb.91:
	v_mov_b32_e32 v22, 5
	;; [unrolled: 5-line block ×5, first 2 shown]
	s_mov_b32 s9, exec_lo
	v_cmpx_nle_f32_e64 0x3f400000, |v26|
; %bb.95:
	v_cmp_le_f32_e64 s10, 0x3e800000, |v26|
	s_delay_alu instid0(VALU_DEP_1)
	v_cndmask_b32_e64 v22, 0, 1, s10
; %bb.96:
	s_or_b32 exec_lo, exec_lo, s9
.LBB2_97:
	s_delay_alu instid0(SALU_CYCLE_1)
	s_or_b32 exec_lo, exec_lo, s8
.LBB2_98:
	s_delay_alu instid0(SALU_CYCLE_1)
	s_or_b32 exec_lo, exec_lo, s7
.LBB2_99:
	s_delay_alu instid0(SALU_CYCLE_1)
	s_or_b32 exec_lo, exec_lo, s5
.LBB2_100:
	s_delay_alu instid0(SALU_CYCLE_1)
	s_or_b32 exec_lo, exec_lo, s3
.LBB2_101:
	s_delay_alu instid0(SALU_CYCLE_1) | instskip(SKIP_3) | instid1(VALU_DEP_2)
	s_or_b32 exec_lo, exec_lo, s2
	v_dual_mul_f32 v29, v12, v28 :: v_dual_mov_b32 v28, 7
	v_mov_b32_e32 v30, 7
	s_mov_b32 s2, exec_lo
	v_cmpx_nle_f32_e64 0x40a00000, |v29|
	s_cbranch_execz .LBB2_113
; %bb.102:
	v_mov_b32_e32 v30, 6
	s_mov_b32 s3, exec_lo
	v_cmpx_nle_f32_e64 0x40600000, |v29|
	s_cbranch_execz .LBB2_112
; %bb.103:
	;; [unrolled: 5-line block ×5, first 2 shown]
	v_mov_b32_e32 v30, 2
	s_mov_b32 s9, exec_lo
	v_cmpx_nle_f32_e64 0x3f400000, |v29|
; %bb.107:
	v_cmp_le_f32_e64 s10, 0x3e800000, |v29|
	s_delay_alu instid0(VALU_DEP_1)
	v_cndmask_b32_e64 v30, 0, 1, s10
; %bb.108:
	s_or_b32 exec_lo, exec_lo, s9
.LBB2_109:
	s_delay_alu instid0(SALU_CYCLE_1)
	s_or_b32 exec_lo, exec_lo, s8
.LBB2_110:
	s_delay_alu instid0(SALU_CYCLE_1)
	s_or_b32 exec_lo, exec_lo, s7
.LBB2_111:
	s_delay_alu instid0(SALU_CYCLE_1)
	s_or_b32 exec_lo, exec_lo, s5
.LBB2_112:
	s_delay_alu instid0(SALU_CYCLE_1)
	s_or_b32 exec_lo, exec_lo, s3
.LBB2_113:
	s_delay_alu instid0(SALU_CYCLE_1) | instskip(SKIP_2) | instid1(VALU_DEP_1)
	s_or_b32 exec_lo, exec_lo, s2
	v_mul_f32_e32 v32, v12, v32
	s_mov_b32 s2, exec_lo
	v_cmpx_nle_f32_e64 0x40a00000, |v32|
	s_cbranch_execz .LBB2_125
; %bb.114:
	v_mov_b32_e32 v28, 6
	s_mov_b32 s3, exec_lo
	v_cmpx_nle_f32_e64 0x40600000, |v32|
	s_cbranch_execz .LBB2_124
; %bb.115:
	v_mov_b32_e32 v28, 5
	s_mov_b32 s5, exec_lo
	v_cmpx_nle_f32_e64 0x40200000, |v32|
	s_cbranch_execz .LBB2_123
; %bb.116:
	v_mov_b32_e32 v28, 4
	s_mov_b32 s7, exec_lo
	v_cmpx_nle_f32_e64 0x3fe00000, |v32|
	s_cbranch_execz .LBB2_122
; %bb.117:
	v_mov_b32_e32 v28, 3
	s_mov_b32 s8, exec_lo
	v_cmpx_nle_f32_e64 0x3fa00000, |v32|
	s_cbranch_execz .LBB2_121
; %bb.118:
	v_mov_b32_e32 v28, 2
	s_mov_b32 s9, exec_lo
	v_cmpx_nle_f32_e64 0x3f400000, |v32|
; %bb.119:
	v_cmp_le_f32_e64 s10, 0x3e800000, |v32|
	s_delay_alu instid0(VALU_DEP_1)
	v_cndmask_b32_e64 v28, 0, 1, s10
; %bb.120:
	s_or_b32 exec_lo, exec_lo, s9
.LBB2_121:
	s_delay_alu instid0(SALU_CYCLE_1)
	s_or_b32 exec_lo, exec_lo, s8
.LBB2_122:
	s_delay_alu instid0(SALU_CYCLE_1)
	s_or_b32 exec_lo, exec_lo, s7
.LBB2_123:
	s_delay_alu instid0(SALU_CYCLE_1)
	s_or_b32 exec_lo, exec_lo, s5
.LBB2_124:
	s_delay_alu instid0(SALU_CYCLE_1)
	s_or_b32 exec_lo, exec_lo, s3
.LBB2_125:
	s_delay_alu instid0(SALU_CYCLE_1) | instskip(SKIP_4) | instid1(VALU_DEP_3)
	s_or_b32 exec_lo, exec_lo, s2
	v_mul_f32_e32 v35, v12, v33
	v_mov_b32_e32 v33, 7
	v_mov_b32_e32 v37, 7
	s_mov_b32 s2, exec_lo
	v_cmpx_nle_f32_e64 0x40a00000, |v35|
	s_cbranch_execz .LBB2_137
; %bb.126:
	v_mov_b32_e32 v37, 6
	s_mov_b32 s3, exec_lo
	v_cmpx_nle_f32_e64 0x40600000, |v35|
	s_cbranch_execz .LBB2_136
; %bb.127:
	;; [unrolled: 5-line block ×5, first 2 shown]
	v_mov_b32_e32 v37, 2
	s_mov_b32 s9, exec_lo
	v_cmpx_nle_f32_e64 0x3f400000, |v35|
; %bb.131:
	v_cmp_le_f32_e64 s10, 0x3e800000, |v35|
	s_delay_alu instid0(VALU_DEP_1)
	v_cndmask_b32_e64 v37, 0, 1, s10
; %bb.132:
	s_or_b32 exec_lo, exec_lo, s9
.LBB2_133:
	s_delay_alu instid0(SALU_CYCLE_1)
	s_or_b32 exec_lo, exec_lo, s8
.LBB2_134:
	s_delay_alu instid0(SALU_CYCLE_1)
	s_or_b32 exec_lo, exec_lo, s7
.LBB2_135:
	s_delay_alu instid0(SALU_CYCLE_1)
	s_or_b32 exec_lo, exec_lo, s5
.LBB2_136:
	s_delay_alu instid0(SALU_CYCLE_1)
	s_or_b32 exec_lo, exec_lo, s3
.LBB2_137:
	s_delay_alu instid0(SALU_CYCLE_1) | instskip(SKIP_2) | instid1(VALU_DEP_1)
	s_or_b32 exec_lo, exec_lo, s2
	v_mul_f32_e32 v36, v12, v36
	s_mov_b32 s2, exec_lo
	v_cmpx_nle_f32_e64 0x40a00000, |v36|
	s_cbranch_execz .LBB2_149
; %bb.138:
	v_mov_b32_e32 v33, 6
	s_mov_b32 s3, exec_lo
	v_cmpx_nle_f32_e64 0x40600000, |v36|
	s_cbranch_execz .LBB2_148
; %bb.139:
	v_mov_b32_e32 v33, 5
	;; [unrolled: 5-line block ×5, first 2 shown]
	s_mov_b32 s9, exec_lo
	v_cmpx_nle_f32_e64 0x3f400000, |v36|
; %bb.143:
	v_cmp_le_f32_e64 s10, 0x3e800000, |v36|
	s_delay_alu instid0(VALU_DEP_1)
	v_cndmask_b32_e64 v33, 0, 1, s10
; %bb.144:
	s_or_b32 exec_lo, exec_lo, s9
.LBB2_145:
	s_delay_alu instid0(SALU_CYCLE_1)
	s_or_b32 exec_lo, exec_lo, s8
.LBB2_146:
	s_delay_alu instid0(SALU_CYCLE_1)
	s_or_b32 exec_lo, exec_lo, s7
.LBB2_147:
	s_delay_alu instid0(SALU_CYCLE_1)
	s_or_b32 exec_lo, exec_lo, s5
.LBB2_148:
	s_delay_alu instid0(SALU_CYCLE_1)
	s_or_b32 exec_lo, exec_lo, s3
.LBB2_149:
	s_delay_alu instid0(SALU_CYCLE_1) | instskip(SKIP_3) | instid1(VALU_DEP_2)
	s_or_b32 exec_lo, exec_lo, s2
	v_dual_mul_f32 v44, v12, v40 :: v_dual_mov_b32 v43, 7
	v_mov_b32_e32 v40, 7
	s_mov_b32 s2, exec_lo
	v_cmpx_nle_f32_e64 0x40a00000, |v44|
	s_cbranch_execz .LBB2_161
; %bb.150:
	v_mov_b32_e32 v43, 6
	s_mov_b32 s3, exec_lo
	v_cmpx_nle_f32_e64 0x40600000, |v44|
	s_cbranch_execz .LBB2_160
; %bb.151:
	;; [unrolled: 5-line block ×5, first 2 shown]
	v_mov_b32_e32 v43, 2
	s_mov_b32 s9, exec_lo
	v_cmpx_nle_f32_e64 0x3f400000, |v44|
; %bb.155:
	v_cmp_le_f32_e64 s10, 0x3e800000, |v44|
	s_delay_alu instid0(VALU_DEP_1)
	v_cndmask_b32_e64 v43, 0, 1, s10
; %bb.156:
	s_or_b32 exec_lo, exec_lo, s9
.LBB2_157:
	s_delay_alu instid0(SALU_CYCLE_1)
	s_or_b32 exec_lo, exec_lo, s8
.LBB2_158:
	s_delay_alu instid0(SALU_CYCLE_1)
	s_or_b32 exec_lo, exec_lo, s7
.LBB2_159:
	s_delay_alu instid0(SALU_CYCLE_1)
	s_or_b32 exec_lo, exec_lo, s5
.LBB2_160:
	s_delay_alu instid0(SALU_CYCLE_1)
	s_or_b32 exec_lo, exec_lo, s3
.LBB2_161:
	s_delay_alu instid0(SALU_CYCLE_1) | instskip(SKIP_2) | instid1(VALU_DEP_1)
	s_or_b32 exec_lo, exec_lo, s2
	v_mul_f32_e32 v42, v12, v42
	s_mov_b32 s2, exec_lo
	v_cmpx_nle_f32_e64 0x40a00000, |v42|
	s_cbranch_execz .LBB2_173
; %bb.162:
	v_mov_b32_e32 v40, 6
	s_mov_b32 s3, exec_lo
	v_cmpx_nle_f32_e64 0x40600000, |v42|
	s_cbranch_execz .LBB2_172
; %bb.163:
	v_mov_b32_e32 v40, 5
	s_mov_b32 s5, exec_lo
	v_cmpx_nle_f32_e64 0x40200000, |v42|
	s_cbranch_execz .LBB2_171
; %bb.164:
	v_mov_b32_e32 v40, 4
	s_mov_b32 s7, exec_lo
	v_cmpx_nle_f32_e64 0x3fe00000, |v42|
	s_cbranch_execz .LBB2_170
; %bb.165:
	v_mov_b32_e32 v40, 3
	s_mov_b32 s8, exec_lo
	v_cmpx_nle_f32_e64 0x3fa00000, |v42|
	s_cbranch_execz .LBB2_169
; %bb.166:
	v_mov_b32_e32 v40, 2
	s_mov_b32 s9, exec_lo
	v_cmpx_nle_f32_e64 0x3f400000, |v42|
; %bb.167:
	v_cmp_le_f32_e64 s10, 0x3e800000, |v42|
	s_delay_alu instid0(VALU_DEP_1)
	v_cndmask_b32_e64 v40, 0, 1, s10
; %bb.168:
	s_or_b32 exec_lo, exec_lo, s9
.LBB2_169:
	s_delay_alu instid0(SALU_CYCLE_1)
	s_or_b32 exec_lo, exec_lo, s8
.LBB2_170:
	s_delay_alu instid0(SALU_CYCLE_1)
	s_or_b32 exec_lo, exec_lo, s7
.LBB2_171:
	s_delay_alu instid0(SALU_CYCLE_1)
	s_or_b32 exec_lo, exec_lo, s5
.LBB2_172:
	s_delay_alu instid0(SALU_CYCLE_1)
	s_or_b32 exec_lo, exec_lo, s3
.LBB2_173:
	s_delay_alu instid0(SALU_CYCLE_1) | instskip(SKIP_3) | instid1(VALU_DEP_2)
	s_or_b32 exec_lo, exec_lo, s2
	v_dual_mul_f32 v50, v12, v46 :: v_dual_mov_b32 v49, 7
	v_mov_b32_e32 v46, 7
	s_mov_b32 s2, exec_lo
	v_cmpx_nle_f32_e64 0x40a00000, |v50|
	s_cbranch_execz .LBB2_185
; %bb.174:
	v_mov_b32_e32 v49, 6
	s_mov_b32 s3, exec_lo
	v_cmpx_nle_f32_e64 0x40600000, |v50|
	s_cbranch_execz .LBB2_184
; %bb.175:
	;; [unrolled: 5-line block ×5, first 2 shown]
	v_mov_b32_e32 v49, 2
	s_mov_b32 s9, exec_lo
	v_cmpx_nle_f32_e64 0x3f400000, |v50|
; %bb.179:
	v_cmp_le_f32_e64 s10, 0x3e800000, |v50|
	s_delay_alu instid0(VALU_DEP_1)
	v_cndmask_b32_e64 v49, 0, 1, s10
; %bb.180:
	s_or_b32 exec_lo, exec_lo, s9
.LBB2_181:
	s_delay_alu instid0(SALU_CYCLE_1)
	s_or_b32 exec_lo, exec_lo, s8
.LBB2_182:
	s_delay_alu instid0(SALU_CYCLE_1)
	s_or_b32 exec_lo, exec_lo, s7
.LBB2_183:
	s_delay_alu instid0(SALU_CYCLE_1)
	s_or_b32 exec_lo, exec_lo, s5
.LBB2_184:
	s_delay_alu instid0(SALU_CYCLE_1)
	s_or_b32 exec_lo, exec_lo, s3
.LBB2_185:
	s_delay_alu instid0(SALU_CYCLE_1) | instskip(SKIP_2) | instid1(VALU_DEP_1)
	s_or_b32 exec_lo, exec_lo, s2
	v_mul_f32_e32 v47, v12, v47
	s_mov_b32 s2, exec_lo
	v_cmpx_nle_f32_e64 0x40a00000, |v47|
	s_cbranch_execz .LBB2_197
; %bb.186:
	v_mov_b32_e32 v46, 6
	s_mov_b32 s3, exec_lo
	v_cmpx_nle_f32_e64 0x40600000, |v47|
	s_cbranch_execz .LBB2_196
; %bb.187:
	v_mov_b32_e32 v46, 5
	;; [unrolled: 5-line block ×5, first 2 shown]
	s_mov_b32 s9, exec_lo
	v_cmpx_nle_f32_e64 0x3f400000, |v47|
; %bb.191:
	v_cmp_le_f32_e64 s10, 0x3e800000, |v47|
	s_delay_alu instid0(VALU_DEP_1)
	v_cndmask_b32_e64 v46, 0, 1, s10
; %bb.192:
	s_or_b32 exec_lo, exec_lo, s9
.LBB2_193:
	s_delay_alu instid0(SALU_CYCLE_1)
	s_or_b32 exec_lo, exec_lo, s8
.LBB2_194:
	s_delay_alu instid0(SALU_CYCLE_1)
	s_or_b32 exec_lo, exec_lo, s7
.LBB2_195:
	s_delay_alu instid0(SALU_CYCLE_1)
	s_or_b32 exec_lo, exec_lo, s5
.LBB2_196:
	s_delay_alu instid0(SALU_CYCLE_1)
	s_or_b32 exec_lo, exec_lo, s3
.LBB2_197:
	s_delay_alu instid0(SALU_CYCLE_1) | instskip(SKIP_3) | instid1(VALU_DEP_2)
	s_or_b32 exec_lo, exec_lo, s2
	v_dual_mul_f32 v54, v12, v51 :: v_dual_mov_b32 v51, 7
	v_mov_b32_e32 v53, 7
	s_mov_b32 s2, exec_lo
	v_cmpx_nle_f32_e64 0x40a00000, |v54|
	s_cbranch_execz .LBB2_209
; %bb.198:
	v_mov_b32_e32 v53, 6
	s_mov_b32 s3, exec_lo
	v_cmpx_nle_f32_e64 0x40600000, |v54|
	s_cbranch_execz .LBB2_208
; %bb.199:
	;; [unrolled: 5-line block ×5, first 2 shown]
	v_mov_b32_e32 v53, 2
	s_mov_b32 s9, exec_lo
	v_cmpx_nle_f32_e64 0x3f400000, |v54|
; %bb.203:
	v_cmp_le_f32_e64 s10, 0x3e800000, |v54|
	s_delay_alu instid0(VALU_DEP_1)
	v_cndmask_b32_e64 v53, 0, 1, s10
; %bb.204:
	s_or_b32 exec_lo, exec_lo, s9
.LBB2_205:
	s_delay_alu instid0(SALU_CYCLE_1)
	s_or_b32 exec_lo, exec_lo, s8
.LBB2_206:
	s_delay_alu instid0(SALU_CYCLE_1)
	s_or_b32 exec_lo, exec_lo, s7
.LBB2_207:
	s_delay_alu instid0(SALU_CYCLE_1)
	s_or_b32 exec_lo, exec_lo, s5
.LBB2_208:
	s_delay_alu instid0(SALU_CYCLE_1)
	s_or_b32 exec_lo, exec_lo, s3
.LBB2_209:
	s_delay_alu instid0(SALU_CYCLE_1) | instskip(SKIP_2) | instid1(VALU_DEP_1)
	s_or_b32 exec_lo, exec_lo, s2
	v_mul_f32_e32 v52, v12, v52
	s_mov_b32 s2, exec_lo
	v_cmpx_nle_f32_e64 0x40a00000, |v52|
	s_cbranch_execz .LBB2_221
; %bb.210:
	v_mov_b32_e32 v51, 6
	s_mov_b32 s3, exec_lo
	v_cmpx_nle_f32_e64 0x40600000, |v52|
	s_cbranch_execz .LBB2_220
; %bb.211:
	v_mov_b32_e32 v51, 5
	;; [unrolled: 5-line block ×5, first 2 shown]
	s_mov_b32 s9, exec_lo
	v_cmpx_nle_f32_e64 0x3f400000, |v52|
; %bb.215:
	v_cmp_le_f32_e64 s10, 0x3e800000, |v52|
	s_delay_alu instid0(VALU_DEP_1)
	v_cndmask_b32_e64 v51, 0, 1, s10
; %bb.216:
	s_or_b32 exec_lo, exec_lo, s9
.LBB2_217:
	s_delay_alu instid0(SALU_CYCLE_1)
	s_or_b32 exec_lo, exec_lo, s8
.LBB2_218:
	s_delay_alu instid0(SALU_CYCLE_1)
	s_or_b32 exec_lo, exec_lo, s7
.LBB2_219:
	s_delay_alu instid0(SALU_CYCLE_1)
	s_or_b32 exec_lo, exec_lo, s5
.LBB2_220:
	s_delay_alu instid0(SALU_CYCLE_1)
	s_or_b32 exec_lo, exec_lo, s3
.LBB2_221:
	s_delay_alu instid0(SALU_CYCLE_1) | instskip(SKIP_3) | instid1(VALU_DEP_2)
	s_or_b32 exec_lo, exec_lo, s2
	v_dual_mul_f32 v55, v12, v48 :: v_dual_mov_b32 v48, 7
	v_mov_b32_e32 v56, 7
	s_mov_b32 s2, exec_lo
	v_cmpx_nle_f32_e64 0x40a00000, |v55|
	s_cbranch_execz .LBB2_233
; %bb.222:
	v_mov_b32_e32 v56, 6
	s_mov_b32 s3, exec_lo
	v_cmpx_nle_f32_e64 0x40600000, |v55|
	s_cbranch_execz .LBB2_232
; %bb.223:
	;; [unrolled: 5-line block ×5, first 2 shown]
	v_mov_b32_e32 v56, 2
	s_mov_b32 s9, exec_lo
	v_cmpx_nle_f32_e64 0x3f400000, |v55|
; %bb.227:
	v_cmp_le_f32_e64 s10, 0x3e800000, |v55|
	s_delay_alu instid0(VALU_DEP_1)
	v_cndmask_b32_e64 v56, 0, 1, s10
; %bb.228:
	s_or_b32 exec_lo, exec_lo, s9
.LBB2_229:
	s_delay_alu instid0(SALU_CYCLE_1)
	s_or_b32 exec_lo, exec_lo, s8
.LBB2_230:
	s_delay_alu instid0(SALU_CYCLE_1)
	s_or_b32 exec_lo, exec_lo, s7
.LBB2_231:
	s_delay_alu instid0(SALU_CYCLE_1)
	s_or_b32 exec_lo, exec_lo, s5
.LBB2_232:
	s_delay_alu instid0(SALU_CYCLE_1)
	s_or_b32 exec_lo, exec_lo, s3
.LBB2_233:
	s_delay_alu instid0(SALU_CYCLE_1) | instskip(SKIP_2) | instid1(VALU_DEP_1)
	s_or_b32 exec_lo, exec_lo, s2
	v_mul_f32_e32 v45, v12, v45
	s_mov_b32 s2, exec_lo
	v_cmpx_nle_f32_e64 0x40a00000, |v45|
	s_cbranch_execz .LBB2_245
; %bb.234:
	v_mov_b32_e32 v48, 6
	s_mov_b32 s3, exec_lo
	v_cmpx_nle_f32_e64 0x40600000, |v45|
	s_cbranch_execz .LBB2_244
; %bb.235:
	v_mov_b32_e32 v48, 5
	;; [unrolled: 5-line block ×5, first 2 shown]
	s_mov_b32 s9, exec_lo
	v_cmpx_nle_f32_e64 0x3f400000, |v45|
; %bb.239:
	v_cmp_le_f32_e64 s10, 0x3e800000, |v45|
	s_delay_alu instid0(VALU_DEP_1)
	v_cndmask_b32_e64 v48, 0, 1, s10
; %bb.240:
	s_or_b32 exec_lo, exec_lo, s9
.LBB2_241:
	s_delay_alu instid0(SALU_CYCLE_1)
	s_or_b32 exec_lo, exec_lo, s8
.LBB2_242:
	s_delay_alu instid0(SALU_CYCLE_1)
	s_or_b32 exec_lo, exec_lo, s7
.LBB2_243:
	s_delay_alu instid0(SALU_CYCLE_1)
	s_or_b32 exec_lo, exec_lo, s5
.LBB2_244:
	s_delay_alu instid0(SALU_CYCLE_1)
	s_or_b32 exec_lo, exec_lo, s3
.LBB2_245:
	s_delay_alu instid0(SALU_CYCLE_1) | instskip(SKIP_3) | instid1(VALU_DEP_2)
	s_or_b32 exec_lo, exec_lo, s2
	v_dual_mul_f32 v57, v12, v41 :: v_dual_mov_b32 v58, 7
	v_mov_b32_e32 v41, 7
	s_mov_b32 s2, exec_lo
	v_cmpx_nle_f32_e64 0x40a00000, |v57|
	s_cbranch_execz .LBB2_257
; %bb.246:
	v_mov_b32_e32 v58, 6
	s_mov_b32 s3, exec_lo
	v_cmpx_nle_f32_e64 0x40600000, |v57|
	s_cbranch_execz .LBB2_256
; %bb.247:
	;; [unrolled: 5-line block ×5, first 2 shown]
	v_mov_b32_e32 v58, 2
	s_mov_b32 s9, exec_lo
	v_cmpx_nle_f32_e64 0x3f400000, |v57|
; %bb.251:
	v_cmp_le_f32_e64 s10, 0x3e800000, |v57|
	s_delay_alu instid0(VALU_DEP_1)
	v_cndmask_b32_e64 v58, 0, 1, s10
; %bb.252:
	s_or_b32 exec_lo, exec_lo, s9
.LBB2_253:
	s_delay_alu instid0(SALU_CYCLE_1)
	s_or_b32 exec_lo, exec_lo, s8
.LBB2_254:
	s_delay_alu instid0(SALU_CYCLE_1)
	s_or_b32 exec_lo, exec_lo, s7
.LBB2_255:
	s_delay_alu instid0(SALU_CYCLE_1)
	s_or_b32 exec_lo, exec_lo, s5
.LBB2_256:
	s_delay_alu instid0(SALU_CYCLE_1)
	s_or_b32 exec_lo, exec_lo, s3
.LBB2_257:
	s_delay_alu instid0(SALU_CYCLE_1) | instskip(SKIP_2) | instid1(VALU_DEP_1)
	s_or_b32 exec_lo, exec_lo, s2
	v_mul_f32_e32 v39, v12, v39
	s_mov_b32 s2, exec_lo
	v_cmpx_nle_f32_e64 0x40a00000, |v39|
	s_cbranch_execz .LBB2_269
; %bb.258:
	v_mov_b32_e32 v41, 6
	s_mov_b32 s3, exec_lo
	v_cmpx_nle_f32_e64 0x40600000, |v39|
	s_cbranch_execz .LBB2_268
; %bb.259:
	v_mov_b32_e32 v41, 5
	s_mov_b32 s5, exec_lo
	v_cmpx_nle_f32_e64 0x40200000, |v39|
	s_cbranch_execz .LBB2_267
; %bb.260:
	v_mov_b32_e32 v41, 4
	s_mov_b32 s7, exec_lo
	v_cmpx_nle_f32_e64 0x3fe00000, |v39|
	s_cbranch_execz .LBB2_266
; %bb.261:
	v_mov_b32_e32 v41, 3
	s_mov_b32 s8, exec_lo
	v_cmpx_nle_f32_e64 0x3fa00000, |v39|
	s_cbranch_execz .LBB2_265
; %bb.262:
	v_mov_b32_e32 v41, 2
	s_mov_b32 s9, exec_lo
	v_cmpx_nle_f32_e64 0x3f400000, |v39|
; %bb.263:
	v_cmp_le_f32_e64 s10, 0x3e800000, |v39|
	s_delay_alu instid0(VALU_DEP_1)
	v_cndmask_b32_e64 v41, 0, 1, s10
; %bb.264:
	s_or_b32 exec_lo, exec_lo, s9
.LBB2_265:
	s_delay_alu instid0(SALU_CYCLE_1)
	s_or_b32 exec_lo, exec_lo, s8
.LBB2_266:
	s_delay_alu instid0(SALU_CYCLE_1)
	s_or_b32 exec_lo, exec_lo, s7
.LBB2_267:
	s_delay_alu instid0(SALU_CYCLE_1)
	s_or_b32 exec_lo, exec_lo, s5
.LBB2_268:
	s_delay_alu instid0(SALU_CYCLE_1)
	s_or_b32 exec_lo, exec_lo, s3
.LBB2_269:
	s_delay_alu instid0(SALU_CYCLE_1) | instskip(SKIP_3) | instid1(VALU_DEP_2)
	s_or_b32 exec_lo, exec_lo, s2
	v_dual_mul_f32 v60, v12, v38 :: v_dual_mov_b32 v59, 7
	v_mov_b32_e32 v38, 7
	s_mov_b32 s2, exec_lo
	v_cmpx_nle_f32_e64 0x40a00000, |v60|
	s_cbranch_execz .LBB2_281
; %bb.270:
	v_mov_b32_e32 v59, 6
	s_mov_b32 s3, exec_lo
	v_cmpx_nle_f32_e64 0x40600000, |v60|
	s_cbranch_execz .LBB2_280
; %bb.271:
	v_mov_b32_e32 v59, 5
	s_mov_b32 s5, exec_lo
	v_cmpx_nle_f32_e64 0x40200000, |v60|
	s_cbranch_execz .LBB2_279
; %bb.272:
	v_mov_b32_e32 v59, 4
	s_mov_b32 s7, exec_lo
	v_cmpx_nle_f32_e64 0x3fe00000, |v60|
	s_cbranch_execz .LBB2_278
; %bb.273:
	v_mov_b32_e32 v59, 3
	s_mov_b32 s8, exec_lo
	v_cmpx_nle_f32_e64 0x3fa00000, |v60|
	s_cbranch_execz .LBB2_277
; %bb.274:
	v_mov_b32_e32 v59, 2
	s_mov_b32 s9, exec_lo
	v_cmpx_nle_f32_e64 0x3f400000, |v60|
; %bb.275:
	v_cmp_le_f32_e64 s10, 0x3e800000, |v60|
	s_delay_alu instid0(VALU_DEP_1)
	v_cndmask_b32_e64 v59, 0, 1, s10
; %bb.276:
	s_or_b32 exec_lo, exec_lo, s9
.LBB2_277:
	s_delay_alu instid0(SALU_CYCLE_1)
	s_or_b32 exec_lo, exec_lo, s8
.LBB2_278:
	s_delay_alu instid0(SALU_CYCLE_1)
	s_or_b32 exec_lo, exec_lo, s7
.LBB2_279:
	s_delay_alu instid0(SALU_CYCLE_1)
	s_or_b32 exec_lo, exec_lo, s5
.LBB2_280:
	s_delay_alu instid0(SALU_CYCLE_1)
	s_or_b32 exec_lo, exec_lo, s3
.LBB2_281:
	s_delay_alu instid0(SALU_CYCLE_1) | instskip(SKIP_2) | instid1(VALU_DEP_1)
	s_or_b32 exec_lo, exec_lo, s2
	v_mul_f32_e32 v34, v12, v34
	s_mov_b32 s2, exec_lo
	v_cmpx_nle_f32_e64 0x40a00000, |v34|
	s_cbranch_execz .LBB2_293
; %bb.282:
	v_mov_b32_e32 v38, 6
	s_mov_b32 s3, exec_lo
	v_cmpx_nle_f32_e64 0x40600000, |v34|
	s_cbranch_execz .LBB2_292
; %bb.283:
	v_mov_b32_e32 v38, 5
	;; [unrolled: 5-line block ×5, first 2 shown]
	s_mov_b32 s9, exec_lo
	v_cmpx_nle_f32_e64 0x3f400000, |v34|
; %bb.287:
	v_cmp_le_f32_e64 s10, 0x3e800000, |v34|
	s_delay_alu instid0(VALU_DEP_1)
	v_cndmask_b32_e64 v38, 0, 1, s10
; %bb.288:
	s_or_b32 exec_lo, exec_lo, s9
.LBB2_289:
	s_delay_alu instid0(SALU_CYCLE_1)
	s_or_b32 exec_lo, exec_lo, s8
.LBB2_290:
	s_delay_alu instid0(SALU_CYCLE_1)
	s_or_b32 exec_lo, exec_lo, s7
.LBB2_291:
	s_delay_alu instid0(SALU_CYCLE_1)
	s_or_b32 exec_lo, exec_lo, s5
.LBB2_292:
	s_delay_alu instid0(SALU_CYCLE_1)
	s_or_b32 exec_lo, exec_lo, s3
.LBB2_293:
	s_delay_alu instid0(SALU_CYCLE_1) | instskip(SKIP_3) | instid1(VALU_DEP_2)
	s_or_b32 exec_lo, exec_lo, s2
	v_dual_mul_f32 v62, v12, v31 :: v_dual_mov_b32 v31, 7
	v_mov_b32_e32 v61, 7
	s_mov_b32 s2, exec_lo
	v_cmpx_nle_f32_e64 0x40a00000, |v62|
	s_cbranch_execz .LBB2_305
; %bb.294:
	v_mov_b32_e32 v61, 6
	s_mov_b32 s3, exec_lo
	v_cmpx_nle_f32_e64 0x40600000, |v62|
	s_cbranch_execz .LBB2_304
; %bb.295:
	v_mov_b32_e32 v61, 5
	s_mov_b32 s5, exec_lo
	v_cmpx_nle_f32_e64 0x40200000, |v62|
	s_cbranch_execz .LBB2_303
; %bb.296:
	v_mov_b32_e32 v61, 4
	s_mov_b32 s7, exec_lo
	v_cmpx_nle_f32_e64 0x3fe00000, |v62|
	s_cbranch_execz .LBB2_302
; %bb.297:
	v_mov_b32_e32 v61, 3
	s_mov_b32 s8, exec_lo
	v_cmpx_nle_f32_e64 0x3fa00000, |v62|
	s_cbranch_execz .LBB2_301
; %bb.298:
	v_mov_b32_e32 v61, 2
	s_mov_b32 s9, exec_lo
	v_cmpx_nle_f32_e64 0x3f400000, |v62|
; %bb.299:
	v_cmp_le_f32_e64 s10, 0x3e800000, |v62|
	s_delay_alu instid0(VALU_DEP_1)
	v_cndmask_b32_e64 v61, 0, 1, s10
; %bb.300:
	s_or_b32 exec_lo, exec_lo, s9
.LBB2_301:
	s_delay_alu instid0(SALU_CYCLE_1)
	s_or_b32 exec_lo, exec_lo, s8
.LBB2_302:
	s_delay_alu instid0(SALU_CYCLE_1)
	s_or_b32 exec_lo, exec_lo, s7
.LBB2_303:
	s_delay_alu instid0(SALU_CYCLE_1)
	s_or_b32 exec_lo, exec_lo, s5
.LBB2_304:
	s_delay_alu instid0(SALU_CYCLE_1)
	s_or_b32 exec_lo, exec_lo, s3
.LBB2_305:
	s_delay_alu instid0(SALU_CYCLE_1) | instskip(SKIP_2) | instid1(VALU_DEP_1)
	s_or_b32 exec_lo, exec_lo, s2
	v_mul_f32_e32 v27, v12, v27
	s_mov_b32 s2, exec_lo
	v_cmpx_nle_f32_e64 0x40a00000, |v27|
	s_cbranch_execz .LBB2_317
; %bb.306:
	v_mov_b32_e32 v31, 6
	s_mov_b32 s3, exec_lo
	v_cmpx_nle_f32_e64 0x40600000, |v27|
	s_cbranch_execz .LBB2_316
; %bb.307:
	v_mov_b32_e32 v31, 5
	;; [unrolled: 5-line block ×5, first 2 shown]
	s_mov_b32 s9, exec_lo
	v_cmpx_nle_f32_e64 0x3f400000, |v27|
; %bb.311:
	v_cmp_le_f32_e64 s10, 0x3e800000, |v27|
	s_delay_alu instid0(VALU_DEP_1)
	v_cndmask_b32_e64 v31, 0, 1, s10
; %bb.312:
	s_or_b32 exec_lo, exec_lo, s9
.LBB2_313:
	s_delay_alu instid0(SALU_CYCLE_1)
	s_or_b32 exec_lo, exec_lo, s8
.LBB2_314:
	s_delay_alu instid0(SALU_CYCLE_1)
	s_or_b32 exec_lo, exec_lo, s7
.LBB2_315:
	s_delay_alu instid0(SALU_CYCLE_1)
	s_or_b32 exec_lo, exec_lo, s5
.LBB2_316:
	s_delay_alu instid0(SALU_CYCLE_1)
	s_or_b32 exec_lo, exec_lo, s3
.LBB2_317:
	s_delay_alu instid0(SALU_CYCLE_1) | instskip(SKIP_3) | instid1(VALU_DEP_2)
	s_or_b32 exec_lo, exec_lo, s2
	v_dual_mul_f32 v64, v12, v25 :: v_dual_mov_b32 v25, 7
	v_mov_b32_e32 v63, 7
	s_mov_b32 s2, exec_lo
	v_cmpx_nle_f32_e64 0x40a00000, |v64|
	s_cbranch_execz .LBB2_329
; %bb.318:
	v_mov_b32_e32 v63, 6
	s_mov_b32 s3, exec_lo
	v_cmpx_nle_f32_e64 0x40600000, |v64|
	s_cbranch_execz .LBB2_328
; %bb.319:
	;; [unrolled: 5-line block ×5, first 2 shown]
	v_mov_b32_e32 v63, 2
	s_mov_b32 s9, exec_lo
	v_cmpx_nle_f32_e64 0x3f400000, |v64|
; %bb.323:
	v_cmp_le_f32_e64 s10, 0x3e800000, |v64|
	s_delay_alu instid0(VALU_DEP_1)
	v_cndmask_b32_e64 v63, 0, 1, s10
; %bb.324:
	s_or_b32 exec_lo, exec_lo, s9
.LBB2_325:
	s_delay_alu instid0(SALU_CYCLE_1)
	s_or_b32 exec_lo, exec_lo, s8
.LBB2_326:
	s_delay_alu instid0(SALU_CYCLE_1)
	s_or_b32 exec_lo, exec_lo, s7
.LBB2_327:
	s_delay_alu instid0(SALU_CYCLE_1)
	s_or_b32 exec_lo, exec_lo, s5
.LBB2_328:
	s_delay_alu instid0(SALU_CYCLE_1)
	s_or_b32 exec_lo, exec_lo, s3
.LBB2_329:
	s_delay_alu instid0(SALU_CYCLE_1) | instskip(SKIP_2) | instid1(VALU_DEP_1)
	s_or_b32 exec_lo, exec_lo, s2
	v_mul_f32_e32 v21, v12, v21
	s_mov_b32 s2, exec_lo
	v_cmpx_nle_f32_e64 0x40a00000, |v21|
	s_cbranch_execz .LBB2_341
; %bb.330:
	v_mov_b32_e32 v25, 6
	s_mov_b32 s3, exec_lo
	v_cmpx_nle_f32_e64 0x40600000, |v21|
	s_cbranch_execz .LBB2_340
; %bb.331:
	v_mov_b32_e32 v25, 5
	;; [unrolled: 5-line block ×5, first 2 shown]
	s_mov_b32 s9, exec_lo
	v_cmpx_nle_f32_e64 0x3f400000, |v21|
; %bb.335:
	v_cmp_le_f32_e64 s10, 0x3e800000, |v21|
	s_delay_alu instid0(VALU_DEP_1)
	v_cndmask_b32_e64 v25, 0, 1, s10
; %bb.336:
	s_or_b32 exec_lo, exec_lo, s9
.LBB2_337:
	s_delay_alu instid0(SALU_CYCLE_1)
	s_or_b32 exec_lo, exec_lo, s8
.LBB2_338:
	s_delay_alu instid0(SALU_CYCLE_1)
	s_or_b32 exec_lo, exec_lo, s7
.LBB2_339:
	s_delay_alu instid0(SALU_CYCLE_1)
	s_or_b32 exec_lo, exec_lo, s5
.LBB2_340:
	s_delay_alu instid0(SALU_CYCLE_1)
	s_or_b32 exec_lo, exec_lo, s3
.LBB2_341:
	s_delay_alu instid0(SALU_CYCLE_1) | instskip(SKIP_3) | instid1(VALU_DEP_2)
	s_or_b32 exec_lo, exec_lo, s2
	v_dual_mul_f32 v65, v12, v19 :: v_dual_mov_b32 v66, 7
	v_mov_b32_e32 v19, 7
	s_mov_b32 s2, exec_lo
	v_cmpx_nle_f32_e64 0x40a00000, |v65|
	s_cbranch_execz .LBB2_353
; %bb.342:
	v_mov_b32_e32 v66, 6
	s_mov_b32 s3, exec_lo
	v_cmpx_nle_f32_e64 0x40600000, |v65|
	s_cbranch_execz .LBB2_352
; %bb.343:
	;; [unrolled: 5-line block ×5, first 2 shown]
	v_mov_b32_e32 v66, 2
	s_mov_b32 s9, exec_lo
	v_cmpx_nle_f32_e64 0x3f400000, |v65|
; %bb.347:
	v_cmp_le_f32_e64 s10, 0x3e800000, |v65|
	s_delay_alu instid0(VALU_DEP_1)
	v_cndmask_b32_e64 v66, 0, 1, s10
; %bb.348:
	s_or_b32 exec_lo, exec_lo, s9
.LBB2_349:
	s_delay_alu instid0(SALU_CYCLE_1)
	s_or_b32 exec_lo, exec_lo, s8
.LBB2_350:
	s_delay_alu instid0(SALU_CYCLE_1)
	s_or_b32 exec_lo, exec_lo, s7
.LBB2_351:
	s_delay_alu instid0(SALU_CYCLE_1)
	s_or_b32 exec_lo, exec_lo, s5
.LBB2_352:
	s_delay_alu instid0(SALU_CYCLE_1)
	s_or_b32 exec_lo, exec_lo, s3
.LBB2_353:
	s_delay_alu instid0(SALU_CYCLE_1) | instskip(SKIP_2) | instid1(VALU_DEP_1)
	s_or_b32 exec_lo, exec_lo, s2
	v_mul_f32_e32 v15, v12, v15
	s_mov_b32 s2, exec_lo
	v_cmpx_nle_f32_e64 0x40a00000, |v15|
	s_cbranch_execz .LBB2_365
; %bb.354:
	v_mov_b32_e32 v19, 6
	s_mov_b32 s3, exec_lo
	v_cmpx_nle_f32_e64 0x40600000, |v15|
	s_cbranch_execz .LBB2_364
; %bb.355:
	v_mov_b32_e32 v19, 5
	;; [unrolled: 5-line block ×5, first 2 shown]
	s_mov_b32 s9, exec_lo
	v_cmpx_nle_f32_e64 0x3f400000, |v15|
; %bb.359:
	v_cmp_le_f32_e64 s10, 0x3e800000, |v15|
	s_delay_alu instid0(VALU_DEP_1)
	v_cndmask_b32_e64 v19, 0, 1, s10
; %bb.360:
	s_or_b32 exec_lo, exec_lo, s9
.LBB2_361:
	s_delay_alu instid0(SALU_CYCLE_1)
	s_or_b32 exec_lo, exec_lo, s8
.LBB2_362:
	s_delay_alu instid0(SALU_CYCLE_1)
	s_or_b32 exec_lo, exec_lo, s7
.LBB2_363:
	s_delay_alu instid0(SALU_CYCLE_1)
	s_or_b32 exec_lo, exec_lo, s5
.LBB2_364:
	s_delay_alu instid0(SALU_CYCLE_1)
	s_or_b32 exec_lo, exec_lo, s3
.LBB2_365:
	s_delay_alu instid0(SALU_CYCLE_1) | instskip(SKIP_4) | instid1(VALU_DEP_2)
	s_or_b32 exec_lo, exec_lo, s2
	s_load_b64 s[2:3], s[0:1], 0x10
	v_dual_mul_f32 v67, v12, v13 :: v_dual_mov_b32 v68, 7
	v_mov_b32_e32 v13, 7
	s_mov_b32 s5, exec_lo
	v_cmpx_nle_f32_e64 0x40a00000, |v67|
	s_cbranch_execz .LBB2_377
; %bb.366:
	v_mov_b32_e32 v68, 6
	s_mov_b32 s7, exec_lo
	v_cmpx_nle_f32_e64 0x40600000, |v67|
	s_cbranch_execz .LBB2_376
; %bb.367:
	;; [unrolled: 5-line block ×5, first 2 shown]
	v_mov_b32_e32 v68, 2
	s_mov_b32 s11, exec_lo
	v_cmpx_nle_f32_e64 0x3f400000, |v67|
; %bb.371:
	v_cmp_le_f32_e64 s12, 0x3e800000, |v67|
	s_delay_alu instid0(VALU_DEP_1)
	v_cndmask_b32_e64 v68, 0, 1, s12
; %bb.372:
	s_or_b32 exec_lo, exec_lo, s11
.LBB2_373:
	s_delay_alu instid0(SALU_CYCLE_1)
	s_or_b32 exec_lo, exec_lo, s10
.LBB2_374:
	s_delay_alu instid0(SALU_CYCLE_1)
	s_or_b32 exec_lo, exec_lo, s9
.LBB2_375:
	s_delay_alu instid0(SALU_CYCLE_1)
	s_or_b32 exec_lo, exec_lo, s8
.LBB2_376:
	s_delay_alu instid0(SALU_CYCLE_1)
	s_or_b32 exec_lo, exec_lo, s7
.LBB2_377:
	s_delay_alu instid0(SALU_CYCLE_1) | instskip(SKIP_3) | instid1(VALU_DEP_1)
	s_or_b32 exec_lo, exec_lo, s5
	s_load_b64 s[0:1], s[0:1], 0x8
	v_mul_f32_e32 v8, v12, v8
	s_mov_b32 s5, exec_lo
	v_cmpx_nle_f32_e64 0x40a00000, |v8|
	s_cbranch_execz .LBB2_389
; %bb.378:
	v_mov_b32_e32 v13, 6
	s_mov_b32 s7, exec_lo
	v_cmpx_nle_f32_e64 0x40600000, |v8|
	s_cbranch_execz .LBB2_388
; %bb.379:
	v_mov_b32_e32 v13, 5
	;; [unrolled: 5-line block ×5, first 2 shown]
	s_mov_b32 s11, exec_lo
	v_cmpx_nle_f32_e64 0x3f400000, |v8|
; %bb.383:
	v_cmp_le_f32_e64 s12, 0x3e800000, |v8|
	s_delay_alu instid0(VALU_DEP_1)
	v_cndmask_b32_e64 v13, 0, 1, s12
; %bb.384:
	s_or_b32 exec_lo, exec_lo, s11
.LBB2_385:
	s_delay_alu instid0(SALU_CYCLE_1)
	s_or_b32 exec_lo, exec_lo, s10
.LBB2_386:
	s_delay_alu instid0(SALU_CYCLE_1)
	s_or_b32 exec_lo, exec_lo, s9
.LBB2_387:
	s_delay_alu instid0(SALU_CYCLE_1)
	s_or_b32 exec_lo, exec_lo, s8
.LBB2_388:
	s_delay_alu instid0(SALU_CYCLE_1)
	s_or_b32 exec_lo, exec_lo, s7
.LBB2_389:
	s_delay_alu instid0(SALU_CYCLE_1)
	s_or_b32 exec_lo, exec_lo, s5
	v_cmp_gt_f32_e32 vcc_lo, 0, v67
	v_lshlrev_b16 v6, 4, v6
	v_lshlrev_b16 v25, 4, v25
	;; [unrolled: 1-line block ×4, first 2 shown]
	v_cndmask_b32_e64 v12, 0, 1, vcc_lo
	v_cmp_gt_f32_e32 vcc_lo, 0, v65
	s_lshr_b32 s5, s4, 31
	s_delay_alu instid0(SALU_CYCLE_1) | instskip(NEXT) | instid1(VALU_DEP_2)
	s_add_i32 s4, s4, s5
	v_lshlrev_b16 v12, 3, v12
	v_cndmask_b32_e64 v65, 0, 1, vcc_lo
	v_cmp_gt_f32_e32 vcc_lo, 0, v64
	s_ashr_i32 s4, s4, 1
	s_delay_alu instid0(SALU_CYCLE_1) | instskip(NEXT) | instid1(VALU_DEP_2)
	s_ashr_i32 s5, s4, 31
	v_lshlrev_b16 v65, 3, v65
	v_cndmask_b32_e64 v64, 0, 1, vcc_lo
	v_cmp_gt_f32_e32 vcc_lo, 0, v62
	v_or_b32_e32 v12, v12, v68
	v_mul_lo_u32 v1, v1, s4
	v_or_b32_e32 v65, v65, v66
	v_lshlrev_b16 v64, 3, v64
	v_cndmask_b32_e64 v62, 0, 1, vcc_lo
	v_cmp_gt_f32_e32 vcc_lo, 0, v60
	s_delay_alu instid0(VALU_DEP_3) | instskip(NEXT) | instid1(VALU_DEP_3)
	v_or_b32_e32 v63, v64, v63
	v_lshlrev_b16 v62, 3, v62
	v_cndmask_b32_e64 v60, 0, 1, vcc_lo
	v_cmp_gt_f32_e32 vcc_lo, 0, v57
	s_delay_alu instid0(VALU_DEP_3) | instskip(NEXT) | instid1(VALU_DEP_3)
	;; [unrolled: 5-line block ×11, first 2 shown]
	v_or_b32_e32 v23, v24, v23
	v_lshlrev_b16 v18, 3, v18
	v_cndmask_b32_e64 v4, 0, 1, vcc_lo
	v_cmp_gt_f32_e32 vcc_lo, 0, v7
	s_delay_alu instid0(VALU_DEP_2) | instskip(SKIP_2) | instid1(VALU_DEP_3)
	v_lshlrev_b16 v4, 3, v4
	v_cndmask_b32_e64 v7, 0, 1, vcc_lo
	v_cmp_gt_f32_e32 vcc_lo, 0, v10
	v_or_b32_e32 v4, v4, v5
	s_delay_alu instid0(VALU_DEP_3)
	v_lshlrev_b16 v7, 7, v7
	v_cndmask_b32_e64 v10, 0, 1, vcc_lo
	v_cmp_gt_f32_e32 vcc_lo, 0, v14
	v_lshlrev_b16 v14, 4, v22
	v_lshlrev_b16 v22, 4, v48
	v_or_b32_e32 v5, v7, v6
	v_lshlrev_b16 v10, 3, v10
	v_cndmask_b32_e64 v6, 0, 1, vcc_lo
	v_cmp_gt_f32_e32 vcc_lo, 0, v20
	v_or_b32_e32 v7, v18, v17
	v_or_b32_e32 v4, v5, v4
	v_lshlrev_b16 v5, 4, v9
	v_or_b32_e32 v10, v10, v11
	v_cndmask_b32_e64 v9, 0, 1, vcc_lo
	v_cmp_gt_f32_e32 vcc_lo, 0, v26
	v_lshlrev_b16 v6, 7, v6
	v_lshlrev_b16 v17, 4, v40
	;; [unrolled: 1-line block ×4, first 2 shown]
	v_cndmask_b32_e64 v11, 0, 1, vcc_lo
	v_cmp_gt_f32_e32 vcc_lo, 0, v32
	v_or_b32_e32 v5, v6, v5
	v_lshlrev_b16 v6, 4, v16
	s_delay_alu instid0(VALU_DEP_4)
	v_lshlrev_b16 v11, 7, v11
	v_cndmask_b32_e64 v16, 0, 1, vcc_lo
	v_cmp_gt_f32_e32 vcc_lo, 0, v36
	v_or_b32_e32 v10, v5, v10
	v_or_b32_e32 v5, v9, v6
	;; [unrolled: 1-line block ×3, first 2 shown]
	v_lshlrev_b16 v9, 4, v28
	v_cndmask_b32_e64 v14, 0, 1, vcc_lo
	v_cmp_gt_f32_e32 vcc_lo, 0, v42
	v_lshlrev_b16 v11, 7, v16
	v_or_b32_e32 v7, v5, v7
	v_or_b32_e32 v6, v6, v23
	v_lshlrev_b16 v14, 7, v14
	v_cndmask_b32_e64 v16, 0, 1, vcc_lo
	v_or_b32_e32 v9, v11, v9
	v_lshlrev_b16 v11, 4, v33
	v_cmp_gt_f32_e32 vcc_lo, 0, v47
	v_lshlrev_b16 v10, 8, v10
	v_lshlrev_b16 v16, 7, v16
	v_or_b32_e32 v9, v9, v29
	v_or_b32_e32 v5, v14, v11
	v_lshlrev_b16 v14, 4, v46
	v_lshlrev_b16 v6, 8, v6
	v_or_b32_e32 v11, v16, v17
	v_cndmask_b32_e64 v16, 0, 1, vcc_lo
	v_cmp_gt_f32_e32 vcc_lo, 0, v52
	v_or_b32_e32 v23, v5, v35
	v_or_b32_e32 v4, v4, v10
	;; [unrolled: 1-line block ×3, first 2 shown]
	v_lshlrev_b16 v16, 7, v16
	v_cndmask_b32_e64 v17, 0, 1, vcc_lo
	v_cmp_gt_f32_e32 vcc_lo, 0, v45
	v_or_b32_e32 v10, v7, v6
	s_delay_alu instid0(VALU_DEP_4) | instskip(NEXT) | instid1(VALU_DEP_4)
	v_or_b32_e32 v5, v16, v14
	v_lshlrev_b16 v17, 7, v17
	v_cndmask_b32_e64 v18, 0, 1, vcc_lo
	v_cmp_gt_f32_e32 vcc_lo, 0, v39
	v_lshlrev_b32_e32 v10, 16, v10
	s_delay_alu instid0(VALU_DEP_4) | instskip(NEXT) | instid1(VALU_DEP_4)
	v_or_b32_e32 v14, v17, v20
	v_lshlrev_b16 v18, 7, v18
	v_cndmask_b32_e64 v17, 0, 1, vcc_lo
	v_cmp_gt_f32_e32 vcc_lo, 0, v21
	v_lshlrev_b16 v20, 4, v38
	v_or_b32_e32 v14, v14, v53
	v_or_b32_e32 v16, v18, v22
	v_lshlrev_b16 v22, 4, v31
	v_cndmask_b32_e64 v21, 0, 1, vcc_lo
	v_cmp_gt_f32_e32 vcc_lo, 0, v27
	v_or_b32_e32 v18, v5, v49
	v_or_b32_e32 v5, v16, v55
	v_lshlrev_b16 v16, 4, v41
	v_lshlrev_b16 v21, 7, v21
	v_cndmask_b32_e64 v24, 0, 1, vcc_lo
	v_cmp_gt_f32_e32 vcc_lo, 0, v8
	v_lshlrev_b16 v17, 7, v17
	s_delay_alu instid0(VALU_DEP_4) | instskip(NEXT) | instid1(VALU_DEP_4)
	v_or_b32_e32 v21, v21, v25
	v_lshlrev_b16 v24, 7, v24
	v_cndmask_b32_e64 v8, 0, 1, vcc_lo
	v_cmp_gt_f32_e32 vcc_lo, 0, v15
	v_or_b32_e32 v16, v17, v16
	v_lshrrev_b32_e32 v17, 23, v3
	v_or_b32_e32 v22, v24, v22
	v_lshlrev_b16 v8, 7, v8
	v_cndmask_b32_e64 v15, 0, 1, vcc_lo
	v_cmp_gt_f32_e32 vcc_lo, 0, v34
	v_lshlrev_b16 v3, 8, v5
	v_or_b32_e32 v16, v16, v57
	v_or_b32_e32 v8, v8, v13
	v_lshlrev_b16 v15, 7, v15
	v_cndmask_b32_e64 v13, 0, 1, vcc_lo
	v_or_b32_e32 v3, v14, v3
	v_lshlrev_b16 v14, 8, v18
	v_or_b32_e32 v8, v8, v12
	v_or_b32_e32 v15, v15, v19
	;; [unrolled: 1-line block ×3, first 2 shown]
	v_lshlrev_b16 v12, 7, v13
	v_or_b32_e32 v13, v22, v61
	v_lshlrev_b16 v8, 8, v8
	v_or_b32_e32 v15, v15, v65
	v_lshlrev_b16 v19, 8, v19
	v_ashrrev_i32_e32 v21, 31, v0
	v_or_b32_e32 v11, v11, v14
	v_or_b32_e32 v12, v12, v20
	;; [unrolled: 1-line block ×4, first 2 shown]
	v_lshrrev_b32_e32 v15, 27, v21
	v_lshrrev_b32_e32 v14, 28, v21
	v_or_b32_e32 v12, v12, v59
	v_lshlrev_b32_e32 v8, 16, v8
	v_and_b32_e32 v13, 0xffff, v13
	v_add_nc_u32_e32 v15, v0, v15
	v_add_nc_u32_e32 v7, v0, v14
	v_lshlrev_b32_e32 v14, 6, v2
	v_lshlrev_b16 v12, 8, v12
	v_or_b32_e32 v5, v13, v8
	v_and_b32_e32 v8, 0xffe0, v15
	v_lshlrev_b16 v13, 8, v23
	v_and_b32_e32 v7, 0x3ffffff0, v7
	v_or_b32_e32 v12, v16, v12
	v_and_b32_e32 v3, 0xffff, v3
	v_sub_nc_u32_e32 v8, v0, v8
	v_or_b32_e32 v9, v9, v13
	v_sub_nc_u32_e32 v7, v0, v7
	v_lshlrev_b32_e32 v12, 16, v12
	v_lshlrev_b32_e32 v11, 16, v11
	v_bfe_i32 v13, v8, 0, 8
	v_and_b32_e32 v9, 0xffff, v9
	s_delay_alu instid0(VALU_DEP_2) | instskip(NEXT) | instid1(VALU_DEP_1)
	v_lshrrev_b16 v13, 11, v13
	v_and_b32_e32 v6, 15, v13
	v_lshrrev_b32_e32 v13, 5, v15
	v_lshrrev_b32_e32 v15, 1, v2
	s_delay_alu instid0(VALU_DEP_3) | instskip(NEXT) | instid1(VALU_DEP_3)
	v_add_nc_u16 v6, v8, v6
	v_mul_lo_u32 v8, v13, s6
	v_and_b32_e32 v13, 0xc0, v14
	v_and_b32_e32 v14, 0x3fffff8, v2
	s_delay_alu instid0(VALU_DEP_4) | instskip(NEXT) | instid1(VALU_DEP_3)
	v_bfe_i32 v6, v6, 0, 8
	v_lshl_add_u32 v7, v7, 2, v13
	v_mul_lo_u32 v13, v0, s5
	s_delay_alu instid0(VALU_DEP_4) | instskip(NEXT) | instid1(VALU_DEP_4)
	v_add_lshl_u32 v8, v8, v14, 5
	v_ashrrev_i16 v6, 4, v6
	s_delay_alu instid0(VALU_DEP_4) | instskip(NEXT) | instid1(VALU_DEP_2)
	v_and_or_b32 v15, v15, 2, v7
	v_bfe_i32 v14, v6, 0, 16
	s_waitcnt lgkmcnt(0)
	v_mad_u64_u32 v[6:7], null, v0, s4, s[0:1]
	v_and_b32_e32 v0, 0xffff, v4
	v_or_b32_e32 v4, v3, v12
	v_add3_u32 v8, v15, v8, v14
	v_or_b32_e32 v3, v9, v11
	v_lshlrev_b32_e32 v9, 4, v2
	v_or_b32_e32 v2, v0, v10
	v_add3_u32 v1, v1, v7, v13
	v_ashrrev_i32_e32 v7, 31, v8
	s_delay_alu instid0(VALU_DEP_4) | instskip(NEXT) | instid1(VALU_DEP_3)
	v_add_co_u32 v0, vcc_lo, v6, v9
	v_add_co_ci_u32_e32 v1, vcc_lo, 0, v1, vcc_lo
	v_add_co_u32 v6, vcc_lo, s2, v8
	s_delay_alu instid0(VALU_DEP_4)
	v_add_co_ci_u32_e32 v7, vcc_lo, s3, v7, vcc_lo
	global_store_b128 v[0:1], v[2:5], off
	global_store_b8 v[6:7], v17, off
.LBB2_390:
	s_nop 0
	s_sendmsg sendmsg(MSG_DEALLOC_VGPRS)
	s_endpgm
	.section	.rodata,"a",@progbits
	.p2align	6, 0x0
	.amdhsa_kernel _ZN5aiter18quant_mxfp4_kernelI6__halfLNS_16MxScaleRoundModeE0ELb1ELb0ELb0EEEvPKT_PhPfliiib
		.amdhsa_group_segment_fixed_size 0
		.amdhsa_private_segment_fixed_size 0
		.amdhsa_kernarg_size 304
		.amdhsa_user_sgpr_count 15
		.amdhsa_user_sgpr_dispatch_ptr 0
		.amdhsa_user_sgpr_queue_ptr 0
		.amdhsa_user_sgpr_kernarg_segment_ptr 1
		.amdhsa_user_sgpr_dispatch_id 0
		.amdhsa_user_sgpr_private_segment_size 0
		.amdhsa_wavefront_size32 1
		.amdhsa_uses_dynamic_stack 0
		.amdhsa_enable_private_segment 0
		.amdhsa_system_sgpr_workgroup_id_x 1
		.amdhsa_system_sgpr_workgroup_id_y 0
		.amdhsa_system_sgpr_workgroup_id_z 0
		.amdhsa_system_sgpr_workgroup_info 0
		.amdhsa_system_vgpr_workitem_id 0
		.amdhsa_next_free_vgpr 69
		.amdhsa_next_free_sgpr 16
		.amdhsa_reserve_vcc 1
		.amdhsa_float_round_mode_32 0
		.amdhsa_float_round_mode_16_64 0
		.amdhsa_float_denorm_mode_32 3
		.amdhsa_float_denorm_mode_16_64 3
		.amdhsa_dx10_clamp 1
		.amdhsa_ieee_mode 1
		.amdhsa_fp16_overflow 0
		.amdhsa_workgroup_processor_mode 1
		.amdhsa_memory_ordered 1
		.amdhsa_forward_progress 0
		.amdhsa_shared_vgpr_count 0
		.amdhsa_exception_fp_ieee_invalid_op 0
		.amdhsa_exception_fp_denorm_src 0
		.amdhsa_exception_fp_ieee_div_zero 0
		.amdhsa_exception_fp_ieee_overflow 0
		.amdhsa_exception_fp_ieee_underflow 0
		.amdhsa_exception_fp_ieee_inexact 0
		.amdhsa_exception_int_div_zero 0
	.end_amdhsa_kernel
	.section	.text._ZN5aiter18quant_mxfp4_kernelI6__halfLNS_16MxScaleRoundModeE0ELb1ELb0ELb0EEEvPKT_PhPfliiib,"axG",@progbits,_ZN5aiter18quant_mxfp4_kernelI6__halfLNS_16MxScaleRoundModeE0ELb1ELb0ELb0EEEvPKT_PhPfliiib,comdat
.Lfunc_end2:
	.size	_ZN5aiter18quant_mxfp4_kernelI6__halfLNS_16MxScaleRoundModeE0ELb1ELb0ELb0EEEvPKT_PhPfliiib, .Lfunc_end2-_ZN5aiter18quant_mxfp4_kernelI6__halfLNS_16MxScaleRoundModeE0ELb1ELb0ELb0EEEvPKT_PhPfliiib
                                        ; -- End function
	.section	.AMDGPU.csdata,"",@progbits
; Kernel info:
; codeLenInByte = 10052
; NumSgprs: 18
; NumVgprs: 69
; ScratchSize: 0
; MemoryBound: 0
; FloatMode: 240
; IeeeMode: 1
; LDSByteSize: 0 bytes/workgroup (compile time only)
; SGPRBlocks: 2
; VGPRBlocks: 8
; NumSGPRsForWavesPerEU: 18
; NumVGPRsForWavesPerEU: 69
; Occupancy: 16
; WaveLimiterHint : 0
; COMPUTE_PGM_RSRC2:SCRATCH_EN: 0
; COMPUTE_PGM_RSRC2:USER_SGPR: 15
; COMPUTE_PGM_RSRC2:TRAP_HANDLER: 0
; COMPUTE_PGM_RSRC2:TGID_X_EN: 1
; COMPUTE_PGM_RSRC2:TGID_Y_EN: 0
; COMPUTE_PGM_RSRC2:TGID_Z_EN: 0
; COMPUTE_PGM_RSRC2:TIDIG_COMP_CNT: 0
	.section	.text._ZN5aiter18quant_mxfp4_kernelI6__halfLNS_16MxScaleRoundModeE0ELb0ELb1ELb1EEEvPKT_PhPfliiib,"axG",@progbits,_ZN5aiter18quant_mxfp4_kernelI6__halfLNS_16MxScaleRoundModeE0ELb0ELb1ELb1EEEvPKT_PhPfliiib,comdat
	.protected	_ZN5aiter18quant_mxfp4_kernelI6__halfLNS_16MxScaleRoundModeE0ELb0ELb1ELb1EEEvPKT_PhPfliiib ; -- Begin function _ZN5aiter18quant_mxfp4_kernelI6__halfLNS_16MxScaleRoundModeE0ELb0ELb1ELb1EEEvPKT_PhPfliiib
	.globl	_ZN5aiter18quant_mxfp4_kernelI6__halfLNS_16MxScaleRoundModeE0ELb0ELb1ELb1EEEvPKT_PhPfliiib
	.p2align	8
	.type	_ZN5aiter18quant_mxfp4_kernelI6__halfLNS_16MxScaleRoundModeE0ELb0ELb1ELb1EEEvPKT_PhPfliiib,@function
_ZN5aiter18quant_mxfp4_kernelI6__halfLNS_16MxScaleRoundModeE0ELb0ELb1ELb1EEEvPKT_PhPfliiib: ; @_ZN5aiter18quant_mxfp4_kernelI6__halfLNS_16MxScaleRoundModeE0ELb0ELb1ELb1EEEvPKT_PhPfliiib
; %bb.0:
	s_clause 0x1
	s_load_b32 s2, s[0:1], 0x3c
	s_load_b128 s[4:7], s[0:1], 0x20
	v_mov_b32_e32 v1, 0
	s_delay_alu instid0(VALU_DEP_1)
	v_mov_b32_e32 v4, v1
	s_waitcnt lgkmcnt(0)
	s_and_b32 s2, s2, 0xffff
	s_mov_b32 s3, s6
	v_mad_u64_u32 v[2:3], null, s2, s15, v[0:1]
	s_ashr_i32 s2, s6, 31
	s_mov_b32 s6, exec_lo
                                        ; implicit-def: $vgpr0_vgpr1
	s_delay_alu instid0(VALU_DEP_1) | instskip(NEXT) | instid1(VALU_DEP_1)
	v_or_b32_e32 v5, s2, v3
	v_cmpx_ne_u64_e32 0, v[4:5]
	s_xor_b32 s6, exec_lo, s6
	s_cbranch_execz .LBB3_2
; %bb.1:
	s_add_u32 s10, s3, s2
	s_mov_b32 s8, s2
	s_mov_b32 s9, s2
	s_addc_u32 s11, s2, s2
	s_delay_alu instid0(SALU_CYCLE_1) | instskip(NEXT) | instid1(SALU_CYCLE_1)
	s_xor_b64 s[10:11], s[10:11], s[8:9]
	v_cvt_f32_u32_e32 v0, s10
	v_cvt_f32_u32_e32 v1, s11
	s_sub_u32 s2, 0, s10
	s_subb_u32 s12, 0, s11
	s_delay_alu instid0(VALU_DEP_1) | instskip(NEXT) | instid1(VALU_DEP_1)
	v_fmamk_f32 v0, v1, 0x4f800000, v0
	v_rcp_f32_e32 v0, v0
	s_waitcnt_depctr 0xfff
	v_mul_f32_e32 v0, 0x5f7ffffc, v0
	s_delay_alu instid0(VALU_DEP_1) | instskip(NEXT) | instid1(VALU_DEP_1)
	v_mul_f32_e32 v1, 0x2f800000, v0
	v_trunc_f32_e32 v1, v1
	s_delay_alu instid0(VALU_DEP_1) | instskip(SKIP_1) | instid1(VALU_DEP_2)
	v_fmamk_f32 v0, v1, 0xcf800000, v0
	v_cvt_u32_f32_e32 v1, v1
	v_cvt_u32_f32_e32 v0, v0
	s_delay_alu instid0(VALU_DEP_2) | instskip(NEXT) | instid1(VALU_DEP_2)
	v_mul_lo_u32 v4, s2, v1
	v_mul_hi_u32 v5, s2, v0
	v_mul_lo_u32 v6, s12, v0
	s_delay_alu instid0(VALU_DEP_2) | instskip(SKIP_1) | instid1(VALU_DEP_2)
	v_add_nc_u32_e32 v4, v5, v4
	v_mul_lo_u32 v5, s2, v0
	v_add_nc_u32_e32 v4, v4, v6
	s_delay_alu instid0(VALU_DEP_2) | instskip(NEXT) | instid1(VALU_DEP_2)
	v_mul_hi_u32 v6, v0, v5
	v_mul_lo_u32 v7, v0, v4
	v_mul_hi_u32 v8, v0, v4
	v_mul_hi_u32 v9, v1, v5
	v_mul_lo_u32 v5, v1, v5
	v_mul_hi_u32 v10, v1, v4
	v_mul_lo_u32 v4, v1, v4
	v_add_co_u32 v6, vcc_lo, v6, v7
	v_add_co_ci_u32_e32 v7, vcc_lo, 0, v8, vcc_lo
	s_delay_alu instid0(VALU_DEP_2) | instskip(NEXT) | instid1(VALU_DEP_2)
	v_add_co_u32 v5, vcc_lo, v6, v5
	v_add_co_ci_u32_e32 v5, vcc_lo, v7, v9, vcc_lo
	v_add_co_ci_u32_e32 v6, vcc_lo, 0, v10, vcc_lo
	v_ashrrev_i32_e32 v9, 31, v3
	s_delay_alu instid0(VALU_DEP_3) | instskip(NEXT) | instid1(VALU_DEP_3)
	v_add_co_u32 v4, vcc_lo, v5, v4
	v_add_co_ci_u32_e32 v5, vcc_lo, 0, v6, vcc_lo
	s_delay_alu instid0(VALU_DEP_2) | instskip(NEXT) | instid1(VALU_DEP_2)
	v_add_co_u32 v0, vcc_lo, v0, v4
	v_add_co_ci_u32_e32 v1, vcc_lo, v1, v5, vcc_lo
	s_delay_alu instid0(VALU_DEP_2) | instskip(SKIP_1) | instid1(VALU_DEP_3)
	v_mul_hi_u32 v4, s2, v0
	v_mul_lo_u32 v6, s12, v0
	v_mul_lo_u32 v5, s2, v1
	s_delay_alu instid0(VALU_DEP_1) | instskip(SKIP_1) | instid1(VALU_DEP_2)
	v_add_nc_u32_e32 v4, v4, v5
	v_mul_lo_u32 v5, s2, v0
	v_add_nc_u32_e32 v4, v4, v6
	s_delay_alu instid0(VALU_DEP_2) | instskip(NEXT) | instid1(VALU_DEP_2)
	v_mul_hi_u32 v6, v0, v5
	v_mul_lo_u32 v7, v0, v4
	v_mul_hi_u32 v8, v0, v4
	v_mul_hi_u32 v10, v1, v5
	v_mul_lo_u32 v5, v1, v5
	v_mul_hi_u32 v11, v1, v4
	v_mul_lo_u32 v4, v1, v4
	v_add_co_u32 v6, vcc_lo, v6, v7
	v_add_co_ci_u32_e32 v7, vcc_lo, 0, v8, vcc_lo
	s_delay_alu instid0(VALU_DEP_2) | instskip(NEXT) | instid1(VALU_DEP_2)
	v_add_co_u32 v5, vcc_lo, v6, v5
	v_add_co_ci_u32_e32 v5, vcc_lo, v7, v10, vcc_lo
	v_add_co_ci_u32_e32 v6, vcc_lo, 0, v11, vcc_lo
	v_add_co_u32 v7, vcc_lo, v2, v9
	v_add_co_ci_u32_e32 v3, vcc_lo, v3, v9, vcc_lo
	s_delay_alu instid0(VALU_DEP_4) | instskip(NEXT) | instid1(VALU_DEP_4)
	v_add_co_u32 v4, vcc_lo, v5, v4
	v_add_co_ci_u32_e32 v5, vcc_lo, 0, v6, vcc_lo
	s_delay_alu instid0(VALU_DEP_4) | instskip(NEXT) | instid1(VALU_DEP_3)
	v_xor_b32_e32 v7, v7, v9
	v_add_co_u32 v6, vcc_lo, v0, v4
	s_delay_alu instid0(VALU_DEP_3) | instskip(SKIP_1) | instid1(VALU_DEP_3)
	v_add_co_ci_u32_e32 v8, vcc_lo, v1, v5, vcc_lo
	v_xor_b32_e32 v10, v3, v9
	v_mul_hi_u32 v11, v7, v6
	s_delay_alu instid0(VALU_DEP_3) | instskip(NEXT) | instid1(VALU_DEP_3)
	v_mad_u64_u32 v[0:1], null, v7, v8, 0
	v_mad_u64_u32 v[3:4], null, v10, v6, 0
	;; [unrolled: 1-line block ×3, first 2 shown]
	s_delay_alu instid0(VALU_DEP_3) | instskip(NEXT) | instid1(VALU_DEP_4)
	v_add_co_u32 v0, vcc_lo, v11, v0
	v_add_co_ci_u32_e32 v1, vcc_lo, 0, v1, vcc_lo
	s_delay_alu instid0(VALU_DEP_2) | instskip(NEXT) | instid1(VALU_DEP_2)
	v_add_co_u32 v0, vcc_lo, v0, v3
	v_add_co_ci_u32_e32 v0, vcc_lo, v1, v4, vcc_lo
	v_add_co_ci_u32_e32 v1, vcc_lo, 0, v6, vcc_lo
	s_delay_alu instid0(VALU_DEP_2) | instskip(NEXT) | instid1(VALU_DEP_2)
	v_add_co_u32 v3, vcc_lo, v0, v5
	v_add_co_ci_u32_e32 v4, vcc_lo, 0, v1, vcc_lo
	s_delay_alu instid0(VALU_DEP_2) | instskip(SKIP_1) | instid1(VALU_DEP_3)
	v_mul_lo_u32 v5, s11, v3
	v_mad_u64_u32 v[0:1], null, s10, v3, 0
	v_mul_lo_u32 v6, s10, v4
	s_delay_alu instid0(VALU_DEP_2) | instskip(NEXT) | instid1(VALU_DEP_2)
	v_sub_co_u32 v0, vcc_lo, v7, v0
	v_add3_u32 v1, v1, v6, v5
	s_delay_alu instid0(VALU_DEP_1) | instskip(NEXT) | instid1(VALU_DEP_1)
	v_sub_nc_u32_e32 v5, v10, v1
	v_subrev_co_ci_u32_e64 v5, s2, s11, v5, vcc_lo
	v_add_co_u32 v6, s2, v3, 2
	s_delay_alu instid0(VALU_DEP_1) | instskip(SKIP_3) | instid1(VALU_DEP_3)
	v_add_co_ci_u32_e64 v7, s2, 0, v4, s2
	v_sub_co_u32 v8, s2, v0, s10
	v_sub_co_ci_u32_e32 v1, vcc_lo, v10, v1, vcc_lo
	v_subrev_co_ci_u32_e64 v5, s2, 0, v5, s2
	v_cmp_le_u32_e32 vcc_lo, s10, v8
	s_delay_alu instid0(VALU_DEP_3) | instskip(SKIP_1) | instid1(VALU_DEP_4)
	v_cmp_eq_u32_e64 s2, s11, v1
	v_cndmask_b32_e64 v8, 0, -1, vcc_lo
	v_cmp_le_u32_e32 vcc_lo, s11, v5
	v_cndmask_b32_e64 v10, 0, -1, vcc_lo
	v_cmp_le_u32_e32 vcc_lo, s10, v0
	;; [unrolled: 2-line block ×3, first 2 shown]
	v_cndmask_b32_e64 v11, 0, -1, vcc_lo
	v_cmp_eq_u32_e32 vcc_lo, s11, v5
	s_delay_alu instid0(VALU_DEP_2) | instskip(SKIP_3) | instid1(VALU_DEP_3)
	v_cndmask_b32_e64 v0, v11, v0, s2
	v_cndmask_b32_e32 v5, v10, v8, vcc_lo
	v_add_co_u32 v8, vcc_lo, v3, 1
	v_add_co_ci_u32_e32 v10, vcc_lo, 0, v4, vcc_lo
	v_cmp_ne_u32_e32 vcc_lo, 0, v5
	s_delay_alu instid0(VALU_DEP_2) | instskip(NEXT) | instid1(VALU_DEP_4)
	v_cndmask_b32_e32 v1, v10, v7, vcc_lo
	v_cndmask_b32_e32 v5, v8, v6, vcc_lo
	v_cmp_ne_u32_e32 vcc_lo, 0, v0
	v_xor_b32_e32 v0, s8, v9
	s_delay_alu instid0(VALU_DEP_3) | instskip(SKIP_2) | instid1(VALU_DEP_3)
	v_cndmask_b32_e32 v3, v3, v5, vcc_lo
	v_cndmask_b32_e32 v1, v4, v1, vcc_lo
	v_xor_b32_e32 v4, s9, v9
	v_xor_b32_e32 v3, v3, v0
	s_delay_alu instid0(VALU_DEP_2) | instskip(NEXT) | instid1(VALU_DEP_2)
	v_xor_b32_e32 v1, v1, v4
	v_sub_co_u32 v0, vcc_lo, v3, v0
	s_delay_alu instid0(VALU_DEP_2)
	v_sub_co_ci_u32_e32 v1, vcc_lo, v1, v4, vcc_lo
.LBB3_2:
	s_and_not1_saveexec_b32 s2, s6
	s_cbranch_execz .LBB3_4
; %bb.3:
	v_cvt_f32_u32_e32 v0, s3
	s_sub_i32 s6, 0, s3
	s_delay_alu instid0(VALU_DEP_1) | instskip(SKIP_2) | instid1(VALU_DEP_1)
	v_rcp_iflag_f32_e32 v0, v0
	s_waitcnt_depctr 0xfff
	v_mul_f32_e32 v0, 0x4f7ffffe, v0
	v_cvt_u32_f32_e32 v0, v0
	s_delay_alu instid0(VALU_DEP_1) | instskip(NEXT) | instid1(VALU_DEP_1)
	v_mul_lo_u32 v1, s6, v0
	v_mul_hi_u32 v1, v0, v1
	s_delay_alu instid0(VALU_DEP_1) | instskip(NEXT) | instid1(VALU_DEP_1)
	v_add_nc_u32_e32 v0, v0, v1
	v_mul_hi_u32 v0, v2, v0
	s_delay_alu instid0(VALU_DEP_1) | instskip(SKIP_1) | instid1(VALU_DEP_2)
	v_mul_lo_u32 v1, v0, s3
	v_add_nc_u32_e32 v3, 1, v0
	v_sub_nc_u32_e32 v1, v2, v1
	s_delay_alu instid0(VALU_DEP_1) | instskip(SKIP_1) | instid1(VALU_DEP_2)
	v_subrev_nc_u32_e32 v4, s3, v1
	v_cmp_le_u32_e32 vcc_lo, s3, v1
	v_dual_cndmask_b32 v1, v1, v4 :: v_dual_cndmask_b32 v0, v0, v3
	s_delay_alu instid0(VALU_DEP_1) | instskip(NEXT) | instid1(VALU_DEP_2)
	v_cmp_le_u32_e32 vcc_lo, s3, v1
	v_add_nc_u32_e32 v3, 1, v0
	s_delay_alu instid0(VALU_DEP_1)
	v_dual_mov_b32 v1, 0 :: v_dual_cndmask_b32 v0, v0, v3
.LBB3_4:
	s_or_b32 exec_lo, exec_lo, s2
	s_load_b64 s[8:9], s[0:1], 0x18
	s_delay_alu instid0(VALU_DEP_1) | instskip(NEXT) | instid1(VALU_DEP_1)
	v_mad_u64_u32 v[3:4], null, v0, s3, 0
	v_sub_co_u32 v5, null, v2, v3
	s_delay_alu instid0(VALU_DEP_1) | instskip(SKIP_2) | instid1(VALU_DEP_2)
	v_cmp_gt_i32_e64 s2, s5, v5
	s_waitcnt lgkmcnt(0)
	v_cmp_gt_i64_e32 vcc_lo, s[8:9], v[0:1]
	s_and_b32 s2, vcc_lo, s2
	s_delay_alu instid0(SALU_CYCLE_1)
	s_and_saveexec_b32 s3, s2
	s_cbranch_execz .LBB3_398
; %bb.5:
	s_ashr_i32 s6, s4, 31
	s_load_b64 s[2:3], s[0:1], 0x0
	v_mul_lo_u32 v2, v1, s4
	v_mad_u64_u32 v[6:7], null, v0, s4, 0
	v_mul_lo_u32 v3, v0, s6
	s_delay_alu instid0(VALU_DEP_1) | instskip(SKIP_1) | instid1(VALU_DEP_2)
	v_add3_u32 v7, v7, v3, v2
	v_dual_mov_b32 v3, 0 :: v_dual_lshlrev_b32 v2, 5, v5
	v_lshlrev_b64 v[6:7], 1, v[6:7]
	s_delay_alu instid0(VALU_DEP_2) | instskip(SKIP_1) | instid1(VALU_DEP_2)
	v_lshlrev_b64 v[3:4], 1, v[2:3]
	s_waitcnt lgkmcnt(0)
	v_add_co_u32 v6, vcc_lo, s2, v6
	s_delay_alu instid0(VALU_DEP_3) | instskip(SKIP_1) | instid1(VALU_DEP_2)
	v_add_co_ci_u32_e32 v7, vcc_lo, s3, v7, vcc_lo
	s_mov_b32 s2, exec_lo
	v_add_co_u32 v3, vcc_lo, v6, v3
	s_delay_alu instid0(VALU_DEP_2)
	v_add_co_ci_u32_e32 v4, vcc_lo, v7, v4, vcc_lo
	s_clause 0x3
	global_load_b128 v[6:9], v[3:4], off
	global_load_b128 v[27:30], v[3:4], off offset:16
	global_load_b128 v[53:56], v[3:4], off offset:32
	;; [unrolled: 1-line block ×3, first 2 shown]
	s_waitcnt vmcnt(3)
	v_lshrrev_b32_e32 v3, 16, v6
	v_cvt_f32_f16_e32 v12, v6
	v_lshrrev_b32_e32 v4, 16, v7
	v_cvt_f32_f16_e32 v11, v7
	v_cvt_f32_f16_e32 v15, v8
	;; [unrolled: 1-line block ×3, first 2 shown]
	v_lshrrev_b32_e32 v3, 16, v8
	v_cvt_f32_f16_e32 v14, v4
	v_lshrrev_b32_e32 v6, 16, v9
	v_cvt_f32_f16_e32 v21, v9
	v_max3_f32 v4, |v12|, 0, |v10|
	v_cvt_f32_f16_e32 v19, v3
	s_waitcnt vmcnt(2)
	v_cvt_f32_f16_e32 v33, v28
	v_cvt_f32_f16_e32 v25, v6
	v_lshrrev_b32_e32 v6, 16, v28
	v_max3_f32 v3, v4, |v11|, |v14|
	v_lshrrev_b32_e32 v4, 16, v27
	v_cvt_f32_f16_e32 v27, v27
	v_cvt_f32_f16_e32 v39, v29
	;; [unrolled: 1-line block ×3, first 2 shown]
	v_max3_f32 v3, v3, |v15|, |v19|
	v_cvt_f32_f16_e32 v31, v4
	v_lshrrev_b32_e32 v4, 16, v29
	v_lshrrev_b32_e32 v6, 16, v30
	v_cvt_f32_f16_e32 v45, v30
	v_max3_f32 v3, v3, |v21|, |v25|
	s_waitcnt vmcnt(1)
	v_cvt_f32_f16_e32 v51, v53
	v_cvt_f32_f16_e32 v41, v4
	v_lshrrev_b32_e32 v4, 16, v53
	v_cvt_f32_f16_e32 v47, v6
	v_max3_f32 v3, v3, |v27|, |v31|
	v_lshrrev_b32_e32 v6, 16, v54
	v_cvt_f32_f16_e32 v52, v54
	v_cvt_f32_f16_e32 v53, v4
	v_lshrrev_b32_e32 v4, 16, v55
	v_max3_f32 v3, v3, |v33|, |v36|
	v_cvt_f32_f16_e32 v50, v6
	v_cvt_f32_f16_e32 v46, v55
	v_lshrrev_b32_e32 v6, 16, v56
	v_cvt_f32_f16_e32 v44, v4
	v_max3_f32 v3, v3, |v39|, |v41|
	v_cvt_f32_f16_e32 v40, v56
	s_waitcnt vmcnt(0)
	v_lshrrev_b32_e32 v4, 16, v57
	v_cvt_f32_f16_e32 v38, v6
	v_cvt_f32_f16_e32 v34, v57
	v_max3_f32 v3, v3, |v45|, |v47|
	v_lshrrev_b32_e32 v6, 16, v58
	v_cvt_f32_f16_e32 v32, v4
	v_cvt_f32_f16_e32 v28, v58
	v_lshrrev_b32_e32 v4, 16, v59
	v_max3_f32 v3, v3, |v51|, |v53|
	v_cvt_f32_f16_e32 v26, v6
	v_cvt_f32_f16_e32 v24, v59
	v_lshrrev_b32_e32 v6, 16, v60
	v_cvt_f32_f16_e32 v20, v4
	v_max3_f32 v3, v3, |v52|, |v50|
	v_cvt_f32_f16_e32 v18, v60
	s_delay_alu instid0(VALU_DEP_2) | instskip(NEXT) | instid1(VALU_DEP_1)
	v_max3_f32 v3, v3, |v46|, |v44|
	v_max3_f32 v3, v3, |v40|, |v38|
	s_delay_alu instid0(VALU_DEP_1) | instskip(NEXT) | instid1(VALU_DEP_1)
	v_max3_f32 v3, v3, |v34|, |v32|
	v_max3_f32 v4, v3, |v28|, |v26|
	v_cvt_f32_f16_e32 v3, v6
	s_delay_alu instid0(VALU_DEP_2) | instskip(NEXT) | instid1(VALU_DEP_1)
	v_max3_f32 v4, v4, |v24|, |v20|
	v_max3_f32 v4, v4, |v18|, |v3|
	s_delay_alu instid0(VALU_DEP_1) | instskip(NEXT) | instid1(VALU_DEP_1)
	v_mul_f32_e32 v6, 0x3e800000, v4
	v_and_b32_e32 v4, 0x7f800000, v6
	s_delay_alu instid0(VALU_DEP_1) | instskip(SKIP_1) | instid1(VALU_DEP_2)
	v_div_scale_f32 v7, null, v4, v4, 1.0
	v_div_scale_f32 v13, vcc_lo, 1.0, v4, 1.0
	v_rcp_f32_e32 v8, v7
	s_waitcnt_depctr 0xfff
	v_fma_f32 v9, -v7, v8, 1.0
	s_delay_alu instid0(VALU_DEP_1) | instskip(NEXT) | instid1(VALU_DEP_1)
	v_fmac_f32_e32 v8, v9, v8
	v_mul_f32_e32 v9, v13, v8
	s_delay_alu instid0(VALU_DEP_1) | instskip(NEXT) | instid1(VALU_DEP_1)
	v_fma_f32 v16, -v7, v9, v13
	v_fmac_f32_e32 v9, v16, v8
	s_delay_alu instid0(VALU_DEP_1) | instskip(NEXT) | instid1(VALU_DEP_1)
	v_fma_f32 v7, -v7, v9, v13
	v_div_fmas_f32 v7, v7, v8, v9
	v_cmp_neq_f32_e32 vcc_lo, 0, v4
	v_dual_mov_b32 v9, 7 :: v_dual_mov_b32 v8, 7
	s_delay_alu instid0(VALU_DEP_3) | instskip(NEXT) | instid1(VALU_DEP_1)
	v_div_fixup_f32 v7, v7, v4, 1.0
	v_cndmask_b32_e32 v4, 0, v7, vcc_lo
	s_delay_alu instid0(VALU_DEP_1) | instskip(NEXT) | instid1(VALU_DEP_1)
	v_mul_f32_e32 v7, v4, v12
	v_cmpx_nle_f32_e64 0x40a00000, |v7|
	s_cbranch_execz .LBB3_17
; %bb.6:
	v_mov_b32_e32 v8, 6
	s_mov_b32 s3, exec_lo
	v_cmpx_nle_f32_e64 0x40600000, |v7|
	s_cbranch_execz .LBB3_16
; %bb.7:
	v_mov_b32_e32 v8, 5
	s_mov_b32 s6, exec_lo
	;; [unrolled: 5-line block ×5, first 2 shown]
	v_cmpx_nle_f32_e64 0x3f400000, |v7|
; %bb.11:
	v_cmp_le_f32_e64 s12, 0x3e800000, |v7|
	s_delay_alu instid0(VALU_DEP_1)
	v_cndmask_b32_e64 v8, 0, 1, s12
; %bb.12:
	s_or_b32 exec_lo, exec_lo, s11
.LBB3_13:
	s_delay_alu instid0(SALU_CYCLE_1)
	s_or_b32 exec_lo, exec_lo, s10
.LBB3_14:
	s_delay_alu instid0(SALU_CYCLE_1)
	s_or_b32 exec_lo, exec_lo, s9
.LBB3_15:
	s_delay_alu instid0(SALU_CYCLE_1)
	s_or_b32 exec_lo, exec_lo, s6
.LBB3_16:
	s_delay_alu instid0(SALU_CYCLE_1)
	s_or_b32 exec_lo, exec_lo, s3
.LBB3_17:
	s_delay_alu instid0(SALU_CYCLE_1) | instskip(SKIP_2) | instid1(VALU_DEP_1)
	s_or_b32 exec_lo, exec_lo, s2
	v_mul_f32_e32 v10, v4, v10
	s_mov_b32 s2, exec_lo
	v_cmpx_nle_f32_e64 0x40a00000, |v10|
	s_cbranch_execz .LBB3_29
; %bb.18:
	v_mov_b32_e32 v9, 6
	s_mov_b32 s3, exec_lo
	v_cmpx_nle_f32_e64 0x40600000, |v10|
	s_cbranch_execz .LBB3_28
; %bb.19:
	v_mov_b32_e32 v9, 5
	;; [unrolled: 5-line block ×5, first 2 shown]
	s_mov_b32 s11, exec_lo
	v_cmpx_nle_f32_e64 0x3f400000, |v10|
; %bb.23:
	v_cmp_le_f32_e64 s12, 0x3e800000, |v10|
	s_delay_alu instid0(VALU_DEP_1)
	v_cndmask_b32_e64 v9, 0, 1, s12
; %bb.24:
	s_or_b32 exec_lo, exec_lo, s11
.LBB3_25:
	s_delay_alu instid0(SALU_CYCLE_1)
	s_or_b32 exec_lo, exec_lo, s10
.LBB3_26:
	s_delay_alu instid0(SALU_CYCLE_1)
	s_or_b32 exec_lo, exec_lo, s9
.LBB3_27:
	s_delay_alu instid0(SALU_CYCLE_1)
	s_or_b32 exec_lo, exec_lo, s6
.LBB3_28:
	s_delay_alu instid0(SALU_CYCLE_1)
	s_or_b32 exec_lo, exec_lo, s3
.LBB3_29:
	s_delay_alu instid0(SALU_CYCLE_1) | instskip(SKIP_3) | instid1(VALU_DEP_2)
	s_or_b32 exec_lo, exec_lo, s2
	v_dual_mul_f32 v12, v4, v11 :: v_dual_mov_b32 v11, 7
	v_mov_b32_e32 v13, 7
	s_mov_b32 s2, exec_lo
	v_cmpx_nle_f32_e64 0x40a00000, |v12|
	s_cbranch_execz .LBB3_41
; %bb.30:
	v_mov_b32_e32 v13, 6
	s_mov_b32 s3, exec_lo
	v_cmpx_nle_f32_e64 0x40600000, |v12|
	s_cbranch_execz .LBB3_40
; %bb.31:
	;; [unrolled: 5-line block ×5, first 2 shown]
	v_mov_b32_e32 v13, 2
	s_mov_b32 s11, exec_lo
	v_cmpx_nle_f32_e64 0x3f400000, |v12|
; %bb.35:
	v_cmp_le_f32_e64 s12, 0x3e800000, |v12|
	s_delay_alu instid0(VALU_DEP_1)
	v_cndmask_b32_e64 v13, 0, 1, s12
; %bb.36:
	s_or_b32 exec_lo, exec_lo, s11
.LBB3_37:
	s_delay_alu instid0(SALU_CYCLE_1)
	s_or_b32 exec_lo, exec_lo, s10
.LBB3_38:
	s_delay_alu instid0(SALU_CYCLE_1)
	s_or_b32 exec_lo, exec_lo, s9
.LBB3_39:
	s_delay_alu instid0(SALU_CYCLE_1)
	s_or_b32 exec_lo, exec_lo, s6
.LBB3_40:
	s_delay_alu instid0(SALU_CYCLE_1)
	s_or_b32 exec_lo, exec_lo, s3
.LBB3_41:
	s_delay_alu instid0(SALU_CYCLE_1) | instskip(SKIP_2) | instid1(VALU_DEP_1)
	s_or_b32 exec_lo, exec_lo, s2
	v_mul_f32_e32 v14, v4, v14
	s_mov_b32 s2, exec_lo
	v_cmpx_nle_f32_e64 0x40a00000, |v14|
	s_cbranch_execz .LBB3_53
; %bb.42:
	v_mov_b32_e32 v11, 6
	s_mov_b32 s3, exec_lo
	v_cmpx_nle_f32_e64 0x40600000, |v14|
	s_cbranch_execz .LBB3_52
; %bb.43:
	v_mov_b32_e32 v11, 5
	;; [unrolled: 5-line block ×5, first 2 shown]
	s_mov_b32 s11, exec_lo
	v_cmpx_nle_f32_e64 0x3f400000, |v14|
; %bb.47:
	v_cmp_le_f32_e64 s12, 0x3e800000, |v14|
	s_delay_alu instid0(VALU_DEP_1)
	v_cndmask_b32_e64 v11, 0, 1, s12
; %bb.48:
	s_or_b32 exec_lo, exec_lo, s11
.LBB3_49:
	s_delay_alu instid0(SALU_CYCLE_1)
	s_or_b32 exec_lo, exec_lo, s10
.LBB3_50:
	s_delay_alu instid0(SALU_CYCLE_1)
	s_or_b32 exec_lo, exec_lo, s9
.LBB3_51:
	s_delay_alu instid0(SALU_CYCLE_1)
	s_or_b32 exec_lo, exec_lo, s6
.LBB3_52:
	s_delay_alu instid0(SALU_CYCLE_1)
	s_or_b32 exec_lo, exec_lo, s3
.LBB3_53:
	s_delay_alu instid0(SALU_CYCLE_1) | instskip(SKIP_3) | instid1(VALU_DEP_2)
	s_or_b32 exec_lo, exec_lo, s2
	v_dual_mul_f32 v17, v4, v15 :: v_dual_mov_b32 v16, 7
	v_mov_b32_e32 v15, 7
	s_mov_b32 s2, exec_lo
	v_cmpx_nle_f32_e64 0x40a00000, |v17|
	s_cbranch_execz .LBB3_65
; %bb.54:
	v_mov_b32_e32 v16, 6
	s_mov_b32 s3, exec_lo
	v_cmpx_nle_f32_e64 0x40600000, |v17|
	s_cbranch_execz .LBB3_64
; %bb.55:
	;; [unrolled: 5-line block ×5, first 2 shown]
	v_mov_b32_e32 v16, 2
	s_mov_b32 s11, exec_lo
	v_cmpx_nle_f32_e64 0x3f400000, |v17|
; %bb.59:
	v_cmp_le_f32_e64 s12, 0x3e800000, |v17|
	s_delay_alu instid0(VALU_DEP_1)
	v_cndmask_b32_e64 v16, 0, 1, s12
; %bb.60:
	s_or_b32 exec_lo, exec_lo, s11
.LBB3_61:
	s_delay_alu instid0(SALU_CYCLE_1)
	s_or_b32 exec_lo, exec_lo, s10
.LBB3_62:
	s_delay_alu instid0(SALU_CYCLE_1)
	s_or_b32 exec_lo, exec_lo, s9
.LBB3_63:
	s_delay_alu instid0(SALU_CYCLE_1)
	s_or_b32 exec_lo, exec_lo, s6
.LBB3_64:
	s_delay_alu instid0(SALU_CYCLE_1)
	s_or_b32 exec_lo, exec_lo, s3
.LBB3_65:
	s_delay_alu instid0(SALU_CYCLE_1) | instskip(SKIP_2) | instid1(VALU_DEP_1)
	s_or_b32 exec_lo, exec_lo, s2
	v_mul_f32_e32 v19, v4, v19
	s_mov_b32 s2, exec_lo
	v_cmpx_nle_f32_e64 0x40a00000, |v19|
	s_cbranch_execz .LBB3_77
; %bb.66:
	v_mov_b32_e32 v15, 6
	s_mov_b32 s3, exec_lo
	v_cmpx_nle_f32_e64 0x40600000, |v19|
	s_cbranch_execz .LBB3_76
; %bb.67:
	v_mov_b32_e32 v15, 5
	;; [unrolled: 5-line block ×5, first 2 shown]
	s_mov_b32 s11, exec_lo
	v_cmpx_nle_f32_e64 0x3f400000, |v19|
; %bb.71:
	v_cmp_le_f32_e64 s12, 0x3e800000, |v19|
	s_delay_alu instid0(VALU_DEP_1)
	v_cndmask_b32_e64 v15, 0, 1, s12
; %bb.72:
	s_or_b32 exec_lo, exec_lo, s11
.LBB3_73:
	s_delay_alu instid0(SALU_CYCLE_1)
	s_or_b32 exec_lo, exec_lo, s10
.LBB3_74:
	s_delay_alu instid0(SALU_CYCLE_1)
	s_or_b32 exec_lo, exec_lo, s9
.LBB3_75:
	s_delay_alu instid0(SALU_CYCLE_1)
	s_or_b32 exec_lo, exec_lo, s6
.LBB3_76:
	s_delay_alu instid0(SALU_CYCLE_1)
	s_or_b32 exec_lo, exec_lo, s3
.LBB3_77:
	s_delay_alu instid0(SALU_CYCLE_1) | instskip(SKIP_3) | instid1(VALU_DEP_2)
	s_or_b32 exec_lo, exec_lo, s2
	v_dual_mul_f32 v23, v4, v21 :: v_dual_mov_b32 v22, 7
	v_mov_b32_e32 v21, 7
	s_mov_b32 s2, exec_lo
	v_cmpx_nle_f32_e64 0x40a00000, |v23|
	s_cbranch_execz .LBB3_89
; %bb.78:
	v_mov_b32_e32 v22, 6
	s_mov_b32 s3, exec_lo
	v_cmpx_nle_f32_e64 0x40600000, |v23|
	s_cbranch_execz .LBB3_88
; %bb.79:
	v_mov_b32_e32 v22, 5
	s_mov_b32 s6, exec_lo
	v_cmpx_nle_f32_e64 0x40200000, |v23|
	s_cbranch_execz .LBB3_87
; %bb.80:
	v_mov_b32_e32 v22, 4
	s_mov_b32 s9, exec_lo
	v_cmpx_nle_f32_e64 0x3fe00000, |v23|
	s_cbranch_execz .LBB3_86
; %bb.81:
	v_mov_b32_e32 v22, 3
	s_mov_b32 s10, exec_lo
	v_cmpx_nle_f32_e64 0x3fa00000, |v23|
	s_cbranch_execz .LBB3_85
; %bb.82:
	v_mov_b32_e32 v22, 2
	s_mov_b32 s11, exec_lo
	v_cmpx_nle_f32_e64 0x3f400000, |v23|
; %bb.83:
	v_cmp_le_f32_e64 s12, 0x3e800000, |v23|
	s_delay_alu instid0(VALU_DEP_1)
	v_cndmask_b32_e64 v22, 0, 1, s12
; %bb.84:
	s_or_b32 exec_lo, exec_lo, s11
.LBB3_85:
	s_delay_alu instid0(SALU_CYCLE_1)
	s_or_b32 exec_lo, exec_lo, s10
.LBB3_86:
	s_delay_alu instid0(SALU_CYCLE_1)
	s_or_b32 exec_lo, exec_lo, s9
.LBB3_87:
	s_delay_alu instid0(SALU_CYCLE_1)
	s_or_b32 exec_lo, exec_lo, s6
.LBB3_88:
	s_delay_alu instid0(SALU_CYCLE_1)
	s_or_b32 exec_lo, exec_lo, s3
.LBB3_89:
	s_delay_alu instid0(SALU_CYCLE_1) | instskip(SKIP_2) | instid1(VALU_DEP_1)
	s_or_b32 exec_lo, exec_lo, s2
	v_mul_f32_e32 v25, v4, v25
	s_mov_b32 s2, exec_lo
	v_cmpx_nle_f32_e64 0x40a00000, |v25|
	s_cbranch_execz .LBB3_101
; %bb.90:
	v_mov_b32_e32 v21, 6
	s_mov_b32 s3, exec_lo
	v_cmpx_nle_f32_e64 0x40600000, |v25|
	s_cbranch_execz .LBB3_100
; %bb.91:
	v_mov_b32_e32 v21, 5
	;; [unrolled: 5-line block ×5, first 2 shown]
	s_mov_b32 s11, exec_lo
	v_cmpx_nle_f32_e64 0x3f400000, |v25|
; %bb.95:
	v_cmp_le_f32_e64 s12, 0x3e800000, |v25|
	s_delay_alu instid0(VALU_DEP_1)
	v_cndmask_b32_e64 v21, 0, 1, s12
; %bb.96:
	s_or_b32 exec_lo, exec_lo, s11
.LBB3_97:
	s_delay_alu instid0(SALU_CYCLE_1)
	s_or_b32 exec_lo, exec_lo, s10
.LBB3_98:
	s_delay_alu instid0(SALU_CYCLE_1)
	s_or_b32 exec_lo, exec_lo, s9
.LBB3_99:
	s_delay_alu instid0(SALU_CYCLE_1)
	s_or_b32 exec_lo, exec_lo, s6
.LBB3_100:
	s_delay_alu instid0(SALU_CYCLE_1)
	s_or_b32 exec_lo, exec_lo, s3
.LBB3_101:
	s_delay_alu instid0(SALU_CYCLE_1) | instskip(SKIP_3) | instid1(VALU_DEP_2)
	s_or_b32 exec_lo, exec_lo, s2
	v_dual_mul_f32 v29, v4, v27 :: v_dual_mov_b32 v30, 7
	v_mov_b32_e32 v27, 7
	s_mov_b32 s2, exec_lo
	v_cmpx_nle_f32_e64 0x40a00000, |v29|
	s_cbranch_execz .LBB3_113
; %bb.102:
	v_mov_b32_e32 v30, 6
	s_mov_b32 s3, exec_lo
	v_cmpx_nle_f32_e64 0x40600000, |v29|
	s_cbranch_execz .LBB3_112
; %bb.103:
	;; [unrolled: 5-line block ×5, first 2 shown]
	v_mov_b32_e32 v30, 2
	s_mov_b32 s11, exec_lo
	v_cmpx_nle_f32_e64 0x3f400000, |v29|
; %bb.107:
	v_cmp_le_f32_e64 s12, 0x3e800000, |v29|
	s_delay_alu instid0(VALU_DEP_1)
	v_cndmask_b32_e64 v30, 0, 1, s12
; %bb.108:
	s_or_b32 exec_lo, exec_lo, s11
.LBB3_109:
	s_delay_alu instid0(SALU_CYCLE_1)
	s_or_b32 exec_lo, exec_lo, s10
.LBB3_110:
	s_delay_alu instid0(SALU_CYCLE_1)
	s_or_b32 exec_lo, exec_lo, s9
.LBB3_111:
	s_delay_alu instid0(SALU_CYCLE_1)
	s_or_b32 exec_lo, exec_lo, s6
.LBB3_112:
	s_delay_alu instid0(SALU_CYCLE_1)
	s_or_b32 exec_lo, exec_lo, s3
.LBB3_113:
	s_delay_alu instid0(SALU_CYCLE_1) | instskip(SKIP_2) | instid1(VALU_DEP_1)
	s_or_b32 exec_lo, exec_lo, s2
	v_mul_f32_e32 v31, v4, v31
	s_mov_b32 s2, exec_lo
	v_cmpx_nle_f32_e64 0x40a00000, |v31|
	s_cbranch_execz .LBB3_125
; %bb.114:
	v_mov_b32_e32 v27, 6
	s_mov_b32 s3, exec_lo
	v_cmpx_nle_f32_e64 0x40600000, |v31|
	s_cbranch_execz .LBB3_124
; %bb.115:
	v_mov_b32_e32 v27, 5
	;; [unrolled: 5-line block ×5, first 2 shown]
	s_mov_b32 s11, exec_lo
	v_cmpx_nle_f32_e64 0x3f400000, |v31|
; %bb.119:
	v_cmp_le_f32_e64 s12, 0x3e800000, |v31|
	s_delay_alu instid0(VALU_DEP_1)
	v_cndmask_b32_e64 v27, 0, 1, s12
; %bb.120:
	s_or_b32 exec_lo, exec_lo, s11
.LBB3_121:
	s_delay_alu instid0(SALU_CYCLE_1)
	s_or_b32 exec_lo, exec_lo, s10
.LBB3_122:
	s_delay_alu instid0(SALU_CYCLE_1)
	s_or_b32 exec_lo, exec_lo, s9
.LBB3_123:
	s_delay_alu instid0(SALU_CYCLE_1)
	s_or_b32 exec_lo, exec_lo, s6
.LBB3_124:
	s_delay_alu instid0(SALU_CYCLE_1)
	s_or_b32 exec_lo, exec_lo, s3
.LBB3_125:
	s_delay_alu instid0(SALU_CYCLE_1) | instskip(SKIP_4) | instid1(VALU_DEP_3)
	s_or_b32 exec_lo, exec_lo, s2
	v_mul_f32_e32 v35, v4, v33
	v_mov_b32_e32 v33, 7
	v_mov_b32_e32 v37, 7
	s_mov_b32 s2, exec_lo
	v_cmpx_nle_f32_e64 0x40a00000, |v35|
	s_cbranch_execz .LBB3_137
; %bb.126:
	v_mov_b32_e32 v37, 6
	s_mov_b32 s3, exec_lo
	v_cmpx_nle_f32_e64 0x40600000, |v35|
	s_cbranch_execz .LBB3_136
; %bb.127:
	;; [unrolled: 5-line block ×5, first 2 shown]
	v_mov_b32_e32 v37, 2
	s_mov_b32 s11, exec_lo
	v_cmpx_nle_f32_e64 0x3f400000, |v35|
; %bb.131:
	v_cmp_le_f32_e64 s12, 0x3e800000, |v35|
	s_delay_alu instid0(VALU_DEP_1)
	v_cndmask_b32_e64 v37, 0, 1, s12
; %bb.132:
	s_or_b32 exec_lo, exec_lo, s11
.LBB3_133:
	s_delay_alu instid0(SALU_CYCLE_1)
	s_or_b32 exec_lo, exec_lo, s10
.LBB3_134:
	s_delay_alu instid0(SALU_CYCLE_1)
	s_or_b32 exec_lo, exec_lo, s9
.LBB3_135:
	s_delay_alu instid0(SALU_CYCLE_1)
	s_or_b32 exec_lo, exec_lo, s6
.LBB3_136:
	s_delay_alu instid0(SALU_CYCLE_1)
	s_or_b32 exec_lo, exec_lo, s3
.LBB3_137:
	s_delay_alu instid0(SALU_CYCLE_1) | instskip(SKIP_2) | instid1(VALU_DEP_1)
	s_or_b32 exec_lo, exec_lo, s2
	v_mul_f32_e32 v36, v4, v36
	s_mov_b32 s2, exec_lo
	v_cmpx_nle_f32_e64 0x40a00000, |v36|
	s_cbranch_execz .LBB3_149
; %bb.138:
	v_mov_b32_e32 v33, 6
	s_mov_b32 s3, exec_lo
	v_cmpx_nle_f32_e64 0x40600000, |v36|
	s_cbranch_execz .LBB3_148
; %bb.139:
	v_mov_b32_e32 v33, 5
	;; [unrolled: 5-line block ×5, first 2 shown]
	s_mov_b32 s11, exec_lo
	v_cmpx_nle_f32_e64 0x3f400000, |v36|
; %bb.143:
	v_cmp_le_f32_e64 s12, 0x3e800000, |v36|
	s_delay_alu instid0(VALU_DEP_1)
	v_cndmask_b32_e64 v33, 0, 1, s12
; %bb.144:
	s_or_b32 exec_lo, exec_lo, s11
.LBB3_145:
	s_delay_alu instid0(SALU_CYCLE_1)
	s_or_b32 exec_lo, exec_lo, s10
.LBB3_146:
	s_delay_alu instid0(SALU_CYCLE_1)
	s_or_b32 exec_lo, exec_lo, s9
.LBB3_147:
	s_delay_alu instid0(SALU_CYCLE_1)
	s_or_b32 exec_lo, exec_lo, s6
.LBB3_148:
	s_delay_alu instid0(SALU_CYCLE_1)
	s_or_b32 exec_lo, exec_lo, s3
.LBB3_149:
	s_delay_alu instid0(SALU_CYCLE_1) | instskip(SKIP_3) | instid1(VALU_DEP_2)
	s_or_b32 exec_lo, exec_lo, s2
	v_dual_mul_f32 v43, v4, v39 :: v_dual_mov_b32 v42, 7
	v_mov_b32_e32 v39, 7
	s_mov_b32 s2, exec_lo
	v_cmpx_nle_f32_e64 0x40a00000, |v43|
	s_cbranch_execz .LBB3_161
; %bb.150:
	v_mov_b32_e32 v42, 6
	s_mov_b32 s3, exec_lo
	v_cmpx_nle_f32_e64 0x40600000, |v43|
	s_cbranch_execz .LBB3_160
; %bb.151:
	;; [unrolled: 5-line block ×5, first 2 shown]
	v_mov_b32_e32 v42, 2
	s_mov_b32 s11, exec_lo
	v_cmpx_nle_f32_e64 0x3f400000, |v43|
; %bb.155:
	v_cmp_le_f32_e64 s12, 0x3e800000, |v43|
	s_delay_alu instid0(VALU_DEP_1)
	v_cndmask_b32_e64 v42, 0, 1, s12
; %bb.156:
	s_or_b32 exec_lo, exec_lo, s11
.LBB3_157:
	s_delay_alu instid0(SALU_CYCLE_1)
	s_or_b32 exec_lo, exec_lo, s10
.LBB3_158:
	s_delay_alu instid0(SALU_CYCLE_1)
	s_or_b32 exec_lo, exec_lo, s9
.LBB3_159:
	s_delay_alu instid0(SALU_CYCLE_1)
	s_or_b32 exec_lo, exec_lo, s6
.LBB3_160:
	s_delay_alu instid0(SALU_CYCLE_1)
	s_or_b32 exec_lo, exec_lo, s3
.LBB3_161:
	s_delay_alu instid0(SALU_CYCLE_1) | instskip(SKIP_2) | instid1(VALU_DEP_1)
	s_or_b32 exec_lo, exec_lo, s2
	v_mul_f32_e32 v41, v4, v41
	s_mov_b32 s2, exec_lo
	v_cmpx_nle_f32_e64 0x40a00000, |v41|
	s_cbranch_execz .LBB3_173
; %bb.162:
	v_mov_b32_e32 v39, 6
	s_mov_b32 s3, exec_lo
	v_cmpx_nle_f32_e64 0x40600000, |v41|
	s_cbranch_execz .LBB3_172
; %bb.163:
	v_mov_b32_e32 v39, 5
	s_mov_b32 s6, exec_lo
	v_cmpx_nle_f32_e64 0x40200000, |v41|
	s_cbranch_execz .LBB3_171
; %bb.164:
	v_mov_b32_e32 v39, 4
	s_mov_b32 s9, exec_lo
	v_cmpx_nle_f32_e64 0x3fe00000, |v41|
	s_cbranch_execz .LBB3_170
; %bb.165:
	v_mov_b32_e32 v39, 3
	s_mov_b32 s10, exec_lo
	v_cmpx_nle_f32_e64 0x3fa00000, |v41|
	s_cbranch_execz .LBB3_169
; %bb.166:
	v_mov_b32_e32 v39, 2
	s_mov_b32 s11, exec_lo
	v_cmpx_nle_f32_e64 0x3f400000, |v41|
; %bb.167:
	v_cmp_le_f32_e64 s12, 0x3e800000, |v41|
	s_delay_alu instid0(VALU_DEP_1)
	v_cndmask_b32_e64 v39, 0, 1, s12
; %bb.168:
	s_or_b32 exec_lo, exec_lo, s11
.LBB3_169:
	s_delay_alu instid0(SALU_CYCLE_1)
	s_or_b32 exec_lo, exec_lo, s10
.LBB3_170:
	s_delay_alu instid0(SALU_CYCLE_1)
	s_or_b32 exec_lo, exec_lo, s9
.LBB3_171:
	s_delay_alu instid0(SALU_CYCLE_1)
	s_or_b32 exec_lo, exec_lo, s6
.LBB3_172:
	s_delay_alu instid0(SALU_CYCLE_1)
	s_or_b32 exec_lo, exec_lo, s3
.LBB3_173:
	s_delay_alu instid0(SALU_CYCLE_1) | instskip(SKIP_3) | instid1(VALU_DEP_2)
	s_or_b32 exec_lo, exec_lo, s2
	v_dual_mul_f32 v49, v4, v45 :: v_dual_mov_b32 v48, 7
	v_mov_b32_e32 v45, 7
	s_mov_b32 s2, exec_lo
	v_cmpx_nle_f32_e64 0x40a00000, |v49|
	s_cbranch_execz .LBB3_185
; %bb.174:
	v_mov_b32_e32 v48, 6
	s_mov_b32 s3, exec_lo
	v_cmpx_nle_f32_e64 0x40600000, |v49|
	s_cbranch_execz .LBB3_184
; %bb.175:
	;; [unrolled: 5-line block ×5, first 2 shown]
	v_mov_b32_e32 v48, 2
	s_mov_b32 s11, exec_lo
	v_cmpx_nle_f32_e64 0x3f400000, |v49|
; %bb.179:
	v_cmp_le_f32_e64 s12, 0x3e800000, |v49|
	s_delay_alu instid0(VALU_DEP_1)
	v_cndmask_b32_e64 v48, 0, 1, s12
; %bb.180:
	s_or_b32 exec_lo, exec_lo, s11
.LBB3_181:
	s_delay_alu instid0(SALU_CYCLE_1)
	s_or_b32 exec_lo, exec_lo, s10
.LBB3_182:
	s_delay_alu instid0(SALU_CYCLE_1)
	s_or_b32 exec_lo, exec_lo, s9
.LBB3_183:
	s_delay_alu instid0(SALU_CYCLE_1)
	s_or_b32 exec_lo, exec_lo, s6
.LBB3_184:
	s_delay_alu instid0(SALU_CYCLE_1)
	s_or_b32 exec_lo, exec_lo, s3
.LBB3_185:
	s_delay_alu instid0(SALU_CYCLE_1) | instskip(SKIP_2) | instid1(VALU_DEP_1)
	s_or_b32 exec_lo, exec_lo, s2
	v_mul_f32_e32 v47, v4, v47
	s_mov_b32 s2, exec_lo
	v_cmpx_nle_f32_e64 0x40a00000, |v47|
	s_cbranch_execz .LBB3_197
; %bb.186:
	v_mov_b32_e32 v45, 6
	s_mov_b32 s3, exec_lo
	v_cmpx_nle_f32_e64 0x40600000, |v47|
	s_cbranch_execz .LBB3_196
; %bb.187:
	v_mov_b32_e32 v45, 5
	;; [unrolled: 5-line block ×5, first 2 shown]
	s_mov_b32 s11, exec_lo
	v_cmpx_nle_f32_e64 0x3f400000, |v47|
; %bb.191:
	v_cmp_le_f32_e64 s12, 0x3e800000, |v47|
	s_delay_alu instid0(VALU_DEP_1)
	v_cndmask_b32_e64 v45, 0, 1, s12
; %bb.192:
	s_or_b32 exec_lo, exec_lo, s11
.LBB3_193:
	s_delay_alu instid0(SALU_CYCLE_1)
	s_or_b32 exec_lo, exec_lo, s10
.LBB3_194:
	s_delay_alu instid0(SALU_CYCLE_1)
	s_or_b32 exec_lo, exec_lo, s9
.LBB3_195:
	s_delay_alu instid0(SALU_CYCLE_1)
	s_or_b32 exec_lo, exec_lo, s6
.LBB3_196:
	s_delay_alu instid0(SALU_CYCLE_1)
	s_or_b32 exec_lo, exec_lo, s3
.LBB3_197:
	s_delay_alu instid0(SALU_CYCLE_1) | instskip(SKIP_3) | instid1(VALU_DEP_2)
	s_or_b32 exec_lo, exec_lo, s2
	v_dual_mul_f32 v55, v4, v51 :: v_dual_mov_b32 v54, 7
	v_mov_b32_e32 v51, 7
	s_mov_b32 s2, exec_lo
	v_cmpx_nle_f32_e64 0x40a00000, |v55|
	s_cbranch_execz .LBB3_209
; %bb.198:
	v_mov_b32_e32 v54, 6
	s_mov_b32 s3, exec_lo
	v_cmpx_nle_f32_e64 0x40600000, |v55|
	s_cbranch_execz .LBB3_208
; %bb.199:
	;; [unrolled: 5-line block ×5, first 2 shown]
	v_mov_b32_e32 v54, 2
	s_mov_b32 s11, exec_lo
	v_cmpx_nle_f32_e64 0x3f400000, |v55|
; %bb.203:
	v_cmp_le_f32_e64 s12, 0x3e800000, |v55|
	s_delay_alu instid0(VALU_DEP_1)
	v_cndmask_b32_e64 v54, 0, 1, s12
; %bb.204:
	s_or_b32 exec_lo, exec_lo, s11
.LBB3_205:
	s_delay_alu instid0(SALU_CYCLE_1)
	s_or_b32 exec_lo, exec_lo, s10
.LBB3_206:
	s_delay_alu instid0(SALU_CYCLE_1)
	s_or_b32 exec_lo, exec_lo, s9
.LBB3_207:
	s_delay_alu instid0(SALU_CYCLE_1)
	s_or_b32 exec_lo, exec_lo, s6
.LBB3_208:
	s_delay_alu instid0(SALU_CYCLE_1)
	s_or_b32 exec_lo, exec_lo, s3
.LBB3_209:
	s_delay_alu instid0(SALU_CYCLE_1) | instskip(SKIP_2) | instid1(VALU_DEP_1)
	s_or_b32 exec_lo, exec_lo, s2
	v_mul_f32_e32 v53, v4, v53
	s_mov_b32 s2, exec_lo
	v_cmpx_nle_f32_e64 0x40a00000, |v53|
	s_cbranch_execz .LBB3_221
; %bb.210:
	v_mov_b32_e32 v51, 6
	s_mov_b32 s3, exec_lo
	v_cmpx_nle_f32_e64 0x40600000, |v53|
	s_cbranch_execz .LBB3_220
; %bb.211:
	v_mov_b32_e32 v51, 5
	;; [unrolled: 5-line block ×5, first 2 shown]
	s_mov_b32 s11, exec_lo
	v_cmpx_nle_f32_e64 0x3f400000, |v53|
; %bb.215:
	v_cmp_le_f32_e64 s12, 0x3e800000, |v53|
	s_delay_alu instid0(VALU_DEP_1)
	v_cndmask_b32_e64 v51, 0, 1, s12
; %bb.216:
	s_or_b32 exec_lo, exec_lo, s11
.LBB3_217:
	s_delay_alu instid0(SALU_CYCLE_1)
	s_or_b32 exec_lo, exec_lo, s10
.LBB3_218:
	s_delay_alu instid0(SALU_CYCLE_1)
	s_or_b32 exec_lo, exec_lo, s9
.LBB3_219:
	s_delay_alu instid0(SALU_CYCLE_1)
	s_or_b32 exec_lo, exec_lo, s6
.LBB3_220:
	s_delay_alu instid0(SALU_CYCLE_1)
	s_or_b32 exec_lo, exec_lo, s3
.LBB3_221:
	s_delay_alu instid0(SALU_CYCLE_1) | instskip(SKIP_3) | instid1(VALU_DEP_2)
	s_or_b32 exec_lo, exec_lo, s2
	v_dual_mul_f32 v56, v4, v52 :: v_dual_mov_b32 v57, 7
	v_mov_b32_e32 v52, 7
	s_mov_b32 s2, exec_lo
	v_cmpx_nle_f32_e64 0x40a00000, |v56|
	s_cbranch_execz .LBB3_233
; %bb.222:
	v_mov_b32_e32 v57, 6
	s_mov_b32 s3, exec_lo
	v_cmpx_nle_f32_e64 0x40600000, |v56|
	s_cbranch_execz .LBB3_232
; %bb.223:
	;; [unrolled: 5-line block ×5, first 2 shown]
	v_mov_b32_e32 v57, 2
	s_mov_b32 s11, exec_lo
	v_cmpx_nle_f32_e64 0x3f400000, |v56|
; %bb.227:
	v_cmp_le_f32_e64 s12, 0x3e800000, |v56|
	s_delay_alu instid0(VALU_DEP_1)
	v_cndmask_b32_e64 v57, 0, 1, s12
; %bb.228:
	s_or_b32 exec_lo, exec_lo, s11
.LBB3_229:
	s_delay_alu instid0(SALU_CYCLE_1)
	s_or_b32 exec_lo, exec_lo, s10
.LBB3_230:
	s_delay_alu instid0(SALU_CYCLE_1)
	s_or_b32 exec_lo, exec_lo, s9
.LBB3_231:
	s_delay_alu instid0(SALU_CYCLE_1)
	s_or_b32 exec_lo, exec_lo, s6
.LBB3_232:
	s_delay_alu instid0(SALU_CYCLE_1)
	s_or_b32 exec_lo, exec_lo, s3
.LBB3_233:
	s_delay_alu instid0(SALU_CYCLE_1) | instskip(SKIP_2) | instid1(VALU_DEP_1)
	s_or_b32 exec_lo, exec_lo, s2
	v_mul_f32_e32 v50, v4, v50
	s_mov_b32 s2, exec_lo
	v_cmpx_nle_f32_e64 0x40a00000, |v50|
	s_cbranch_execz .LBB3_245
; %bb.234:
	v_mov_b32_e32 v52, 6
	s_mov_b32 s3, exec_lo
	v_cmpx_nle_f32_e64 0x40600000, |v50|
	s_cbranch_execz .LBB3_244
; %bb.235:
	v_mov_b32_e32 v52, 5
	s_mov_b32 s6, exec_lo
	v_cmpx_nle_f32_e64 0x40200000, |v50|
	s_cbranch_execz .LBB3_243
; %bb.236:
	v_mov_b32_e32 v52, 4
	s_mov_b32 s9, exec_lo
	v_cmpx_nle_f32_e64 0x3fe00000, |v50|
	s_cbranch_execz .LBB3_242
; %bb.237:
	v_mov_b32_e32 v52, 3
	s_mov_b32 s10, exec_lo
	v_cmpx_nle_f32_e64 0x3fa00000, |v50|
	s_cbranch_execz .LBB3_241
; %bb.238:
	v_mov_b32_e32 v52, 2
	s_mov_b32 s11, exec_lo
	v_cmpx_nle_f32_e64 0x3f400000, |v50|
; %bb.239:
	v_cmp_le_f32_e64 s12, 0x3e800000, |v50|
	s_delay_alu instid0(VALU_DEP_1)
	v_cndmask_b32_e64 v52, 0, 1, s12
; %bb.240:
	s_or_b32 exec_lo, exec_lo, s11
.LBB3_241:
	s_delay_alu instid0(SALU_CYCLE_1)
	s_or_b32 exec_lo, exec_lo, s10
.LBB3_242:
	s_delay_alu instid0(SALU_CYCLE_1)
	s_or_b32 exec_lo, exec_lo, s9
.LBB3_243:
	s_delay_alu instid0(SALU_CYCLE_1)
	s_or_b32 exec_lo, exec_lo, s6
.LBB3_244:
	s_delay_alu instid0(SALU_CYCLE_1)
	s_or_b32 exec_lo, exec_lo, s3
.LBB3_245:
	s_delay_alu instid0(SALU_CYCLE_1) | instskip(SKIP_3) | instid1(VALU_DEP_2)
	s_or_b32 exec_lo, exec_lo, s2
	v_dual_mul_f32 v58, v4, v46 :: v_dual_mov_b32 v59, 7
	v_mov_b32_e32 v46, 7
	s_mov_b32 s2, exec_lo
	v_cmpx_nle_f32_e64 0x40a00000, |v58|
	s_cbranch_execz .LBB3_257
; %bb.246:
	v_mov_b32_e32 v59, 6
	s_mov_b32 s3, exec_lo
	v_cmpx_nle_f32_e64 0x40600000, |v58|
	s_cbranch_execz .LBB3_256
; %bb.247:
	;; [unrolled: 5-line block ×5, first 2 shown]
	v_mov_b32_e32 v59, 2
	s_mov_b32 s11, exec_lo
	v_cmpx_nle_f32_e64 0x3f400000, |v58|
; %bb.251:
	v_cmp_le_f32_e64 s12, 0x3e800000, |v58|
	s_delay_alu instid0(VALU_DEP_1)
	v_cndmask_b32_e64 v59, 0, 1, s12
; %bb.252:
	s_or_b32 exec_lo, exec_lo, s11
.LBB3_253:
	s_delay_alu instid0(SALU_CYCLE_1)
	s_or_b32 exec_lo, exec_lo, s10
.LBB3_254:
	s_delay_alu instid0(SALU_CYCLE_1)
	s_or_b32 exec_lo, exec_lo, s9
.LBB3_255:
	s_delay_alu instid0(SALU_CYCLE_1)
	s_or_b32 exec_lo, exec_lo, s6
.LBB3_256:
	s_delay_alu instid0(SALU_CYCLE_1)
	s_or_b32 exec_lo, exec_lo, s3
.LBB3_257:
	s_delay_alu instid0(SALU_CYCLE_1) | instskip(SKIP_2) | instid1(VALU_DEP_1)
	s_or_b32 exec_lo, exec_lo, s2
	v_mul_f32_e32 v44, v4, v44
	s_mov_b32 s2, exec_lo
	v_cmpx_nle_f32_e64 0x40a00000, |v44|
	s_cbranch_execz .LBB3_269
; %bb.258:
	v_mov_b32_e32 v46, 6
	s_mov_b32 s3, exec_lo
	v_cmpx_nle_f32_e64 0x40600000, |v44|
	s_cbranch_execz .LBB3_268
; %bb.259:
	v_mov_b32_e32 v46, 5
	;; [unrolled: 5-line block ×5, first 2 shown]
	s_mov_b32 s11, exec_lo
	v_cmpx_nle_f32_e64 0x3f400000, |v44|
; %bb.263:
	v_cmp_le_f32_e64 s12, 0x3e800000, |v44|
	s_delay_alu instid0(VALU_DEP_1)
	v_cndmask_b32_e64 v46, 0, 1, s12
; %bb.264:
	s_or_b32 exec_lo, exec_lo, s11
.LBB3_265:
	s_delay_alu instid0(SALU_CYCLE_1)
	s_or_b32 exec_lo, exec_lo, s10
.LBB3_266:
	s_delay_alu instid0(SALU_CYCLE_1)
	s_or_b32 exec_lo, exec_lo, s9
.LBB3_267:
	s_delay_alu instid0(SALU_CYCLE_1)
	s_or_b32 exec_lo, exec_lo, s6
.LBB3_268:
	s_delay_alu instid0(SALU_CYCLE_1)
	s_or_b32 exec_lo, exec_lo, s3
.LBB3_269:
	s_delay_alu instid0(SALU_CYCLE_1) | instskip(SKIP_3) | instid1(VALU_DEP_2)
	s_or_b32 exec_lo, exec_lo, s2
	v_dual_mul_f32 v61, v4, v40 :: v_dual_mov_b32 v40, 7
	v_mov_b32_e32 v60, 7
	s_mov_b32 s2, exec_lo
	v_cmpx_nle_f32_e64 0x40a00000, |v61|
	s_cbranch_execz .LBB3_281
; %bb.270:
	v_mov_b32_e32 v60, 6
	s_mov_b32 s3, exec_lo
	v_cmpx_nle_f32_e64 0x40600000, |v61|
	s_cbranch_execz .LBB3_280
; %bb.271:
	;; [unrolled: 5-line block ×5, first 2 shown]
	v_mov_b32_e32 v60, 2
	s_mov_b32 s11, exec_lo
	v_cmpx_nle_f32_e64 0x3f400000, |v61|
; %bb.275:
	v_cmp_le_f32_e64 s12, 0x3e800000, |v61|
	s_delay_alu instid0(VALU_DEP_1)
	v_cndmask_b32_e64 v60, 0, 1, s12
; %bb.276:
	s_or_b32 exec_lo, exec_lo, s11
.LBB3_277:
	s_delay_alu instid0(SALU_CYCLE_1)
	s_or_b32 exec_lo, exec_lo, s10
.LBB3_278:
	s_delay_alu instid0(SALU_CYCLE_1)
	s_or_b32 exec_lo, exec_lo, s9
.LBB3_279:
	s_delay_alu instid0(SALU_CYCLE_1)
	s_or_b32 exec_lo, exec_lo, s6
.LBB3_280:
	s_delay_alu instid0(SALU_CYCLE_1)
	s_or_b32 exec_lo, exec_lo, s3
.LBB3_281:
	s_delay_alu instid0(SALU_CYCLE_1) | instskip(SKIP_2) | instid1(VALU_DEP_1)
	s_or_b32 exec_lo, exec_lo, s2
	v_mul_f32_e32 v38, v4, v38
	s_mov_b32 s2, exec_lo
	v_cmpx_nle_f32_e64 0x40a00000, |v38|
	s_cbranch_execz .LBB3_293
; %bb.282:
	v_mov_b32_e32 v40, 6
	s_mov_b32 s3, exec_lo
	v_cmpx_nle_f32_e64 0x40600000, |v38|
	s_cbranch_execz .LBB3_292
; %bb.283:
	v_mov_b32_e32 v40, 5
	;; [unrolled: 5-line block ×5, first 2 shown]
	s_mov_b32 s11, exec_lo
	v_cmpx_nle_f32_e64 0x3f400000, |v38|
; %bb.287:
	v_cmp_le_f32_e64 s12, 0x3e800000, |v38|
	s_delay_alu instid0(VALU_DEP_1)
	v_cndmask_b32_e64 v40, 0, 1, s12
; %bb.288:
	s_or_b32 exec_lo, exec_lo, s11
.LBB3_289:
	s_delay_alu instid0(SALU_CYCLE_1)
	s_or_b32 exec_lo, exec_lo, s10
.LBB3_290:
	s_delay_alu instid0(SALU_CYCLE_1)
	s_or_b32 exec_lo, exec_lo, s9
.LBB3_291:
	s_delay_alu instid0(SALU_CYCLE_1)
	s_or_b32 exec_lo, exec_lo, s6
.LBB3_292:
	s_delay_alu instid0(SALU_CYCLE_1)
	s_or_b32 exec_lo, exec_lo, s3
.LBB3_293:
	s_delay_alu instid0(SALU_CYCLE_1) | instskip(SKIP_3) | instid1(VALU_DEP_2)
	s_or_b32 exec_lo, exec_lo, s2
	v_dual_mul_f32 v63, v4, v34 :: v_dual_mov_b32 v34, 7
	v_mov_b32_e32 v62, 7
	s_mov_b32 s2, exec_lo
	v_cmpx_nle_f32_e64 0x40a00000, |v63|
	s_cbranch_execz .LBB3_305
; %bb.294:
	v_mov_b32_e32 v62, 6
	s_mov_b32 s3, exec_lo
	v_cmpx_nle_f32_e64 0x40600000, |v63|
	s_cbranch_execz .LBB3_304
; %bb.295:
	;; [unrolled: 5-line block ×5, first 2 shown]
	v_mov_b32_e32 v62, 2
	s_mov_b32 s11, exec_lo
	v_cmpx_nle_f32_e64 0x3f400000, |v63|
; %bb.299:
	v_cmp_le_f32_e64 s12, 0x3e800000, |v63|
	s_delay_alu instid0(VALU_DEP_1)
	v_cndmask_b32_e64 v62, 0, 1, s12
; %bb.300:
	s_or_b32 exec_lo, exec_lo, s11
.LBB3_301:
	s_delay_alu instid0(SALU_CYCLE_1)
	s_or_b32 exec_lo, exec_lo, s10
.LBB3_302:
	s_delay_alu instid0(SALU_CYCLE_1)
	s_or_b32 exec_lo, exec_lo, s9
.LBB3_303:
	s_delay_alu instid0(SALU_CYCLE_1)
	s_or_b32 exec_lo, exec_lo, s6
.LBB3_304:
	s_delay_alu instid0(SALU_CYCLE_1)
	s_or_b32 exec_lo, exec_lo, s3
.LBB3_305:
	s_delay_alu instid0(SALU_CYCLE_1) | instskip(SKIP_2) | instid1(VALU_DEP_1)
	s_or_b32 exec_lo, exec_lo, s2
	v_mul_f32_e32 v32, v4, v32
	s_mov_b32 s2, exec_lo
	v_cmpx_nle_f32_e64 0x40a00000, |v32|
	s_cbranch_execz .LBB3_317
; %bb.306:
	v_mov_b32_e32 v34, 6
	s_mov_b32 s3, exec_lo
	v_cmpx_nle_f32_e64 0x40600000, |v32|
	s_cbranch_execz .LBB3_316
; %bb.307:
	v_mov_b32_e32 v34, 5
	;; [unrolled: 5-line block ×5, first 2 shown]
	s_mov_b32 s11, exec_lo
	v_cmpx_nle_f32_e64 0x3f400000, |v32|
; %bb.311:
	v_cmp_le_f32_e64 s12, 0x3e800000, |v32|
	s_delay_alu instid0(VALU_DEP_1)
	v_cndmask_b32_e64 v34, 0, 1, s12
; %bb.312:
	s_or_b32 exec_lo, exec_lo, s11
.LBB3_313:
	s_delay_alu instid0(SALU_CYCLE_1)
	s_or_b32 exec_lo, exec_lo, s10
.LBB3_314:
	s_delay_alu instid0(SALU_CYCLE_1)
	s_or_b32 exec_lo, exec_lo, s9
.LBB3_315:
	s_delay_alu instid0(SALU_CYCLE_1)
	s_or_b32 exec_lo, exec_lo, s6
.LBB3_316:
	s_delay_alu instid0(SALU_CYCLE_1)
	s_or_b32 exec_lo, exec_lo, s3
.LBB3_317:
	s_delay_alu instid0(SALU_CYCLE_1) | instskip(SKIP_3) | instid1(VALU_DEP_2)
	s_or_b32 exec_lo, exec_lo, s2
	v_dual_mul_f32 v65, v4, v28 :: v_dual_mov_b32 v28, 7
	v_mov_b32_e32 v64, 7
	s_mov_b32 s2, exec_lo
	v_cmpx_nle_f32_e64 0x40a00000, |v65|
	s_cbranch_execz .LBB3_329
; %bb.318:
	v_mov_b32_e32 v64, 6
	s_mov_b32 s3, exec_lo
	v_cmpx_nle_f32_e64 0x40600000, |v65|
	s_cbranch_execz .LBB3_328
; %bb.319:
	;; [unrolled: 5-line block ×5, first 2 shown]
	v_mov_b32_e32 v64, 2
	s_mov_b32 s11, exec_lo
	v_cmpx_nle_f32_e64 0x3f400000, |v65|
; %bb.323:
	v_cmp_le_f32_e64 s12, 0x3e800000, |v65|
	s_delay_alu instid0(VALU_DEP_1)
	v_cndmask_b32_e64 v64, 0, 1, s12
; %bb.324:
	s_or_b32 exec_lo, exec_lo, s11
.LBB3_325:
	s_delay_alu instid0(SALU_CYCLE_1)
	s_or_b32 exec_lo, exec_lo, s10
.LBB3_326:
	s_delay_alu instid0(SALU_CYCLE_1)
	s_or_b32 exec_lo, exec_lo, s9
.LBB3_327:
	s_delay_alu instid0(SALU_CYCLE_1)
	s_or_b32 exec_lo, exec_lo, s6
.LBB3_328:
	s_delay_alu instid0(SALU_CYCLE_1)
	s_or_b32 exec_lo, exec_lo, s3
.LBB3_329:
	s_delay_alu instid0(SALU_CYCLE_1) | instskip(SKIP_2) | instid1(VALU_DEP_1)
	s_or_b32 exec_lo, exec_lo, s2
	v_mul_f32_e32 v26, v4, v26
	s_mov_b32 s2, exec_lo
	v_cmpx_nle_f32_e64 0x40a00000, |v26|
	s_cbranch_execz .LBB3_341
; %bb.330:
	v_mov_b32_e32 v28, 6
	s_mov_b32 s3, exec_lo
	v_cmpx_nle_f32_e64 0x40600000, |v26|
	s_cbranch_execz .LBB3_340
; %bb.331:
	v_mov_b32_e32 v28, 5
	;; [unrolled: 5-line block ×5, first 2 shown]
	s_mov_b32 s11, exec_lo
	v_cmpx_nle_f32_e64 0x3f400000, |v26|
; %bb.335:
	v_cmp_le_f32_e64 s12, 0x3e800000, |v26|
	s_delay_alu instid0(VALU_DEP_1)
	v_cndmask_b32_e64 v28, 0, 1, s12
; %bb.336:
	s_or_b32 exec_lo, exec_lo, s11
.LBB3_337:
	s_delay_alu instid0(SALU_CYCLE_1)
	s_or_b32 exec_lo, exec_lo, s10
.LBB3_338:
	s_delay_alu instid0(SALU_CYCLE_1)
	s_or_b32 exec_lo, exec_lo, s9
.LBB3_339:
	s_delay_alu instid0(SALU_CYCLE_1)
	s_or_b32 exec_lo, exec_lo, s6
.LBB3_340:
	s_delay_alu instid0(SALU_CYCLE_1)
	s_or_b32 exec_lo, exec_lo, s3
.LBB3_341:
	s_delay_alu instid0(SALU_CYCLE_1) | instskip(SKIP_3) | instid1(VALU_DEP_2)
	s_or_b32 exec_lo, exec_lo, s2
	v_dual_mul_f32 v66, v4, v24 :: v_dual_mov_b32 v67, 7
	v_mov_b32_e32 v24, 7
	s_mov_b32 s2, exec_lo
	v_cmpx_nle_f32_e64 0x40a00000, |v66|
	s_cbranch_execz .LBB3_353
; %bb.342:
	v_mov_b32_e32 v67, 6
	s_mov_b32 s3, exec_lo
	v_cmpx_nle_f32_e64 0x40600000, |v66|
	s_cbranch_execz .LBB3_352
; %bb.343:
	;; [unrolled: 5-line block ×5, first 2 shown]
	v_mov_b32_e32 v67, 2
	s_mov_b32 s11, exec_lo
	v_cmpx_nle_f32_e64 0x3f400000, |v66|
; %bb.347:
	v_cmp_le_f32_e64 s12, 0x3e800000, |v66|
	s_delay_alu instid0(VALU_DEP_1)
	v_cndmask_b32_e64 v67, 0, 1, s12
; %bb.348:
	s_or_b32 exec_lo, exec_lo, s11
.LBB3_349:
	s_delay_alu instid0(SALU_CYCLE_1)
	s_or_b32 exec_lo, exec_lo, s10
.LBB3_350:
	s_delay_alu instid0(SALU_CYCLE_1)
	s_or_b32 exec_lo, exec_lo, s9
.LBB3_351:
	s_delay_alu instid0(SALU_CYCLE_1)
	s_or_b32 exec_lo, exec_lo, s6
.LBB3_352:
	s_delay_alu instid0(SALU_CYCLE_1)
	s_or_b32 exec_lo, exec_lo, s3
.LBB3_353:
	s_delay_alu instid0(SALU_CYCLE_1) | instskip(SKIP_2) | instid1(VALU_DEP_1)
	s_or_b32 exec_lo, exec_lo, s2
	v_mul_f32_e32 v20, v4, v20
	s_mov_b32 s2, exec_lo
	v_cmpx_nle_f32_e64 0x40a00000, |v20|
	s_cbranch_execz .LBB3_365
; %bb.354:
	v_mov_b32_e32 v24, 6
	s_mov_b32 s3, exec_lo
	v_cmpx_nle_f32_e64 0x40600000, |v20|
	s_cbranch_execz .LBB3_364
; %bb.355:
	v_mov_b32_e32 v24, 5
	;; [unrolled: 5-line block ×5, first 2 shown]
	s_mov_b32 s11, exec_lo
	v_cmpx_nle_f32_e64 0x3f400000, |v20|
; %bb.359:
	v_cmp_le_f32_e64 s12, 0x3e800000, |v20|
	s_delay_alu instid0(VALU_DEP_1)
	v_cndmask_b32_e64 v24, 0, 1, s12
; %bb.360:
	s_or_b32 exec_lo, exec_lo, s11
.LBB3_361:
	s_delay_alu instid0(SALU_CYCLE_1)
	s_or_b32 exec_lo, exec_lo, s10
.LBB3_362:
	s_delay_alu instid0(SALU_CYCLE_1)
	s_or_b32 exec_lo, exec_lo, s9
.LBB3_363:
	s_delay_alu instid0(SALU_CYCLE_1)
	s_or_b32 exec_lo, exec_lo, s6
.LBB3_364:
	s_delay_alu instid0(SALU_CYCLE_1)
	s_or_b32 exec_lo, exec_lo, s3
.LBB3_365:
	s_delay_alu instid0(SALU_CYCLE_1) | instskip(SKIP_3) | instid1(VALU_DEP_2)
	s_or_b32 exec_lo, exec_lo, s2
	v_dual_mul_f32 v69, v4, v18 :: v_dual_mov_b32 v18, 7
	v_mov_b32_e32 v70, 7
	s_mov_b32 s2, exec_lo
	v_cmpx_nle_f32_e64 0x40a00000, |v69|
	s_cbranch_execz .LBB3_377
; %bb.366:
	v_mov_b32_e32 v70, 6
	s_mov_b32 s3, exec_lo
	v_cmpx_nle_f32_e64 0x40600000, |v69|
	s_cbranch_execz .LBB3_376
; %bb.367:
	;; [unrolled: 5-line block ×5, first 2 shown]
	v_mov_b32_e32 v70, 2
	s_mov_b32 s11, exec_lo
	v_cmpx_nle_f32_e64 0x3f400000, |v69|
; %bb.371:
	v_cmp_le_f32_e64 s12, 0x3e800000, |v69|
	s_delay_alu instid0(VALU_DEP_1)
	v_cndmask_b32_e64 v70, 0, 1, s12
; %bb.372:
	s_or_b32 exec_lo, exec_lo, s11
.LBB3_373:
	s_delay_alu instid0(SALU_CYCLE_1)
	s_or_b32 exec_lo, exec_lo, s10
.LBB3_374:
	s_delay_alu instid0(SALU_CYCLE_1)
	s_or_b32 exec_lo, exec_lo, s9
.LBB3_375:
	s_delay_alu instid0(SALU_CYCLE_1)
	s_or_b32 exec_lo, exec_lo, s6
.LBB3_376:
	s_delay_alu instid0(SALU_CYCLE_1)
	s_or_b32 exec_lo, exec_lo, s3
.LBB3_377:
	s_delay_alu instid0(SALU_CYCLE_1) | instskip(SKIP_2) | instid1(VALU_DEP_1)
	s_or_b32 exec_lo, exec_lo, s2
	v_mul_f32_e32 v68, v4, v3
	s_mov_b32 s2, exec_lo
	v_cmpx_nle_f32_e64 0x40a00000, |v68|
	s_cbranch_execz .LBB3_389
; %bb.378:
	v_mov_b32_e32 v18, 6
	s_mov_b32 s3, exec_lo
	v_cmpx_nle_f32_e64 0x40600000, |v68|
	s_cbranch_execz .LBB3_388
; %bb.379:
	v_mov_b32_e32 v18, 5
	;; [unrolled: 5-line block ×5, first 2 shown]
	s_mov_b32 s11, exec_lo
	v_cmpx_nle_f32_e64 0x3f400000, |v68|
; %bb.383:
	v_cmp_le_f32_e64 s12, 0x3e800000, |v68|
	s_delay_alu instid0(VALU_DEP_1)
	v_cndmask_b32_e64 v18, 0, 1, s12
; %bb.384:
	s_or_b32 exec_lo, exec_lo, s11
.LBB3_385:
	s_delay_alu instid0(SALU_CYCLE_1)
	s_or_b32 exec_lo, exec_lo, s10
.LBB3_386:
	s_delay_alu instid0(SALU_CYCLE_1)
	s_or_b32 exec_lo, exec_lo, s9
.LBB3_387:
	s_delay_alu instid0(SALU_CYCLE_1)
	s_or_b32 exec_lo, exec_lo, s6
.LBB3_388:
	s_delay_alu instid0(SALU_CYCLE_1)
	s_or_b32 exec_lo, exec_lo, s3
.LBB3_389:
	s_delay_alu instid0(SALU_CYCLE_1)
	s_or_b32 exec_lo, exec_lo, s2
	s_load_b64 s[2:3], s[0:1], 0x8
	v_lshrrev_b32_e32 v3, 2, v5
	s_bitcmp1_b32 s7, 0
	v_and_b32_e32 v71, 3, v5
	s_cselect_b32 s6, -1, 0
	s_lshr_b32 s9, s4, 31
	v_lshlrev_b32_e32 v72, 10, v3
	s_xor_b32 s6, s6, -1
	s_add_i32 s4, s4, s9
	s_mov_b32 s7, -1
	s_and_b32 vcc_lo, exec_lo, s6
	s_ashr_i32 s4, s4, 1
	s_cbranch_vccz .LBB3_391
; %bb.390:
	v_dual_mov_b32 v4, 0 :: v_dual_lshlrev_b32 v3, 4, v0
	v_and_b32_e32 v75, -16, v0
	s_ashr_i32 s7, s4, 31
	v_mul_lo_u32 v1, v1, s4
	s_delay_alu instid0(VALU_DEP_3) | instskip(NEXT) | instid1(VALU_DEP_3)
	v_and_b32_e32 v3, 0xf0, v3
	v_mul_lo_u32 v76, v75, s7
	s_delay_alu instid0(VALU_DEP_2) | instskip(SKIP_1) | instid1(VALU_DEP_2)
	v_mad_u64_u32 v[73:74], null, v75, s4, v[3:4]
	v_lshlrev_b32_e32 v3, 8, v71
	v_add3_u32 v1, v1, v74, v76
	s_delay_alu instid0(VALU_DEP_3) | instskip(NEXT) | instid1(VALU_DEP_2)
	v_add_co_u32 v4, vcc_lo, v73, v72
	v_add_co_ci_u32_e32 v1, vcc_lo, 0, v1, vcc_lo
	s_delay_alu instid0(VALU_DEP_2) | instskip(NEXT) | instid1(VALU_DEP_2)
	v_add_co_u32 v3, vcc_lo, v4, v3
	v_add_co_ci_u32_e32 v4, vcc_lo, 0, v1, vcc_lo
	s_cbranch_execz .LBB3_392
	s_branch .LBB3_393
.LBB3_391:
                                        ; implicit-def: $vgpr3_vgpr4
	s_and_not1_b32 vcc_lo, exec_lo, s7
	s_cbranch_vccnz .LBB3_393
.LBB3_392:
	s_ashr_i32 s7, s8, 1
	v_sub_nc_u32_e32 v4, 0, v0
	s_abs_i32 s9, s7
	s_ashr_i32 s4, s4, 6
	v_cvt_f32_u32_e32 v1, s9
	s_sub_i32 s10, 0, s9
	v_max_i32_e32 v4, v0, v4
	s_delay_alu instid0(VALU_DEP_2) | instskip(SKIP_2) | instid1(VALU_DEP_1)
	v_rcp_iflag_f32_e32 v1, v1
	s_waitcnt_depctr 0xfff
	v_mul_f32_e32 v1, 0x4f7ffffe, v1
	v_cvt_u32_f32_e32 v1, v1
	s_delay_alu instid0(VALU_DEP_1) | instskip(NEXT) | instid1(VALU_DEP_1)
	v_mul_lo_u32 v3, s10, v1
	v_mul_hi_u32 v3, v1, v3
	s_delay_alu instid0(VALU_DEP_1) | instskip(NEXT) | instid1(VALU_DEP_1)
	v_add_nc_u32_e32 v1, v1, v3
	v_mul_hi_u32 v1, v4, v1
	s_delay_alu instid0(VALU_DEP_1) | instskip(NEXT) | instid1(VALU_DEP_1)
	v_mul_lo_u32 v3, v1, s9
	v_sub_nc_u32_e32 v3, v4, v3
	v_add_nc_u32_e32 v4, 1, v1
	s_delay_alu instid0(VALU_DEP_2) | instskip(SKIP_1) | instid1(VALU_DEP_3)
	v_subrev_nc_u32_e32 v73, s9, v3
	v_cmp_le_u32_e32 vcc_lo, s9, v3
	v_cndmask_b32_e32 v1, v1, v4, vcc_lo
	s_delay_alu instid0(VALU_DEP_3) | instskip(SKIP_1) | instid1(VALU_DEP_3)
	v_cndmask_b32_e32 v3, v3, v73, vcc_lo
	v_xor_b32_e32 v4, s7, v0
	v_add_nc_u32_e32 v73, 1, v1
	s_delay_alu instid0(VALU_DEP_3) | instskip(NEXT) | instid1(VALU_DEP_3)
	v_cmp_le_u32_e32 vcc_lo, s9, v3
	v_ashrrev_i32_e32 v4, 31, v4
	v_lshl_or_b32 v3, v71, 8, v72
	s_delay_alu instid0(VALU_DEP_4) | instskip(NEXT) | instid1(VALU_DEP_1)
	v_cndmask_b32_e32 v1, v1, v73, vcc_lo
	v_xor_b32_e32 v1, v1, v4
	s_delay_alu instid0(VALU_DEP_1) | instskip(SKIP_1) | instid1(VALU_DEP_2)
	v_sub_nc_u32_e32 v1, v1, v4
	v_mov_b32_e32 v4, 0
	v_mul_lo_u32 v73, v1, s7
	s_lshl_b32 s7, s4, 10
	s_lshl_b32 s4, s4, 11
	s_delay_alu instid0(VALU_DEP_2) | instskip(NEXT) | instid1(VALU_DEP_2)
	v_mad_i64_i32 v[71:72], null, v1, s7, v[3:4]
	v_sub_nc_u32_e32 v73, v0, v73
	s_delay_alu instid0(VALU_DEP_1) | instskip(NEXT) | instid1(VALU_DEP_1)
	v_ashrrev_i32_e32 v1, 4, v73
	v_mad_i64_i32 v[3:4], null, v1, s4, v[71:72]
	v_lshlrev_b32_e32 v1, 4, v73
	s_delay_alu instid0(VALU_DEP_1)
	v_and_or_b32 v3, 0xf0, v1, v3
.LBB3_393:
	v_cmp_gt_f32_e32 vcc_lo, 0, v69
	v_lshlrev_b16 v9, 4, v9
	v_lshlrev_b16 v18, 4, v18
	;; [unrolled: 1-line block ×3, first 2 shown]
	s_load_b64 s[0:1], s[0:1], 0x10
	v_cndmask_b32_e64 v1, 0, 1, vcc_lo
	v_cmp_gt_f32_e32 vcc_lo, 0, v66
	s_delay_alu instid0(VALU_DEP_2) | instskip(SKIP_2) | instid1(VALU_DEP_3)
	v_lshlrev_b16 v1, 3, v1
	v_cndmask_b32_e64 v66, 0, 1, vcc_lo
	v_cmp_gt_f32_e32 vcc_lo, 0, v65
	v_or_b32_e32 v1, v1, v70
	s_delay_alu instid0(VALU_DEP_3) | instskip(SKIP_2) | instid1(VALU_DEP_3)
	v_lshlrev_b16 v66, 3, v66
	v_cndmask_b32_e64 v65, 0, 1, vcc_lo
	v_cmp_gt_f32_e32 vcc_lo, 0, v63
	v_or_b32_e32 v66, v66, v67
	s_delay_alu instid0(VALU_DEP_3) | instskip(SKIP_2) | instid1(VALU_DEP_3)
	;; [unrolled: 5-line block ×12, first 2 shown]
	v_lshlrev_b16 v23, 3, v23
	v_cndmask_b32_e64 v17, 0, 1, vcc_lo
	v_cmp_gt_f32_e32 vcc_lo, 0, v7
	v_or_b32_e32 v22, v23, v22
	s_delay_alu instid0(VALU_DEP_3) | instskip(SKIP_2) | instid1(VALU_DEP_2)
	v_lshlrev_b16 v17, 3, v17
	v_cndmask_b32_e64 v7, 0, 1, vcc_lo
	v_cmp_gt_f32_e32 vcc_lo, 0, v10
	v_lshlrev_b16 v7, 3, v7
	v_cndmask_b32_e64 v10, 0, 1, vcc_lo
	v_cmp_gt_f32_e32 vcc_lo, 0, v12
	s_delay_alu instid0(VALU_DEP_3) | instskip(NEXT) | instid1(VALU_DEP_3)
	v_or_b32_e32 v7, v7, v8
	v_lshlrev_b16 v10, 7, v10
	v_cndmask_b32_e64 v12, 0, 1, vcc_lo
	v_cmp_gt_f32_e32 vcc_lo, 0, v14
	v_lshlrev_b16 v14, 4, v21
	v_lshlrev_b16 v21, 4, v52
	v_or_b32_e32 v8, v10, v9
	v_lshlrev_b16 v12, 3, v12
	v_cndmask_b32_e64 v9, 0, 1, vcc_lo
	v_cmp_gt_f32_e32 vcc_lo, 0, v19
	v_or_b32_e32 v10, v17, v16
	v_or_b32_e32 v7, v8, v7
	v_lshlrev_b16 v8, 4, v11
	v_or_b32_e32 v12, v12, v13
	v_cndmask_b32_e64 v11, 0, 1, vcc_lo
	v_cmp_gt_f32_e32 vcc_lo, 0, v25
	v_lshlrev_b16 v9, 7, v9
	v_lshlrev_b16 v16, 4, v39
	;; [unrolled: 1-line block ×4, first 2 shown]
	v_cndmask_b32_e64 v13, 0, 1, vcc_lo
	v_cmp_gt_f32_e32 vcc_lo, 0, v31
	v_or_b32_e32 v8, v9, v8
	v_lshlrev_b16 v9, 4, v15
	s_delay_alu instid0(VALU_DEP_4) | instskip(SKIP_2) | instid1(VALU_DEP_4)
	v_lshlrev_b16 v13, 7, v13
	v_cndmask_b32_e64 v15, 0, 1, vcc_lo
	v_cmp_gt_f32_e32 vcc_lo, 0, v36
	v_or_b32_e32 v9, v11, v9
	v_or_b32_e32 v8, v8, v12
	;; [unrolled: 1-line block ×3, first 2 shown]
	v_lshlrev_b16 v12, 4, v27
	v_cndmask_b32_e64 v14, 0, 1, vcc_lo
	v_cmp_gt_f32_e32 vcc_lo, 0, v41
	v_lshlrev_b16 v13, 7, v15
	v_or_b32_e32 v9, v9, v10
	v_or_b32_e32 v10, v11, v22
	v_lshlrev_b16 v14, 7, v14
	v_cndmask_b32_e64 v15, 0, 1, vcc_lo
	v_or_b32_e32 v12, v13, v12
	v_lshlrev_b16 v13, 4, v33
	v_cmp_gt_f32_e32 vcc_lo, 0, v47
	v_lshlrev_b16 v22, 4, v34
	v_lshlrev_b16 v15, 7, v15
	v_or_b32_e32 v11, v12, v29
	v_or_b32_e32 v12, v14, v13
	v_lshlrev_b16 v14, 4, v45
	v_lshlrev_b16 v8, 8, v8
	v_or_b32_e32 v13, v15, v16
	v_cndmask_b32_e64 v15, 0, 1, vcc_lo
	v_cmp_gt_f32_e32 vcc_lo, 0, v53
	v_or_b32_e32 v12, v12, v35
	v_lshlrev_b16 v10, 8, v10
	v_or_b32_e32 v13, v13, v42
	v_lshlrev_b16 v15, 7, v15
	v_cndmask_b32_e64 v16, 0, 1, vcc_lo
	v_cmp_gt_f32_e32 vcc_lo, 0, v50
	v_lshlrev_b16 v12, 8, v12
	v_or_b32_e32 v7, v7, v8
	v_or_b32_e32 v14, v15, v14
	v_lshlrev_b16 v16, 7, v16
	v_cndmask_b32_e64 v17, 0, 1, vcc_lo
	v_cmp_gt_f32_e32 vcc_lo, 0, v44
	v_or_b32_e32 v11, v11, v12
	v_or_b32_e32 v14, v14, v48
	v_or_b32_e32 v15, v16, v19
	v_lshlrev_b16 v17, 7, v17
	v_lshlrev_b16 v19, 4, v46
	v_or_b32_e32 v8, v9, v10
	v_lshlrev_b16 v14, 8, v14
	v_or_b32_e32 v15, v15, v54
	v_or_b32_e32 v16, v17, v21
	v_cndmask_b32_e64 v17, 0, 1, vcc_lo
	v_cmp_gt_f32_e32 vcc_lo, 0, v26
	v_lshlrev_b16 v26, 4, v28
	v_lshlrev_b16 v21, 4, v40
	v_or_b32_e32 v16, v16, v56
	v_lshlrev_b16 v17, 7, v17
	v_cndmask_b32_e64 v23, 0, 1, vcc_lo
	v_cmp_gt_f32_e32 vcc_lo, 0, v32
	v_or_b32_e32 v12, v13, v14
	v_lshlrev_b16 v16, 8, v16
	v_or_b32_e32 v17, v17, v19
	v_lshlrev_b16 v23, 7, v23
	v_cndmask_b32_e64 v25, 0, 1, vcc_lo
	v_cmp_gt_f32_e32 vcc_lo, 0, v68
	v_or_b32_e32 v15, v15, v16
	v_or_b32_e32 v17, v17, v58
	;; [unrolled: 1-line block ×3, first 2 shown]
	v_lshlrev_b16 v25, 7, v25
	v_cndmask_b32_e64 v27, 0, 1, vcc_lo
	v_cmp_gt_f32_e32 vcc_lo, 0, v20
	v_and_b32_e32 v15, 0xffff, v15
	v_or_b32_e32 v23, v23, v64
	v_or_b32_e32 v22, v25, v22
	v_lshlrev_b16 v27, 7, v27
	v_cndmask_b32_e64 v20, 0, 1, vcc_lo
	v_cmp_gt_f32_e32 vcc_lo, 0, v38
	v_lshlrev_b16 v23, 8, v23
	v_or_b32_e32 v22, v22, v62
	v_or_b32_e32 v18, v27, v18
	v_lshlrev_b16 v20, 7, v20
	v_cndmask_b32_e64 v26, 0, 1, vcc_lo
	v_and_b32_e32 v11, 0xffff, v11
	v_or_b32_e32 v19, v22, v23
	v_or_b32_e32 v1, v18, v1
	;; [unrolled: 1-line block ×3, first 2 shown]
	v_lshlrev_b16 v18, 7, v26
	v_lshlrev_b32_e32 v12, 16, v12
	v_and_b32_e32 v7, 0xffff, v7
	v_lshlrev_b16 v1, 8, v1
	v_or_b32_e32 v20, v20, v66
	v_or_b32_e32 v18, v18, v21
	v_lshlrev_b32_e32 v13, 16, v8
	s_waitcnt lgkmcnt(0)
	v_add_co_u32 v3, vcc_lo, s2, v3
	v_or_b32_e32 v1, v20, v1
	v_or_b32_e32 v16, v18, v60
	v_and_b32_e32 v18, 0xffff, v19
	v_or_b32_e32 v8, v11, v12
	v_or_b32_e32 v7, v7, v13
	v_lshlrev_b32_e32 v1, 16, v1
	v_lshlrev_b16 v16, 8, v16
	v_add_co_ci_u32_e32 v4, vcc_lo, s3, v4, vcc_lo
	s_mov_b32 s2, 0
	s_delay_alu instid0(VALU_DEP_3) | instskip(NEXT) | instid1(VALU_DEP_3)
	v_or_b32_e32 v10, v18, v1
	v_or_b32_e32 v16, v17, v16
	s_and_b32 vcc_lo, exec_lo, s6
	s_delay_alu instid0(VALU_DEP_1) | instskip(NEXT) | instid1(VALU_DEP_1)
	v_lshlrev_b32_e32 v9, 16, v16
	v_or_b32_e32 v9, v15, v9
	global_store_b128 v[3:4], v[7:10], off
	s_cbranch_vccz .LBB3_395
; %bb.394:
	v_ashrrev_i32_e32 v1, 31, v0
	s_delay_alu instid0(VALU_DEP_1) | instskip(NEXT) | instid1(VALU_DEP_1)
	v_lshrrev_b32_e32 v1, 27, v1
	v_add_nc_u32_e32 v1, v0, v1
	s_delay_alu instid0(VALU_DEP_1) | instskip(NEXT) | instid1(VALU_DEP_1)
	v_and_b32_e32 v3, 0xffe0, v1
	v_sub_nc_u32_e32 v3, v0, v3
	s_delay_alu instid0(VALU_DEP_1) | instskip(NEXT) | instid1(VALU_DEP_1)
	v_bfe_i32 v4, v3, 0, 8
	v_lshrrev_b16 v4, 11, v4
	s_delay_alu instid0(VALU_DEP_1) | instskip(NEXT) | instid1(VALU_DEP_1)
	v_and_b32_e32 v4, 15, v4
	v_add_nc_u16 v3, v3, v4
	s_delay_alu instid0(VALU_DEP_1) | instskip(NEXT) | instid1(VALU_DEP_1)
	v_bfe_i32 v3, v3, 0, 8
	v_ashrrev_i16 v4, 4, v3
	v_ashrrev_i32_e32 v3, 5, v1
	s_delay_alu instid0(VALU_DEP_2)
	v_bfe_i32 v1, v4, 0, 16
	s_and_not1_b32 vcc_lo, exec_lo, s2
	s_cbranch_vccz .LBB3_396
	s_branch .LBB3_397
.LBB3_395:
                                        ; implicit-def: $vgpr3
                                        ; implicit-def: $vgpr1
.LBB3_396:
	s_lshr_b32 s2, s8, 31
	v_sub_nc_u32_e32 v4, 0, v0
	s_add_i32 s2, s8, s2
	s_delay_alu instid0(SALU_CYCLE_1) | instskip(NEXT) | instid1(VALU_DEP_1)
	s_ashr_i32 s2, s2, 1
	v_max_i32_e32 v4, v0, v4
	s_abs_i32 s3, s2
	s_delay_alu instid0(SALU_CYCLE_1) | instskip(SKIP_1) | instid1(VALU_DEP_1)
	v_cvt_f32_u32_e32 v1, s3
	s_sub_i32 s4, 0, s3
	v_rcp_iflag_f32_e32 v1, v1
	s_waitcnt_depctr 0xfff
	v_mul_f32_e32 v1, 0x4f7ffffe, v1
	s_delay_alu instid0(VALU_DEP_1) | instskip(NEXT) | instid1(VALU_DEP_1)
	v_cvt_u32_f32_e32 v1, v1
	v_mul_lo_u32 v3, s4, v1
	s_delay_alu instid0(VALU_DEP_1) | instskip(NEXT) | instid1(VALU_DEP_1)
	v_mul_hi_u32 v3, v1, v3
	v_add_nc_u32_e32 v1, v1, v3
	s_delay_alu instid0(VALU_DEP_1) | instskip(NEXT) | instid1(VALU_DEP_1)
	v_mul_hi_u32 v1, v4, v1
	v_mul_lo_u32 v3, v1, s3
	s_delay_alu instid0(VALU_DEP_1) | instskip(NEXT) | instid1(VALU_DEP_1)
	v_sub_nc_u32_e32 v3, v4, v3
	v_subrev_nc_u32_e32 v7, s3, v3
	v_cmp_le_u32_e32 vcc_lo, s3, v3
	s_delay_alu instid0(VALU_DEP_2) | instskip(NEXT) | instid1(VALU_DEP_1)
	v_dual_cndmask_b32 v3, v3, v7 :: v_dual_add_nc_u32 v4, 1, v1
	v_cndmask_b32_e32 v1, v1, v4, vcc_lo
	v_xor_b32_e32 v4, s2, v0
	s_delay_alu instid0(VALU_DEP_3) | instskip(NEXT) | instid1(VALU_DEP_3)
	v_cmp_le_u32_e32 vcc_lo, s3, v3
	v_add_nc_u32_e32 v7, 1, v1
	s_delay_alu instid0(VALU_DEP_3) | instskip(NEXT) | instid1(VALU_DEP_2)
	v_ashrrev_i32_e32 v4, 31, v4
	v_cndmask_b32_e32 v1, v1, v7, vcc_lo
	s_delay_alu instid0(VALU_DEP_1) | instskip(NEXT) | instid1(VALU_DEP_1)
	v_xor_b32_e32 v1, v1, v4
	v_sub_nc_u32_e32 v1, v1, v4
	s_delay_alu instid0(VALU_DEP_1) | instskip(NEXT) | instid1(VALU_DEP_1)
	v_mul_lo_u32 v3, v1, s2
	v_sub_nc_u32_e32 v0, v0, v3
	s_delay_alu instid0(VALU_DEP_1) | instskip(NEXT) | instid1(VALU_DEP_1)
	v_ashrrev_i32_e32 v3, 31, v0
	v_lshrrev_b32_e32 v3, 28, v3
	s_delay_alu instid0(VALU_DEP_1) | instskip(NEXT) | instid1(VALU_DEP_1)
	v_add_nc_u32_e32 v3, v0, v3
	v_ashrrev_i32_e32 v3, 4, v3
.LBB3_397:
	v_ashrrev_i32_e32 v4, 31, v0
	v_lshlrev_b32_e32 v7, 6, v5
	v_lshrrev_b32_e32 v5, 1, v5
	v_and_b32_e32 v2, 0x7fffff00, v2
	s_lshl_b32 s2, s5, 5
	v_lshrrev_b32_e32 v4, 28, v4
	v_and_b32_e32 v7, 0xc0, v7
	v_and_b32_e32 v5, 2, v5
	s_and_b32 s2, s2, 0x7fffff00
	s_delay_alu instid0(SALU_CYCLE_1) | instskip(SKIP_1) | instid1(VALU_DEP_3)
	v_mul_lo_u32 v3, v3, s2
	v_add_nc_u32_e32 v4, v0, v4
	v_or3_b32 v2, v7, v2, v5
	s_delay_alu instid0(VALU_DEP_2) | instskip(NEXT) | instid1(VALU_DEP_2)
	v_and_b32_e32 v4, 0x3ffffff0, v4
	v_add_nc_u32_e32 v1, v2, v1
	v_lshrrev_b32_e32 v2, 23, v6
	s_delay_alu instid0(VALU_DEP_3) | instskip(NEXT) | instid1(VALU_DEP_1)
	v_sub_nc_u32_e32 v0, v0, v4
	v_lshlrev_b32_e32 v0, 2, v0
	s_delay_alu instid0(VALU_DEP_1) | instskip(NEXT) | instid1(VALU_DEP_1)
	v_add3_u32 v0, v1, v0, v3
	v_ashrrev_i32_e32 v1, 31, v0
	v_add_co_u32 v0, vcc_lo, s0, v0
	s_delay_alu instid0(VALU_DEP_2)
	v_add_co_ci_u32_e32 v1, vcc_lo, s1, v1, vcc_lo
	global_store_b8 v[0:1], v2, off
.LBB3_398:
	s_nop 0
	s_sendmsg sendmsg(MSG_DEALLOC_VGPRS)
	s_endpgm
	.section	.rodata,"a",@progbits
	.p2align	6, 0x0
	.amdhsa_kernel _ZN5aiter18quant_mxfp4_kernelI6__halfLNS_16MxScaleRoundModeE0ELb0ELb1ELb1EEEvPKT_PhPfliiib
		.amdhsa_group_segment_fixed_size 0
		.amdhsa_private_segment_fixed_size 0
		.amdhsa_kernarg_size 304
		.amdhsa_user_sgpr_count 15
		.amdhsa_user_sgpr_dispatch_ptr 0
		.amdhsa_user_sgpr_queue_ptr 0
		.amdhsa_user_sgpr_kernarg_segment_ptr 1
		.amdhsa_user_sgpr_dispatch_id 0
		.amdhsa_user_sgpr_private_segment_size 0
		.amdhsa_wavefront_size32 1
		.amdhsa_uses_dynamic_stack 0
		.amdhsa_enable_private_segment 0
		.amdhsa_system_sgpr_workgroup_id_x 1
		.amdhsa_system_sgpr_workgroup_id_y 0
		.amdhsa_system_sgpr_workgroup_id_z 0
		.amdhsa_system_sgpr_workgroup_info 0
		.amdhsa_system_vgpr_workitem_id 0
		.amdhsa_next_free_vgpr 77
		.amdhsa_next_free_sgpr 16
		.amdhsa_reserve_vcc 1
		.amdhsa_float_round_mode_32 0
		.amdhsa_float_round_mode_16_64 0
		.amdhsa_float_denorm_mode_32 3
		.amdhsa_float_denorm_mode_16_64 3
		.amdhsa_dx10_clamp 1
		.amdhsa_ieee_mode 1
		.amdhsa_fp16_overflow 0
		.amdhsa_workgroup_processor_mode 1
		.amdhsa_memory_ordered 1
		.amdhsa_forward_progress 0
		.amdhsa_shared_vgpr_count 0
		.amdhsa_exception_fp_ieee_invalid_op 0
		.amdhsa_exception_fp_denorm_src 0
		.amdhsa_exception_fp_ieee_div_zero 0
		.amdhsa_exception_fp_ieee_overflow 0
		.amdhsa_exception_fp_ieee_underflow 0
		.amdhsa_exception_fp_ieee_inexact 0
		.amdhsa_exception_int_div_zero 0
	.end_amdhsa_kernel
	.section	.text._ZN5aiter18quant_mxfp4_kernelI6__halfLNS_16MxScaleRoundModeE0ELb0ELb1ELb1EEEvPKT_PhPfliiib,"axG",@progbits,_ZN5aiter18quant_mxfp4_kernelI6__halfLNS_16MxScaleRoundModeE0ELb0ELb1ELb1EEEvPKT_PhPfliiib,comdat
.Lfunc_end3:
	.size	_ZN5aiter18quant_mxfp4_kernelI6__halfLNS_16MxScaleRoundModeE0ELb0ELb1ELb1EEEvPKT_PhPfliiib, .Lfunc_end3-_ZN5aiter18quant_mxfp4_kernelI6__halfLNS_16MxScaleRoundModeE0ELb0ELb1ELb1EEEvPKT_PhPfliiib
                                        ; -- End function
	.section	.AMDGPU.csdata,"",@progbits
; Kernel info:
; codeLenInByte = 10680
; NumSgprs: 18
; NumVgprs: 77
; ScratchSize: 0
; MemoryBound: 0
; FloatMode: 240
; IeeeMode: 1
; LDSByteSize: 0 bytes/workgroup (compile time only)
; SGPRBlocks: 2
; VGPRBlocks: 9
; NumSGPRsForWavesPerEU: 18
; NumVGPRsForWavesPerEU: 77
; Occupancy: 16
; WaveLimiterHint : 0
; COMPUTE_PGM_RSRC2:SCRATCH_EN: 0
; COMPUTE_PGM_RSRC2:USER_SGPR: 15
; COMPUTE_PGM_RSRC2:TRAP_HANDLER: 0
; COMPUTE_PGM_RSRC2:TGID_X_EN: 1
; COMPUTE_PGM_RSRC2:TGID_Y_EN: 0
; COMPUTE_PGM_RSRC2:TGID_Z_EN: 0
; COMPUTE_PGM_RSRC2:TIDIG_COMP_CNT: 0
	.section	.text._ZN5aiter18quant_mxfp4_kernelI6__halfLNS_16MxScaleRoundModeE0ELb0ELb1ELb0EEEvPKT_PhPfliiib,"axG",@progbits,_ZN5aiter18quant_mxfp4_kernelI6__halfLNS_16MxScaleRoundModeE0ELb0ELb1ELb0EEEvPKT_PhPfliiib,comdat
	.protected	_ZN5aiter18quant_mxfp4_kernelI6__halfLNS_16MxScaleRoundModeE0ELb0ELb1ELb0EEEvPKT_PhPfliiib ; -- Begin function _ZN5aiter18quant_mxfp4_kernelI6__halfLNS_16MxScaleRoundModeE0ELb0ELb1ELb0EEEvPKT_PhPfliiib
	.globl	_ZN5aiter18quant_mxfp4_kernelI6__halfLNS_16MxScaleRoundModeE0ELb0ELb1ELb0EEEvPKT_PhPfliiib
	.p2align	8
	.type	_ZN5aiter18quant_mxfp4_kernelI6__halfLNS_16MxScaleRoundModeE0ELb0ELb1ELb0EEEvPKT_PhPfliiib,@function
_ZN5aiter18quant_mxfp4_kernelI6__halfLNS_16MxScaleRoundModeE0ELb0ELb1ELb0EEEvPKT_PhPfliiib: ; @_ZN5aiter18quant_mxfp4_kernelI6__halfLNS_16MxScaleRoundModeE0ELb0ELb1ELb0EEEvPKT_PhPfliiib
; %bb.0:
	s_clause 0x1
	s_load_b32 s2, s[0:1], 0x3c
	s_load_b128 s[4:7], s[0:1], 0x20
	v_mov_b32_e32 v1, 0
	s_delay_alu instid0(VALU_DEP_1)
	v_mov_b32_e32 v4, v1
	s_waitcnt lgkmcnt(0)
	s_and_b32 s2, s2, 0xffff
	s_mov_b32 s3, s6
	v_mad_u64_u32 v[2:3], null, s2, s15, v[0:1]
	s_ashr_i32 s2, s6, 31
	s_mov_b32 s6, exec_lo
                                        ; implicit-def: $vgpr0_vgpr1
	s_delay_alu instid0(VALU_DEP_1) | instskip(NEXT) | instid1(VALU_DEP_1)
	v_or_b32_e32 v5, s2, v3
	v_cmpx_ne_u64_e32 0, v[4:5]
	s_xor_b32 s6, exec_lo, s6
	s_cbranch_execz .LBB4_2
; %bb.1:
	s_add_u32 s10, s3, s2
	s_mov_b32 s8, s2
	s_mov_b32 s9, s2
	s_addc_u32 s11, s2, s2
	s_delay_alu instid0(SALU_CYCLE_1) | instskip(NEXT) | instid1(SALU_CYCLE_1)
	s_xor_b64 s[10:11], s[10:11], s[8:9]
	v_cvt_f32_u32_e32 v0, s10
	v_cvt_f32_u32_e32 v1, s11
	s_sub_u32 s2, 0, s10
	s_subb_u32 s12, 0, s11
	s_delay_alu instid0(VALU_DEP_1) | instskip(NEXT) | instid1(VALU_DEP_1)
	v_fmamk_f32 v0, v1, 0x4f800000, v0
	v_rcp_f32_e32 v0, v0
	s_waitcnt_depctr 0xfff
	v_mul_f32_e32 v0, 0x5f7ffffc, v0
	s_delay_alu instid0(VALU_DEP_1) | instskip(NEXT) | instid1(VALU_DEP_1)
	v_mul_f32_e32 v1, 0x2f800000, v0
	v_trunc_f32_e32 v1, v1
	s_delay_alu instid0(VALU_DEP_1) | instskip(SKIP_1) | instid1(VALU_DEP_2)
	v_fmamk_f32 v0, v1, 0xcf800000, v0
	v_cvt_u32_f32_e32 v1, v1
	v_cvt_u32_f32_e32 v0, v0
	s_delay_alu instid0(VALU_DEP_2) | instskip(NEXT) | instid1(VALU_DEP_2)
	v_mul_lo_u32 v4, s2, v1
	v_mul_hi_u32 v5, s2, v0
	v_mul_lo_u32 v6, s12, v0
	s_delay_alu instid0(VALU_DEP_2) | instskip(SKIP_1) | instid1(VALU_DEP_2)
	v_add_nc_u32_e32 v4, v5, v4
	v_mul_lo_u32 v5, s2, v0
	v_add_nc_u32_e32 v4, v4, v6
	s_delay_alu instid0(VALU_DEP_2) | instskip(NEXT) | instid1(VALU_DEP_2)
	v_mul_hi_u32 v6, v0, v5
	v_mul_lo_u32 v7, v0, v4
	v_mul_hi_u32 v8, v0, v4
	v_mul_hi_u32 v9, v1, v5
	v_mul_lo_u32 v5, v1, v5
	v_mul_hi_u32 v10, v1, v4
	v_mul_lo_u32 v4, v1, v4
	v_add_co_u32 v6, vcc_lo, v6, v7
	v_add_co_ci_u32_e32 v7, vcc_lo, 0, v8, vcc_lo
	s_delay_alu instid0(VALU_DEP_2) | instskip(NEXT) | instid1(VALU_DEP_2)
	v_add_co_u32 v5, vcc_lo, v6, v5
	v_add_co_ci_u32_e32 v5, vcc_lo, v7, v9, vcc_lo
	v_add_co_ci_u32_e32 v6, vcc_lo, 0, v10, vcc_lo
	v_ashrrev_i32_e32 v9, 31, v3
	s_delay_alu instid0(VALU_DEP_3) | instskip(NEXT) | instid1(VALU_DEP_3)
	v_add_co_u32 v4, vcc_lo, v5, v4
	v_add_co_ci_u32_e32 v5, vcc_lo, 0, v6, vcc_lo
	s_delay_alu instid0(VALU_DEP_2) | instskip(NEXT) | instid1(VALU_DEP_2)
	v_add_co_u32 v0, vcc_lo, v0, v4
	v_add_co_ci_u32_e32 v1, vcc_lo, v1, v5, vcc_lo
	s_delay_alu instid0(VALU_DEP_2) | instskip(SKIP_1) | instid1(VALU_DEP_3)
	v_mul_hi_u32 v4, s2, v0
	v_mul_lo_u32 v6, s12, v0
	v_mul_lo_u32 v5, s2, v1
	s_delay_alu instid0(VALU_DEP_1) | instskip(SKIP_1) | instid1(VALU_DEP_2)
	v_add_nc_u32_e32 v4, v4, v5
	v_mul_lo_u32 v5, s2, v0
	v_add_nc_u32_e32 v4, v4, v6
	s_delay_alu instid0(VALU_DEP_2) | instskip(NEXT) | instid1(VALU_DEP_2)
	v_mul_hi_u32 v6, v0, v5
	v_mul_lo_u32 v7, v0, v4
	v_mul_hi_u32 v8, v0, v4
	v_mul_hi_u32 v10, v1, v5
	v_mul_lo_u32 v5, v1, v5
	v_mul_hi_u32 v11, v1, v4
	v_mul_lo_u32 v4, v1, v4
	v_add_co_u32 v6, vcc_lo, v6, v7
	v_add_co_ci_u32_e32 v7, vcc_lo, 0, v8, vcc_lo
	s_delay_alu instid0(VALU_DEP_2) | instskip(NEXT) | instid1(VALU_DEP_2)
	v_add_co_u32 v5, vcc_lo, v6, v5
	v_add_co_ci_u32_e32 v5, vcc_lo, v7, v10, vcc_lo
	v_add_co_ci_u32_e32 v6, vcc_lo, 0, v11, vcc_lo
	v_add_co_u32 v7, vcc_lo, v2, v9
	v_add_co_ci_u32_e32 v3, vcc_lo, v3, v9, vcc_lo
	s_delay_alu instid0(VALU_DEP_4) | instskip(NEXT) | instid1(VALU_DEP_4)
	v_add_co_u32 v4, vcc_lo, v5, v4
	v_add_co_ci_u32_e32 v5, vcc_lo, 0, v6, vcc_lo
	s_delay_alu instid0(VALU_DEP_4) | instskip(NEXT) | instid1(VALU_DEP_3)
	v_xor_b32_e32 v7, v7, v9
	v_add_co_u32 v6, vcc_lo, v0, v4
	s_delay_alu instid0(VALU_DEP_3) | instskip(SKIP_1) | instid1(VALU_DEP_3)
	v_add_co_ci_u32_e32 v8, vcc_lo, v1, v5, vcc_lo
	v_xor_b32_e32 v10, v3, v9
	v_mul_hi_u32 v11, v7, v6
	s_delay_alu instid0(VALU_DEP_3) | instskip(NEXT) | instid1(VALU_DEP_3)
	v_mad_u64_u32 v[0:1], null, v7, v8, 0
	v_mad_u64_u32 v[3:4], null, v10, v6, 0
	;; [unrolled: 1-line block ×3, first 2 shown]
	s_delay_alu instid0(VALU_DEP_3) | instskip(NEXT) | instid1(VALU_DEP_4)
	v_add_co_u32 v0, vcc_lo, v11, v0
	v_add_co_ci_u32_e32 v1, vcc_lo, 0, v1, vcc_lo
	s_delay_alu instid0(VALU_DEP_2) | instskip(NEXT) | instid1(VALU_DEP_2)
	v_add_co_u32 v0, vcc_lo, v0, v3
	v_add_co_ci_u32_e32 v0, vcc_lo, v1, v4, vcc_lo
	v_add_co_ci_u32_e32 v1, vcc_lo, 0, v6, vcc_lo
	s_delay_alu instid0(VALU_DEP_2) | instskip(NEXT) | instid1(VALU_DEP_2)
	v_add_co_u32 v3, vcc_lo, v0, v5
	v_add_co_ci_u32_e32 v4, vcc_lo, 0, v1, vcc_lo
	s_delay_alu instid0(VALU_DEP_2) | instskip(SKIP_1) | instid1(VALU_DEP_3)
	v_mul_lo_u32 v5, s11, v3
	v_mad_u64_u32 v[0:1], null, s10, v3, 0
	v_mul_lo_u32 v6, s10, v4
	s_delay_alu instid0(VALU_DEP_2) | instskip(NEXT) | instid1(VALU_DEP_2)
	v_sub_co_u32 v0, vcc_lo, v7, v0
	v_add3_u32 v1, v1, v6, v5
	s_delay_alu instid0(VALU_DEP_1) | instskip(NEXT) | instid1(VALU_DEP_1)
	v_sub_nc_u32_e32 v5, v10, v1
	v_subrev_co_ci_u32_e64 v5, s2, s11, v5, vcc_lo
	v_add_co_u32 v6, s2, v3, 2
	s_delay_alu instid0(VALU_DEP_1) | instskip(SKIP_3) | instid1(VALU_DEP_3)
	v_add_co_ci_u32_e64 v7, s2, 0, v4, s2
	v_sub_co_u32 v8, s2, v0, s10
	v_sub_co_ci_u32_e32 v1, vcc_lo, v10, v1, vcc_lo
	v_subrev_co_ci_u32_e64 v5, s2, 0, v5, s2
	v_cmp_le_u32_e32 vcc_lo, s10, v8
	s_delay_alu instid0(VALU_DEP_3) | instskip(SKIP_1) | instid1(VALU_DEP_4)
	v_cmp_eq_u32_e64 s2, s11, v1
	v_cndmask_b32_e64 v8, 0, -1, vcc_lo
	v_cmp_le_u32_e32 vcc_lo, s11, v5
	v_cndmask_b32_e64 v10, 0, -1, vcc_lo
	v_cmp_le_u32_e32 vcc_lo, s10, v0
	;; [unrolled: 2-line block ×3, first 2 shown]
	v_cndmask_b32_e64 v11, 0, -1, vcc_lo
	v_cmp_eq_u32_e32 vcc_lo, s11, v5
	s_delay_alu instid0(VALU_DEP_2) | instskip(SKIP_3) | instid1(VALU_DEP_3)
	v_cndmask_b32_e64 v0, v11, v0, s2
	v_cndmask_b32_e32 v5, v10, v8, vcc_lo
	v_add_co_u32 v8, vcc_lo, v3, 1
	v_add_co_ci_u32_e32 v10, vcc_lo, 0, v4, vcc_lo
	v_cmp_ne_u32_e32 vcc_lo, 0, v5
	s_delay_alu instid0(VALU_DEP_2) | instskip(NEXT) | instid1(VALU_DEP_4)
	v_cndmask_b32_e32 v1, v10, v7, vcc_lo
	v_cndmask_b32_e32 v5, v8, v6, vcc_lo
	v_cmp_ne_u32_e32 vcc_lo, 0, v0
	v_xor_b32_e32 v0, s8, v9
	s_delay_alu instid0(VALU_DEP_3) | instskip(SKIP_2) | instid1(VALU_DEP_3)
	v_cndmask_b32_e32 v3, v3, v5, vcc_lo
	v_cndmask_b32_e32 v1, v4, v1, vcc_lo
	v_xor_b32_e32 v4, s9, v9
	v_xor_b32_e32 v3, v3, v0
	s_delay_alu instid0(VALU_DEP_2) | instskip(NEXT) | instid1(VALU_DEP_2)
	v_xor_b32_e32 v1, v1, v4
	v_sub_co_u32 v0, vcc_lo, v3, v0
	s_delay_alu instid0(VALU_DEP_2)
	v_sub_co_ci_u32_e32 v1, vcc_lo, v1, v4, vcc_lo
.LBB4_2:
	s_and_not1_saveexec_b32 s2, s6
	s_cbranch_execz .LBB4_4
; %bb.3:
	v_cvt_f32_u32_e32 v0, s3
	s_sub_i32 s6, 0, s3
	s_delay_alu instid0(VALU_DEP_1) | instskip(SKIP_2) | instid1(VALU_DEP_1)
	v_rcp_iflag_f32_e32 v0, v0
	s_waitcnt_depctr 0xfff
	v_mul_f32_e32 v0, 0x4f7ffffe, v0
	v_cvt_u32_f32_e32 v0, v0
	s_delay_alu instid0(VALU_DEP_1) | instskip(NEXT) | instid1(VALU_DEP_1)
	v_mul_lo_u32 v1, s6, v0
	v_mul_hi_u32 v1, v0, v1
	s_delay_alu instid0(VALU_DEP_1) | instskip(NEXT) | instid1(VALU_DEP_1)
	v_add_nc_u32_e32 v0, v0, v1
	v_mul_hi_u32 v0, v2, v0
	s_delay_alu instid0(VALU_DEP_1) | instskip(SKIP_1) | instid1(VALU_DEP_2)
	v_mul_lo_u32 v1, v0, s3
	v_add_nc_u32_e32 v3, 1, v0
	v_sub_nc_u32_e32 v1, v2, v1
	s_delay_alu instid0(VALU_DEP_1) | instskip(SKIP_1) | instid1(VALU_DEP_2)
	v_subrev_nc_u32_e32 v4, s3, v1
	v_cmp_le_u32_e32 vcc_lo, s3, v1
	v_dual_cndmask_b32 v1, v1, v4 :: v_dual_cndmask_b32 v0, v0, v3
	s_delay_alu instid0(VALU_DEP_1) | instskip(NEXT) | instid1(VALU_DEP_2)
	v_cmp_le_u32_e32 vcc_lo, s3, v1
	v_add_nc_u32_e32 v3, 1, v0
	s_delay_alu instid0(VALU_DEP_1)
	v_dual_mov_b32 v1, 0 :: v_dual_cndmask_b32 v0, v0, v3
.LBB4_4:
	s_or_b32 exec_lo, exec_lo, s2
	s_load_b64 s[8:9], s[0:1], 0x18
	s_delay_alu instid0(VALU_DEP_1) | instskip(NEXT) | instid1(VALU_DEP_1)
	v_mad_u64_u32 v[3:4], null, v0, s3, 0
	v_sub_co_u32 v4, null, v2, v3
	s_delay_alu instid0(VALU_DEP_1) | instskip(SKIP_2) | instid1(VALU_DEP_2)
	v_cmp_gt_i32_e64 s2, s5, v4
	s_waitcnt lgkmcnt(0)
	v_cmp_gt_i64_e32 vcc_lo, s[8:9], v[0:1]
	s_and_b32 s2, vcc_lo, s2
	s_delay_alu instid0(SALU_CYCLE_1)
	s_and_saveexec_b32 s3, s2
	s_cbranch_execz .LBB4_394
; %bb.5:
	s_ashr_i32 s6, s4, 31
	s_load_b64 s[2:3], s[0:1], 0x0
	v_mul_lo_u32 v2, v1, s4
	v_mad_u64_u32 v[5:6], null, v0, s4, 0
	v_mul_lo_u32 v3, v0, s6
	s_delay_alu instid0(VALU_DEP_1) | instskip(SKIP_1) | instid1(VALU_DEP_2)
	v_add3_u32 v6, v6, v3, v2
	v_dual_mov_b32 v3, 0 :: v_dual_lshlrev_b32 v2, 5, v4
	v_lshlrev_b64 v[5:6], 1, v[5:6]
	s_delay_alu instid0(VALU_DEP_2) | instskip(SKIP_1) | instid1(VALU_DEP_2)
	v_lshlrev_b64 v[7:8], 1, v[2:3]
	s_waitcnt lgkmcnt(0)
	v_add_co_u32 v3, vcc_lo, s2, v5
	s_delay_alu instid0(VALU_DEP_3) | instskip(SKIP_1) | instid1(VALU_DEP_2)
	v_add_co_ci_u32_e32 v6, vcc_lo, s3, v6, vcc_lo
	s_mov_b32 s2, exec_lo
	v_add_co_u32 v5, vcc_lo, v3, v7
	s_delay_alu instid0(VALU_DEP_2)
	v_add_co_ci_u32_e32 v6, vcc_lo, v6, v8, vcc_lo
	s_clause 0x3
	global_load_b128 v[9:12], v[5:6], off
	global_load_b128 v[28:31], v[5:6], off offset:16
	global_load_b128 v[53:56], v[5:6], off offset:32
	global_load_b128 v[57:60], v[5:6], off offset:48
	s_waitcnt vmcnt(3)
	v_lshrrev_b32_e32 v3, 16, v9
	v_cvt_f32_f16_e32 v5, v9
	v_lshrrev_b32_e32 v6, 16, v10
	v_cvt_f32_f16_e32 v10, v10
	v_cvt_f32_f16_e32 v17, v11
	;; [unrolled: 1-line block ×3, first 2 shown]
	v_lshrrev_b32_e32 v3, 16, v11
	v_cvt_f32_f16_e32 v15, v6
	v_lshrrev_b32_e32 v7, 16, v12
	v_cvt_f32_f16_e32 v23, v12
	v_max3_f32 v6, |v5|, 0, |v8|
	v_cvt_f32_f16_e32 v21, v3
	s_waitcnt vmcnt(2)
	v_cvt_f32_f16_e32 v35, v29
	v_cvt_f32_f16_e32 v26, v7
	v_lshrrev_b32_e32 v7, 16, v29
	v_max3_f32 v3, v6, |v10|, |v15|
	v_lshrrev_b32_e32 v6, 16, v28
	v_cvt_f32_f16_e32 v28, v28
	v_cvt_f32_f16_e32 v40, v30
	;; [unrolled: 1-line block ×3, first 2 shown]
	v_max3_f32 v3, v3, |v17|, |v21|
	v_cvt_f32_f16_e32 v32, v6
	v_lshrrev_b32_e32 v6, 16, v30
	v_lshrrev_b32_e32 v7, 16, v31
	v_cvt_f32_f16_e32 v46, v31
	v_max3_f32 v3, v3, |v23|, |v26|
	s_waitcnt vmcnt(1)
	v_cvt_f32_f16_e32 v52, v53
	v_cvt_f32_f16_e32 v42, v6
	v_lshrrev_b32_e32 v6, 16, v53
	v_cvt_f32_f16_e32 v48, v7
	v_max3_f32 v3, v3, |v28|, |v32|
	v_lshrrev_b32_e32 v7, 16, v54
	v_cvt_f32_f16_e32 v49, v54
	v_cvt_f32_f16_e32 v53, v6
	v_lshrrev_b32_e32 v6, 16, v55
	v_max3_f32 v3, v3, |v35|, |v38|
	v_cvt_f32_f16_e32 v47, v7
	v_cvt_f32_f16_e32 v43, v55
	v_lshrrev_b32_e32 v7, 16, v56
	v_cvt_f32_f16_e32 v41, v6
	v_max3_f32 v3, v3, |v40|, |v42|
	v_cvt_f32_f16_e32 v39, v56
	s_waitcnt vmcnt(0)
	v_lshrrev_b32_e32 v6, 16, v57
	v_cvt_f32_f16_e32 v34, v7
	v_cvt_f32_f16_e32 v33, v57
	v_max3_f32 v3, v3, |v46|, |v48|
	v_lshrrev_b32_e32 v7, 16, v58
	v_cvt_f32_f16_e32 v29, v6
	v_cvt_f32_f16_e32 v27, v58
	v_lshrrev_b32_e32 v6, 16, v59
	v_max3_f32 v3, v3, |v52|, |v53|
	v_cvt_f32_f16_e32 v22, v7
	v_cvt_f32_f16_e32 v20, v59
	v_lshrrev_b32_e32 v7, 16, v60
	v_cvt_f32_f16_e32 v16, v6
	v_max3_f32 v3, v3, |v49|, |v47|
	v_cvt_f32_f16_e32 v14, v60
	s_delay_alu instid0(VALU_DEP_4) | instskip(NEXT) | instid1(VALU_DEP_3)
	v_cvt_f32_f16_e32 v9, v7
	v_max3_f32 v3, v3, |v43|, |v41|
	s_delay_alu instid0(VALU_DEP_1) | instskip(NEXT) | instid1(VALU_DEP_1)
	v_max3_f32 v3, v3, |v39|, |v34|
	v_max3_f32 v3, v3, |v33|, |v29|
	s_delay_alu instid0(VALU_DEP_1) | instskip(NEXT) | instid1(VALU_DEP_1)
	v_max3_f32 v3, v3, |v27|, |v22|
	v_max3_f32 v3, v3, |v20|, |v16|
	s_delay_alu instid0(VALU_DEP_1) | instskip(NEXT) | instid1(VALU_DEP_1)
	v_max3_f32 v3, v3, |v14|, |v9|
	v_mul_f32_e32 v3, 0x3e800000, v3
	s_delay_alu instid0(VALU_DEP_1) | instskip(NEXT) | instid1(VALU_DEP_1)
	v_and_b32_e32 v6, 0x7f800000, v3
	v_div_scale_f32 v7, null, v6, v6, 1.0
	v_div_scale_f32 v13, vcc_lo, 1.0, v6, 1.0
	s_delay_alu instid0(VALU_DEP_2) | instskip(SKIP_2) | instid1(VALU_DEP_1)
	v_rcp_f32_e32 v11, v7
	s_waitcnt_depctr 0xfff
	v_fma_f32 v12, -v7, v11, 1.0
	v_fmac_f32_e32 v11, v12, v11
	s_delay_alu instid0(VALU_DEP_1) | instskip(NEXT) | instid1(VALU_DEP_1)
	v_mul_f32_e32 v12, v13, v11
	v_fma_f32 v18, -v7, v12, v13
	s_delay_alu instid0(VALU_DEP_1) | instskip(NEXT) | instid1(VALU_DEP_1)
	v_fmac_f32_e32 v12, v18, v11
	v_fma_f32 v7, -v7, v12, v13
	s_delay_alu instid0(VALU_DEP_1) | instskip(SKIP_1) | instid1(VALU_DEP_2)
	v_div_fmas_f32 v7, v7, v11, v12
	v_cmp_neq_f32_e32 vcc_lo, 0, v6
	v_div_fixup_f32 v7, v7, v6, 1.0
	s_delay_alu instid0(VALU_DEP_1) | instskip(NEXT) | instid1(VALU_DEP_1)
	v_cndmask_b32_e32 v11, 0, v7, vcc_lo
	v_dual_mov_b32 v7, 7 :: v_dual_mul_f32 v6, v11, v5
	v_mov_b32_e32 v5, 7
	s_delay_alu instid0(VALU_DEP_2)
	v_cmpx_nle_f32_e64 0x40a00000, |v6|
	s_cbranch_execz .LBB4_17
; %bb.6:
	v_mov_b32_e32 v5, 6
	s_mov_b32 s3, exec_lo
	v_cmpx_nle_f32_e64 0x40600000, |v6|
	s_cbranch_execz .LBB4_16
; %bb.7:
	v_mov_b32_e32 v5, 5
	s_mov_b32 s6, exec_lo
	;; [unrolled: 5-line block ×5, first 2 shown]
	v_cmpx_nle_f32_e64 0x3f400000, |v6|
; %bb.11:
	v_cmp_le_f32_e64 s12, 0x3e800000, |v6|
	s_delay_alu instid0(VALU_DEP_1)
	v_cndmask_b32_e64 v5, 0, 1, s12
; %bb.12:
	s_or_b32 exec_lo, exec_lo, s11
.LBB4_13:
	s_delay_alu instid0(SALU_CYCLE_1)
	s_or_b32 exec_lo, exec_lo, s10
.LBB4_14:
	s_delay_alu instid0(SALU_CYCLE_1)
	s_or_b32 exec_lo, exec_lo, s9
.LBB4_15:
	s_delay_alu instid0(SALU_CYCLE_1)
	s_or_b32 exec_lo, exec_lo, s6
.LBB4_16:
	s_delay_alu instid0(SALU_CYCLE_1)
	s_or_b32 exec_lo, exec_lo, s3
.LBB4_17:
	s_delay_alu instid0(SALU_CYCLE_1) | instskip(SKIP_2) | instid1(VALU_DEP_1)
	s_or_b32 exec_lo, exec_lo, s2
	v_mul_f32_e32 v8, v11, v8
	s_mov_b32 s2, exec_lo
	v_cmpx_nle_f32_e64 0x40a00000, |v8|
	s_cbranch_execz .LBB4_29
; %bb.18:
	v_mov_b32_e32 v7, 6
	s_mov_b32 s3, exec_lo
	v_cmpx_nle_f32_e64 0x40600000, |v8|
	s_cbranch_execz .LBB4_28
; %bb.19:
	v_mov_b32_e32 v7, 5
	;; [unrolled: 5-line block ×5, first 2 shown]
	s_mov_b32 s11, exec_lo
	v_cmpx_nle_f32_e64 0x3f400000, |v8|
; %bb.23:
	v_cmp_le_f32_e64 s12, 0x3e800000, |v8|
	s_delay_alu instid0(VALU_DEP_1)
	v_cndmask_b32_e64 v7, 0, 1, s12
; %bb.24:
	s_or_b32 exec_lo, exec_lo, s11
.LBB4_25:
	s_delay_alu instid0(SALU_CYCLE_1)
	s_or_b32 exec_lo, exec_lo, s10
.LBB4_26:
	s_delay_alu instid0(SALU_CYCLE_1)
	s_or_b32 exec_lo, exec_lo, s9
.LBB4_27:
	s_delay_alu instid0(SALU_CYCLE_1)
	s_or_b32 exec_lo, exec_lo, s6
.LBB4_28:
	s_delay_alu instid0(SALU_CYCLE_1)
	s_or_b32 exec_lo, exec_lo, s3
.LBB4_29:
	s_delay_alu instid0(SALU_CYCLE_1) | instskip(SKIP_3) | instid1(VALU_DEP_2)
	s_or_b32 exec_lo, exec_lo, s2
	v_dual_mul_f32 v12, v11, v10 :: v_dual_mov_b32 v13, 7
	v_mov_b32_e32 v10, 7
	s_mov_b32 s2, exec_lo
	v_cmpx_nle_f32_e64 0x40a00000, |v12|
	s_cbranch_execz .LBB4_41
; %bb.30:
	v_mov_b32_e32 v13, 6
	s_mov_b32 s3, exec_lo
	v_cmpx_nle_f32_e64 0x40600000, |v12|
	s_cbranch_execz .LBB4_40
; %bb.31:
	;; [unrolled: 5-line block ×5, first 2 shown]
	v_mov_b32_e32 v13, 2
	s_mov_b32 s11, exec_lo
	v_cmpx_nle_f32_e64 0x3f400000, |v12|
; %bb.35:
	v_cmp_le_f32_e64 s12, 0x3e800000, |v12|
	s_delay_alu instid0(VALU_DEP_1)
	v_cndmask_b32_e64 v13, 0, 1, s12
; %bb.36:
	s_or_b32 exec_lo, exec_lo, s11
.LBB4_37:
	s_delay_alu instid0(SALU_CYCLE_1)
	s_or_b32 exec_lo, exec_lo, s10
.LBB4_38:
	s_delay_alu instid0(SALU_CYCLE_1)
	s_or_b32 exec_lo, exec_lo, s9
.LBB4_39:
	s_delay_alu instid0(SALU_CYCLE_1)
	s_or_b32 exec_lo, exec_lo, s6
.LBB4_40:
	s_delay_alu instid0(SALU_CYCLE_1)
	s_or_b32 exec_lo, exec_lo, s3
.LBB4_41:
	s_delay_alu instid0(SALU_CYCLE_1) | instskip(SKIP_2) | instid1(VALU_DEP_1)
	s_or_b32 exec_lo, exec_lo, s2
	v_mul_f32_e32 v15, v11, v15
	s_mov_b32 s2, exec_lo
	v_cmpx_nle_f32_e64 0x40a00000, |v15|
	s_cbranch_execz .LBB4_53
; %bb.42:
	v_mov_b32_e32 v10, 6
	s_mov_b32 s3, exec_lo
	v_cmpx_nle_f32_e64 0x40600000, |v15|
	s_cbranch_execz .LBB4_52
; %bb.43:
	v_mov_b32_e32 v10, 5
	s_mov_b32 s6, exec_lo
	v_cmpx_nle_f32_e64 0x40200000, |v15|
	s_cbranch_execz .LBB4_51
; %bb.44:
	v_mov_b32_e32 v10, 4
	s_mov_b32 s9, exec_lo
	v_cmpx_nle_f32_e64 0x3fe00000, |v15|
	s_cbranch_execz .LBB4_50
; %bb.45:
	v_mov_b32_e32 v10, 3
	s_mov_b32 s10, exec_lo
	v_cmpx_nle_f32_e64 0x3fa00000, |v15|
	s_cbranch_execz .LBB4_49
; %bb.46:
	v_mov_b32_e32 v10, 2
	s_mov_b32 s11, exec_lo
	v_cmpx_nle_f32_e64 0x3f400000, |v15|
; %bb.47:
	v_cmp_le_f32_e64 s12, 0x3e800000, |v15|
	s_delay_alu instid0(VALU_DEP_1)
	v_cndmask_b32_e64 v10, 0, 1, s12
; %bb.48:
	s_or_b32 exec_lo, exec_lo, s11
.LBB4_49:
	s_delay_alu instid0(SALU_CYCLE_1)
	s_or_b32 exec_lo, exec_lo, s10
.LBB4_50:
	s_delay_alu instid0(SALU_CYCLE_1)
	s_or_b32 exec_lo, exec_lo, s9
.LBB4_51:
	s_delay_alu instid0(SALU_CYCLE_1)
	s_or_b32 exec_lo, exec_lo, s6
.LBB4_52:
	s_delay_alu instid0(SALU_CYCLE_1)
	s_or_b32 exec_lo, exec_lo, s3
.LBB4_53:
	s_delay_alu instid0(SALU_CYCLE_1) | instskip(SKIP_3) | instid1(VALU_DEP_2)
	s_or_b32 exec_lo, exec_lo, s2
	v_dual_mul_f32 v19, v11, v17 :: v_dual_mov_b32 v18, 7
	v_mov_b32_e32 v17, 7
	s_mov_b32 s2, exec_lo
	v_cmpx_nle_f32_e64 0x40a00000, |v19|
	s_cbranch_execz .LBB4_65
; %bb.54:
	v_mov_b32_e32 v17, 6
	s_mov_b32 s3, exec_lo
	v_cmpx_nle_f32_e64 0x40600000, |v19|
	s_cbranch_execz .LBB4_64
; %bb.55:
	;; [unrolled: 5-line block ×5, first 2 shown]
	v_mov_b32_e32 v17, 2
	s_mov_b32 s11, exec_lo
	v_cmpx_nle_f32_e64 0x3f400000, |v19|
; %bb.59:
	v_cmp_le_f32_e64 s12, 0x3e800000, |v19|
	s_delay_alu instid0(VALU_DEP_1)
	v_cndmask_b32_e64 v17, 0, 1, s12
; %bb.60:
	s_or_b32 exec_lo, exec_lo, s11
.LBB4_61:
	s_delay_alu instid0(SALU_CYCLE_1)
	s_or_b32 exec_lo, exec_lo, s10
.LBB4_62:
	s_delay_alu instid0(SALU_CYCLE_1)
	s_or_b32 exec_lo, exec_lo, s9
.LBB4_63:
	s_delay_alu instid0(SALU_CYCLE_1)
	s_or_b32 exec_lo, exec_lo, s6
.LBB4_64:
	s_delay_alu instid0(SALU_CYCLE_1)
	s_or_b32 exec_lo, exec_lo, s3
.LBB4_65:
	s_delay_alu instid0(SALU_CYCLE_1) | instskip(SKIP_2) | instid1(VALU_DEP_1)
	s_or_b32 exec_lo, exec_lo, s2
	v_mul_f32_e32 v21, v11, v21
	s_mov_b32 s2, exec_lo
	v_cmpx_nle_f32_e64 0x40a00000, |v21|
	s_cbranch_execz .LBB4_77
; %bb.66:
	v_mov_b32_e32 v18, 6
	s_mov_b32 s3, exec_lo
	v_cmpx_nle_f32_e64 0x40600000, |v21|
	s_cbranch_execz .LBB4_76
; %bb.67:
	v_mov_b32_e32 v18, 5
	;; [unrolled: 5-line block ×5, first 2 shown]
	s_mov_b32 s11, exec_lo
	v_cmpx_nle_f32_e64 0x3f400000, |v21|
; %bb.71:
	v_cmp_le_f32_e64 s12, 0x3e800000, |v21|
	s_delay_alu instid0(VALU_DEP_1)
	v_cndmask_b32_e64 v18, 0, 1, s12
; %bb.72:
	s_or_b32 exec_lo, exec_lo, s11
.LBB4_73:
	s_delay_alu instid0(SALU_CYCLE_1)
	s_or_b32 exec_lo, exec_lo, s10
.LBB4_74:
	s_delay_alu instid0(SALU_CYCLE_1)
	s_or_b32 exec_lo, exec_lo, s9
.LBB4_75:
	s_delay_alu instid0(SALU_CYCLE_1)
	s_or_b32 exec_lo, exec_lo, s6
.LBB4_76:
	s_delay_alu instid0(SALU_CYCLE_1)
	s_or_b32 exec_lo, exec_lo, s3
.LBB4_77:
	s_delay_alu instid0(SALU_CYCLE_1) | instskip(SKIP_3) | instid1(VALU_DEP_2)
	s_or_b32 exec_lo, exec_lo, s2
	v_dual_mul_f32 v25, v11, v23 :: v_dual_mov_b32 v24, 7
	v_mov_b32_e32 v23, 7
	s_mov_b32 s2, exec_lo
	v_cmpx_nle_f32_e64 0x40a00000, |v25|
	s_cbranch_execz .LBB4_89
; %bb.78:
	v_mov_b32_e32 v24, 6
	s_mov_b32 s3, exec_lo
	v_cmpx_nle_f32_e64 0x40600000, |v25|
	s_cbranch_execz .LBB4_88
; %bb.79:
	;; [unrolled: 5-line block ×5, first 2 shown]
	v_mov_b32_e32 v24, 2
	s_mov_b32 s11, exec_lo
	v_cmpx_nle_f32_e64 0x3f400000, |v25|
; %bb.83:
	v_cmp_le_f32_e64 s12, 0x3e800000, |v25|
	s_delay_alu instid0(VALU_DEP_1)
	v_cndmask_b32_e64 v24, 0, 1, s12
; %bb.84:
	s_or_b32 exec_lo, exec_lo, s11
.LBB4_85:
	s_delay_alu instid0(SALU_CYCLE_1)
	s_or_b32 exec_lo, exec_lo, s10
.LBB4_86:
	s_delay_alu instid0(SALU_CYCLE_1)
	s_or_b32 exec_lo, exec_lo, s9
.LBB4_87:
	s_delay_alu instid0(SALU_CYCLE_1)
	s_or_b32 exec_lo, exec_lo, s6
.LBB4_88:
	s_delay_alu instid0(SALU_CYCLE_1)
	s_or_b32 exec_lo, exec_lo, s3
.LBB4_89:
	s_delay_alu instid0(SALU_CYCLE_1) | instskip(SKIP_2) | instid1(VALU_DEP_1)
	s_or_b32 exec_lo, exec_lo, s2
	v_mul_f32_e32 v26, v11, v26
	s_mov_b32 s2, exec_lo
	v_cmpx_nle_f32_e64 0x40a00000, |v26|
	s_cbranch_execz .LBB4_101
; %bb.90:
	v_mov_b32_e32 v23, 6
	s_mov_b32 s3, exec_lo
	v_cmpx_nle_f32_e64 0x40600000, |v26|
	s_cbranch_execz .LBB4_100
; %bb.91:
	v_mov_b32_e32 v23, 5
	;; [unrolled: 5-line block ×5, first 2 shown]
	s_mov_b32 s11, exec_lo
	v_cmpx_nle_f32_e64 0x3f400000, |v26|
; %bb.95:
	v_cmp_le_f32_e64 s12, 0x3e800000, |v26|
	s_delay_alu instid0(VALU_DEP_1)
	v_cndmask_b32_e64 v23, 0, 1, s12
; %bb.96:
	s_or_b32 exec_lo, exec_lo, s11
.LBB4_97:
	s_delay_alu instid0(SALU_CYCLE_1)
	s_or_b32 exec_lo, exec_lo, s10
.LBB4_98:
	s_delay_alu instid0(SALU_CYCLE_1)
	s_or_b32 exec_lo, exec_lo, s9
.LBB4_99:
	s_delay_alu instid0(SALU_CYCLE_1)
	s_or_b32 exec_lo, exec_lo, s6
.LBB4_100:
	s_delay_alu instid0(SALU_CYCLE_1)
	s_or_b32 exec_lo, exec_lo, s3
.LBB4_101:
	s_delay_alu instid0(SALU_CYCLE_1) | instskip(SKIP_3) | instid1(VALU_DEP_2)
	s_or_b32 exec_lo, exec_lo, s2
	v_dual_mul_f32 v31, v11, v28 :: v_dual_mov_b32 v28, 7
	v_mov_b32_e32 v30, 7
	s_mov_b32 s2, exec_lo
	v_cmpx_nle_f32_e64 0x40a00000, |v31|
	s_cbranch_execz .LBB4_113
; %bb.102:
	v_mov_b32_e32 v30, 6
	s_mov_b32 s3, exec_lo
	v_cmpx_nle_f32_e64 0x40600000, |v31|
	s_cbranch_execz .LBB4_112
; %bb.103:
	;; [unrolled: 5-line block ×5, first 2 shown]
	v_mov_b32_e32 v30, 2
	s_mov_b32 s11, exec_lo
	v_cmpx_nle_f32_e64 0x3f400000, |v31|
; %bb.107:
	v_cmp_le_f32_e64 s12, 0x3e800000, |v31|
	s_delay_alu instid0(VALU_DEP_1)
	v_cndmask_b32_e64 v30, 0, 1, s12
; %bb.108:
	s_or_b32 exec_lo, exec_lo, s11
.LBB4_109:
	s_delay_alu instid0(SALU_CYCLE_1)
	s_or_b32 exec_lo, exec_lo, s10
.LBB4_110:
	s_delay_alu instid0(SALU_CYCLE_1)
	s_or_b32 exec_lo, exec_lo, s9
.LBB4_111:
	s_delay_alu instid0(SALU_CYCLE_1)
	s_or_b32 exec_lo, exec_lo, s6
.LBB4_112:
	s_delay_alu instid0(SALU_CYCLE_1)
	s_or_b32 exec_lo, exec_lo, s3
.LBB4_113:
	s_delay_alu instid0(SALU_CYCLE_1) | instskip(SKIP_2) | instid1(VALU_DEP_1)
	s_or_b32 exec_lo, exec_lo, s2
	v_mul_f32_e32 v32, v11, v32
	s_mov_b32 s2, exec_lo
	v_cmpx_nle_f32_e64 0x40a00000, |v32|
	s_cbranch_execz .LBB4_125
; %bb.114:
	v_mov_b32_e32 v28, 6
	s_mov_b32 s3, exec_lo
	v_cmpx_nle_f32_e64 0x40600000, |v32|
	s_cbranch_execz .LBB4_124
; %bb.115:
	v_mov_b32_e32 v28, 5
	;; [unrolled: 5-line block ×5, first 2 shown]
	s_mov_b32 s11, exec_lo
	v_cmpx_nle_f32_e64 0x3f400000, |v32|
; %bb.119:
	v_cmp_le_f32_e64 s12, 0x3e800000, |v32|
	s_delay_alu instid0(VALU_DEP_1)
	v_cndmask_b32_e64 v28, 0, 1, s12
; %bb.120:
	s_or_b32 exec_lo, exec_lo, s11
.LBB4_121:
	s_delay_alu instid0(SALU_CYCLE_1)
	s_or_b32 exec_lo, exec_lo, s10
.LBB4_122:
	s_delay_alu instid0(SALU_CYCLE_1)
	s_or_b32 exec_lo, exec_lo, s9
.LBB4_123:
	s_delay_alu instid0(SALU_CYCLE_1)
	s_or_b32 exec_lo, exec_lo, s6
.LBB4_124:
	s_delay_alu instid0(SALU_CYCLE_1)
	s_or_b32 exec_lo, exec_lo, s3
.LBB4_125:
	s_delay_alu instid0(SALU_CYCLE_1) | instskip(SKIP_3) | instid1(VALU_DEP_2)
	s_or_b32 exec_lo, exec_lo, s2
	v_dual_mul_f32 v37, v11, v35 :: v_dual_mov_b32 v36, 7
	v_mov_b32_e32 v35, 7
	s_mov_b32 s2, exec_lo
	v_cmpx_nle_f32_e64 0x40a00000, |v37|
	s_cbranch_execz .LBB4_137
; %bb.126:
	v_mov_b32_e32 v36, 6
	s_mov_b32 s3, exec_lo
	v_cmpx_nle_f32_e64 0x40600000, |v37|
	s_cbranch_execz .LBB4_136
; %bb.127:
	;; [unrolled: 5-line block ×5, first 2 shown]
	v_mov_b32_e32 v36, 2
	s_mov_b32 s11, exec_lo
	v_cmpx_nle_f32_e64 0x3f400000, |v37|
; %bb.131:
	v_cmp_le_f32_e64 s12, 0x3e800000, |v37|
	s_delay_alu instid0(VALU_DEP_1)
	v_cndmask_b32_e64 v36, 0, 1, s12
; %bb.132:
	s_or_b32 exec_lo, exec_lo, s11
.LBB4_133:
	s_delay_alu instid0(SALU_CYCLE_1)
	s_or_b32 exec_lo, exec_lo, s10
.LBB4_134:
	s_delay_alu instid0(SALU_CYCLE_1)
	s_or_b32 exec_lo, exec_lo, s9
.LBB4_135:
	s_delay_alu instid0(SALU_CYCLE_1)
	s_or_b32 exec_lo, exec_lo, s6
.LBB4_136:
	s_delay_alu instid0(SALU_CYCLE_1)
	s_or_b32 exec_lo, exec_lo, s3
.LBB4_137:
	s_delay_alu instid0(SALU_CYCLE_1) | instskip(SKIP_2) | instid1(VALU_DEP_1)
	s_or_b32 exec_lo, exec_lo, s2
	v_mul_f32_e32 v38, v11, v38
	s_mov_b32 s2, exec_lo
	v_cmpx_nle_f32_e64 0x40a00000, |v38|
	s_cbranch_execz .LBB4_149
; %bb.138:
	v_mov_b32_e32 v35, 6
	s_mov_b32 s3, exec_lo
	v_cmpx_nle_f32_e64 0x40600000, |v38|
	s_cbranch_execz .LBB4_148
; %bb.139:
	v_mov_b32_e32 v35, 5
	;; [unrolled: 5-line block ×5, first 2 shown]
	s_mov_b32 s11, exec_lo
	v_cmpx_nle_f32_e64 0x3f400000, |v38|
; %bb.143:
	v_cmp_le_f32_e64 s12, 0x3e800000, |v38|
	s_delay_alu instid0(VALU_DEP_1)
	v_cndmask_b32_e64 v35, 0, 1, s12
; %bb.144:
	s_or_b32 exec_lo, exec_lo, s11
.LBB4_145:
	s_delay_alu instid0(SALU_CYCLE_1)
	s_or_b32 exec_lo, exec_lo, s10
.LBB4_146:
	s_delay_alu instid0(SALU_CYCLE_1)
	s_or_b32 exec_lo, exec_lo, s9
.LBB4_147:
	s_delay_alu instid0(SALU_CYCLE_1)
	s_or_b32 exec_lo, exec_lo, s6
.LBB4_148:
	s_delay_alu instid0(SALU_CYCLE_1)
	s_or_b32 exec_lo, exec_lo, s3
.LBB4_149:
	s_delay_alu instid0(SALU_CYCLE_1) | instskip(SKIP_3) | instid1(VALU_DEP_2)
	s_or_b32 exec_lo, exec_lo, s2
	v_dual_mul_f32 v44, v11, v40 :: v_dual_mov_b32 v45, 7
	v_mov_b32_e32 v40, 7
	s_mov_b32 s2, exec_lo
	v_cmpx_nle_f32_e64 0x40a00000, |v44|
	s_cbranch_execz .LBB4_161
; %bb.150:
	v_mov_b32_e32 v45, 6
	s_mov_b32 s3, exec_lo
	v_cmpx_nle_f32_e64 0x40600000, |v44|
	s_cbranch_execz .LBB4_160
; %bb.151:
	;; [unrolled: 5-line block ×5, first 2 shown]
	v_mov_b32_e32 v45, 2
	s_mov_b32 s11, exec_lo
	v_cmpx_nle_f32_e64 0x3f400000, |v44|
; %bb.155:
	v_cmp_le_f32_e64 s12, 0x3e800000, |v44|
	s_delay_alu instid0(VALU_DEP_1)
	v_cndmask_b32_e64 v45, 0, 1, s12
; %bb.156:
	s_or_b32 exec_lo, exec_lo, s11
.LBB4_157:
	s_delay_alu instid0(SALU_CYCLE_1)
	s_or_b32 exec_lo, exec_lo, s10
.LBB4_158:
	s_delay_alu instid0(SALU_CYCLE_1)
	s_or_b32 exec_lo, exec_lo, s9
.LBB4_159:
	s_delay_alu instid0(SALU_CYCLE_1)
	s_or_b32 exec_lo, exec_lo, s6
.LBB4_160:
	s_delay_alu instid0(SALU_CYCLE_1)
	s_or_b32 exec_lo, exec_lo, s3
.LBB4_161:
	s_delay_alu instid0(SALU_CYCLE_1) | instskip(SKIP_2) | instid1(VALU_DEP_1)
	s_or_b32 exec_lo, exec_lo, s2
	v_mul_f32_e32 v42, v11, v42
	s_mov_b32 s2, exec_lo
	v_cmpx_nle_f32_e64 0x40a00000, |v42|
	s_cbranch_execz .LBB4_173
; %bb.162:
	v_mov_b32_e32 v40, 6
	s_mov_b32 s3, exec_lo
	v_cmpx_nle_f32_e64 0x40600000, |v42|
	s_cbranch_execz .LBB4_172
; %bb.163:
	v_mov_b32_e32 v40, 5
	;; [unrolled: 5-line block ×5, first 2 shown]
	s_mov_b32 s11, exec_lo
	v_cmpx_nle_f32_e64 0x3f400000, |v42|
; %bb.167:
	v_cmp_le_f32_e64 s12, 0x3e800000, |v42|
	s_delay_alu instid0(VALU_DEP_1)
	v_cndmask_b32_e64 v40, 0, 1, s12
; %bb.168:
	s_or_b32 exec_lo, exec_lo, s11
.LBB4_169:
	s_delay_alu instid0(SALU_CYCLE_1)
	s_or_b32 exec_lo, exec_lo, s10
.LBB4_170:
	s_delay_alu instid0(SALU_CYCLE_1)
	s_or_b32 exec_lo, exec_lo, s9
.LBB4_171:
	s_delay_alu instid0(SALU_CYCLE_1)
	s_or_b32 exec_lo, exec_lo, s6
.LBB4_172:
	s_delay_alu instid0(SALU_CYCLE_1)
	s_or_b32 exec_lo, exec_lo, s3
.LBB4_173:
	s_delay_alu instid0(SALU_CYCLE_1) | instskip(SKIP_3) | instid1(VALU_DEP_2)
	s_or_b32 exec_lo, exec_lo, s2
	v_dual_mul_f32 v51, v11, v46 :: v_dual_mov_b32 v46, 7
	v_mov_b32_e32 v50, 7
	s_mov_b32 s2, exec_lo
	v_cmpx_nle_f32_e64 0x40a00000, |v51|
	s_cbranch_execz .LBB4_185
; %bb.174:
	v_mov_b32_e32 v50, 6
	s_mov_b32 s3, exec_lo
	v_cmpx_nle_f32_e64 0x40600000, |v51|
	s_cbranch_execz .LBB4_184
; %bb.175:
	;; [unrolled: 5-line block ×5, first 2 shown]
	v_mov_b32_e32 v50, 2
	s_mov_b32 s11, exec_lo
	v_cmpx_nle_f32_e64 0x3f400000, |v51|
; %bb.179:
	v_cmp_le_f32_e64 s12, 0x3e800000, |v51|
	s_delay_alu instid0(VALU_DEP_1)
	v_cndmask_b32_e64 v50, 0, 1, s12
; %bb.180:
	s_or_b32 exec_lo, exec_lo, s11
.LBB4_181:
	s_delay_alu instid0(SALU_CYCLE_1)
	s_or_b32 exec_lo, exec_lo, s10
.LBB4_182:
	s_delay_alu instid0(SALU_CYCLE_1)
	s_or_b32 exec_lo, exec_lo, s9
.LBB4_183:
	s_delay_alu instid0(SALU_CYCLE_1)
	s_or_b32 exec_lo, exec_lo, s6
.LBB4_184:
	s_delay_alu instid0(SALU_CYCLE_1)
	s_or_b32 exec_lo, exec_lo, s3
.LBB4_185:
	s_delay_alu instid0(SALU_CYCLE_1) | instskip(SKIP_2) | instid1(VALU_DEP_1)
	s_or_b32 exec_lo, exec_lo, s2
	v_mul_f32_e32 v48, v11, v48
	s_mov_b32 s2, exec_lo
	v_cmpx_nle_f32_e64 0x40a00000, |v48|
	s_cbranch_execz .LBB4_197
; %bb.186:
	v_mov_b32_e32 v46, 6
	s_mov_b32 s3, exec_lo
	v_cmpx_nle_f32_e64 0x40600000, |v48|
	s_cbranch_execz .LBB4_196
; %bb.187:
	v_mov_b32_e32 v46, 5
	;; [unrolled: 5-line block ×5, first 2 shown]
	s_mov_b32 s11, exec_lo
	v_cmpx_nle_f32_e64 0x3f400000, |v48|
; %bb.191:
	v_cmp_le_f32_e64 s12, 0x3e800000, |v48|
	s_delay_alu instid0(VALU_DEP_1)
	v_cndmask_b32_e64 v46, 0, 1, s12
; %bb.192:
	s_or_b32 exec_lo, exec_lo, s11
.LBB4_193:
	s_delay_alu instid0(SALU_CYCLE_1)
	s_or_b32 exec_lo, exec_lo, s10
.LBB4_194:
	s_delay_alu instid0(SALU_CYCLE_1)
	s_or_b32 exec_lo, exec_lo, s9
.LBB4_195:
	s_delay_alu instid0(SALU_CYCLE_1)
	s_or_b32 exec_lo, exec_lo, s6
.LBB4_196:
	s_delay_alu instid0(SALU_CYCLE_1)
	s_or_b32 exec_lo, exec_lo, s3
.LBB4_197:
	s_delay_alu instid0(SALU_CYCLE_1) | instskip(SKIP_3) | instid1(VALU_DEP_2)
	s_or_b32 exec_lo, exec_lo, s2
	v_dual_mul_f32 v55, v11, v52 :: v_dual_mov_b32 v52, 7
	v_mov_b32_e32 v54, 7
	s_mov_b32 s2, exec_lo
	v_cmpx_nle_f32_e64 0x40a00000, |v55|
	s_cbranch_execz .LBB4_209
; %bb.198:
	v_mov_b32_e32 v54, 6
	s_mov_b32 s3, exec_lo
	v_cmpx_nle_f32_e64 0x40600000, |v55|
	s_cbranch_execz .LBB4_208
; %bb.199:
	;; [unrolled: 5-line block ×5, first 2 shown]
	v_mov_b32_e32 v54, 2
	s_mov_b32 s11, exec_lo
	v_cmpx_nle_f32_e64 0x3f400000, |v55|
; %bb.203:
	v_cmp_le_f32_e64 s12, 0x3e800000, |v55|
	s_delay_alu instid0(VALU_DEP_1)
	v_cndmask_b32_e64 v54, 0, 1, s12
; %bb.204:
	s_or_b32 exec_lo, exec_lo, s11
.LBB4_205:
	s_delay_alu instid0(SALU_CYCLE_1)
	s_or_b32 exec_lo, exec_lo, s10
.LBB4_206:
	s_delay_alu instid0(SALU_CYCLE_1)
	s_or_b32 exec_lo, exec_lo, s9
.LBB4_207:
	s_delay_alu instid0(SALU_CYCLE_1)
	s_or_b32 exec_lo, exec_lo, s6
.LBB4_208:
	s_delay_alu instid0(SALU_CYCLE_1)
	s_or_b32 exec_lo, exec_lo, s3
.LBB4_209:
	s_delay_alu instid0(SALU_CYCLE_1) | instskip(SKIP_2) | instid1(VALU_DEP_1)
	s_or_b32 exec_lo, exec_lo, s2
	v_mul_f32_e32 v53, v11, v53
	s_mov_b32 s2, exec_lo
	v_cmpx_nle_f32_e64 0x40a00000, |v53|
	s_cbranch_execz .LBB4_221
; %bb.210:
	v_mov_b32_e32 v52, 6
	s_mov_b32 s3, exec_lo
	v_cmpx_nle_f32_e64 0x40600000, |v53|
	s_cbranch_execz .LBB4_220
; %bb.211:
	v_mov_b32_e32 v52, 5
	;; [unrolled: 5-line block ×5, first 2 shown]
	s_mov_b32 s11, exec_lo
	v_cmpx_nle_f32_e64 0x3f400000, |v53|
; %bb.215:
	v_cmp_le_f32_e64 s12, 0x3e800000, |v53|
	s_delay_alu instid0(VALU_DEP_1)
	v_cndmask_b32_e64 v52, 0, 1, s12
; %bb.216:
	s_or_b32 exec_lo, exec_lo, s11
.LBB4_217:
	s_delay_alu instid0(SALU_CYCLE_1)
	s_or_b32 exec_lo, exec_lo, s10
.LBB4_218:
	s_delay_alu instid0(SALU_CYCLE_1)
	s_or_b32 exec_lo, exec_lo, s9
.LBB4_219:
	s_delay_alu instid0(SALU_CYCLE_1)
	s_or_b32 exec_lo, exec_lo, s6
.LBB4_220:
	s_delay_alu instid0(SALU_CYCLE_1)
	s_or_b32 exec_lo, exec_lo, s3
.LBB4_221:
	s_delay_alu instid0(SALU_CYCLE_1) | instskip(SKIP_3) | instid1(VALU_DEP_2)
	s_or_b32 exec_lo, exec_lo, s2
	v_dual_mul_f32 v57, v11, v49 :: v_dual_mov_b32 v56, 7
	v_mov_b32_e32 v49, 7
	s_mov_b32 s2, exec_lo
	v_cmpx_nle_f32_e64 0x40a00000, |v57|
	s_cbranch_execz .LBB4_233
; %bb.222:
	v_mov_b32_e32 v56, 6
	s_mov_b32 s3, exec_lo
	v_cmpx_nle_f32_e64 0x40600000, |v57|
	s_cbranch_execz .LBB4_232
; %bb.223:
	;; [unrolled: 5-line block ×5, first 2 shown]
	v_mov_b32_e32 v56, 2
	s_mov_b32 s11, exec_lo
	v_cmpx_nle_f32_e64 0x3f400000, |v57|
; %bb.227:
	v_cmp_le_f32_e64 s12, 0x3e800000, |v57|
	s_delay_alu instid0(VALU_DEP_1)
	v_cndmask_b32_e64 v56, 0, 1, s12
; %bb.228:
	s_or_b32 exec_lo, exec_lo, s11
.LBB4_229:
	s_delay_alu instid0(SALU_CYCLE_1)
	s_or_b32 exec_lo, exec_lo, s10
.LBB4_230:
	s_delay_alu instid0(SALU_CYCLE_1)
	s_or_b32 exec_lo, exec_lo, s9
.LBB4_231:
	s_delay_alu instid0(SALU_CYCLE_1)
	s_or_b32 exec_lo, exec_lo, s6
.LBB4_232:
	s_delay_alu instid0(SALU_CYCLE_1)
	s_or_b32 exec_lo, exec_lo, s3
.LBB4_233:
	s_delay_alu instid0(SALU_CYCLE_1) | instskip(SKIP_2) | instid1(VALU_DEP_1)
	s_or_b32 exec_lo, exec_lo, s2
	v_mul_f32_e32 v47, v11, v47
	s_mov_b32 s2, exec_lo
	v_cmpx_nle_f32_e64 0x40a00000, |v47|
	s_cbranch_execz .LBB4_245
; %bb.234:
	v_mov_b32_e32 v49, 6
	s_mov_b32 s3, exec_lo
	v_cmpx_nle_f32_e64 0x40600000, |v47|
	s_cbranch_execz .LBB4_244
; %bb.235:
	v_mov_b32_e32 v49, 5
	;; [unrolled: 5-line block ×5, first 2 shown]
	s_mov_b32 s11, exec_lo
	v_cmpx_nle_f32_e64 0x3f400000, |v47|
; %bb.239:
	v_cmp_le_f32_e64 s12, 0x3e800000, |v47|
	s_delay_alu instid0(VALU_DEP_1)
	v_cndmask_b32_e64 v49, 0, 1, s12
; %bb.240:
	s_or_b32 exec_lo, exec_lo, s11
.LBB4_241:
	s_delay_alu instid0(SALU_CYCLE_1)
	s_or_b32 exec_lo, exec_lo, s10
.LBB4_242:
	s_delay_alu instid0(SALU_CYCLE_1)
	s_or_b32 exec_lo, exec_lo, s9
.LBB4_243:
	s_delay_alu instid0(SALU_CYCLE_1)
	s_or_b32 exec_lo, exec_lo, s6
.LBB4_244:
	s_delay_alu instid0(SALU_CYCLE_1)
	s_or_b32 exec_lo, exec_lo, s3
.LBB4_245:
	s_delay_alu instid0(SALU_CYCLE_1) | instskip(SKIP_3) | instid1(VALU_DEP_2)
	s_or_b32 exec_lo, exec_lo, s2
	v_dual_mul_f32 v59, v11, v43 :: v_dual_mov_b32 v58, 7
	v_mov_b32_e32 v43, 7
	s_mov_b32 s2, exec_lo
	v_cmpx_nle_f32_e64 0x40a00000, |v59|
	s_cbranch_execz .LBB4_257
; %bb.246:
	v_mov_b32_e32 v58, 6
	s_mov_b32 s3, exec_lo
	v_cmpx_nle_f32_e64 0x40600000, |v59|
	s_cbranch_execz .LBB4_256
; %bb.247:
	;; [unrolled: 5-line block ×5, first 2 shown]
	v_mov_b32_e32 v58, 2
	s_mov_b32 s11, exec_lo
	v_cmpx_nle_f32_e64 0x3f400000, |v59|
; %bb.251:
	v_cmp_le_f32_e64 s12, 0x3e800000, |v59|
	s_delay_alu instid0(VALU_DEP_1)
	v_cndmask_b32_e64 v58, 0, 1, s12
; %bb.252:
	s_or_b32 exec_lo, exec_lo, s11
.LBB4_253:
	s_delay_alu instid0(SALU_CYCLE_1)
	s_or_b32 exec_lo, exec_lo, s10
.LBB4_254:
	s_delay_alu instid0(SALU_CYCLE_1)
	s_or_b32 exec_lo, exec_lo, s9
.LBB4_255:
	s_delay_alu instid0(SALU_CYCLE_1)
	s_or_b32 exec_lo, exec_lo, s6
.LBB4_256:
	s_delay_alu instid0(SALU_CYCLE_1)
	s_or_b32 exec_lo, exec_lo, s3
.LBB4_257:
	s_delay_alu instid0(SALU_CYCLE_1) | instskip(SKIP_2) | instid1(VALU_DEP_1)
	s_or_b32 exec_lo, exec_lo, s2
	v_mul_f32_e32 v41, v11, v41
	s_mov_b32 s2, exec_lo
	v_cmpx_nle_f32_e64 0x40a00000, |v41|
	s_cbranch_execz .LBB4_269
; %bb.258:
	v_mov_b32_e32 v43, 6
	s_mov_b32 s3, exec_lo
	v_cmpx_nle_f32_e64 0x40600000, |v41|
	s_cbranch_execz .LBB4_268
; %bb.259:
	v_mov_b32_e32 v43, 5
	;; [unrolled: 5-line block ×5, first 2 shown]
	s_mov_b32 s11, exec_lo
	v_cmpx_nle_f32_e64 0x3f400000, |v41|
; %bb.263:
	v_cmp_le_f32_e64 s12, 0x3e800000, |v41|
	s_delay_alu instid0(VALU_DEP_1)
	v_cndmask_b32_e64 v43, 0, 1, s12
; %bb.264:
	s_or_b32 exec_lo, exec_lo, s11
.LBB4_265:
	s_delay_alu instid0(SALU_CYCLE_1)
	s_or_b32 exec_lo, exec_lo, s10
.LBB4_266:
	s_delay_alu instid0(SALU_CYCLE_1)
	s_or_b32 exec_lo, exec_lo, s9
.LBB4_267:
	s_delay_alu instid0(SALU_CYCLE_1)
	s_or_b32 exec_lo, exec_lo, s6
.LBB4_268:
	s_delay_alu instid0(SALU_CYCLE_1)
	s_or_b32 exec_lo, exec_lo, s3
.LBB4_269:
	s_delay_alu instid0(SALU_CYCLE_1) | instskip(SKIP_3) | instid1(VALU_DEP_2)
	s_or_b32 exec_lo, exec_lo, s2
	v_dual_mul_f32 v60, v11, v39 :: v_dual_mov_b32 v39, 7
	v_mov_b32_e32 v61, 7
	s_mov_b32 s2, exec_lo
	v_cmpx_nle_f32_e64 0x40a00000, |v60|
	s_cbranch_execz .LBB4_281
; %bb.270:
	v_mov_b32_e32 v61, 6
	s_mov_b32 s3, exec_lo
	v_cmpx_nle_f32_e64 0x40600000, |v60|
	s_cbranch_execz .LBB4_280
; %bb.271:
	;; [unrolled: 5-line block ×5, first 2 shown]
	v_mov_b32_e32 v61, 2
	s_mov_b32 s11, exec_lo
	v_cmpx_nle_f32_e64 0x3f400000, |v60|
; %bb.275:
	v_cmp_le_f32_e64 s12, 0x3e800000, |v60|
	s_delay_alu instid0(VALU_DEP_1)
	v_cndmask_b32_e64 v61, 0, 1, s12
; %bb.276:
	s_or_b32 exec_lo, exec_lo, s11
.LBB4_277:
	s_delay_alu instid0(SALU_CYCLE_1)
	s_or_b32 exec_lo, exec_lo, s10
.LBB4_278:
	s_delay_alu instid0(SALU_CYCLE_1)
	s_or_b32 exec_lo, exec_lo, s9
.LBB4_279:
	s_delay_alu instid0(SALU_CYCLE_1)
	s_or_b32 exec_lo, exec_lo, s6
.LBB4_280:
	s_delay_alu instid0(SALU_CYCLE_1)
	s_or_b32 exec_lo, exec_lo, s3
.LBB4_281:
	s_delay_alu instid0(SALU_CYCLE_1) | instskip(SKIP_2) | instid1(VALU_DEP_1)
	s_or_b32 exec_lo, exec_lo, s2
	v_mul_f32_e32 v34, v11, v34
	s_mov_b32 s2, exec_lo
	v_cmpx_nle_f32_e64 0x40a00000, |v34|
	s_cbranch_execz .LBB4_293
; %bb.282:
	v_mov_b32_e32 v39, 6
	s_mov_b32 s3, exec_lo
	v_cmpx_nle_f32_e64 0x40600000, |v34|
	s_cbranch_execz .LBB4_292
; %bb.283:
	v_mov_b32_e32 v39, 5
	;; [unrolled: 5-line block ×5, first 2 shown]
	s_mov_b32 s11, exec_lo
	v_cmpx_nle_f32_e64 0x3f400000, |v34|
; %bb.287:
	v_cmp_le_f32_e64 s12, 0x3e800000, |v34|
	s_delay_alu instid0(VALU_DEP_1)
	v_cndmask_b32_e64 v39, 0, 1, s12
; %bb.288:
	s_or_b32 exec_lo, exec_lo, s11
.LBB4_289:
	s_delay_alu instid0(SALU_CYCLE_1)
	s_or_b32 exec_lo, exec_lo, s10
.LBB4_290:
	s_delay_alu instid0(SALU_CYCLE_1)
	s_or_b32 exec_lo, exec_lo, s9
.LBB4_291:
	s_delay_alu instid0(SALU_CYCLE_1)
	s_or_b32 exec_lo, exec_lo, s6
.LBB4_292:
	s_delay_alu instid0(SALU_CYCLE_1)
	s_or_b32 exec_lo, exec_lo, s3
.LBB4_293:
	s_delay_alu instid0(SALU_CYCLE_1) | instskip(SKIP_3) | instid1(VALU_DEP_2)
	s_or_b32 exec_lo, exec_lo, s2
	v_dual_mul_f32 v63, v11, v33 :: v_dual_mov_b32 v62, 7
	v_mov_b32_e32 v33, 7
	s_mov_b32 s2, exec_lo
	v_cmpx_nle_f32_e64 0x40a00000, |v63|
	s_cbranch_execz .LBB4_305
; %bb.294:
	v_mov_b32_e32 v62, 6
	s_mov_b32 s3, exec_lo
	v_cmpx_nle_f32_e64 0x40600000, |v63|
	s_cbranch_execz .LBB4_304
; %bb.295:
	;; [unrolled: 5-line block ×5, first 2 shown]
	v_mov_b32_e32 v62, 2
	s_mov_b32 s11, exec_lo
	v_cmpx_nle_f32_e64 0x3f400000, |v63|
; %bb.299:
	v_cmp_le_f32_e64 s12, 0x3e800000, |v63|
	s_delay_alu instid0(VALU_DEP_1)
	v_cndmask_b32_e64 v62, 0, 1, s12
; %bb.300:
	s_or_b32 exec_lo, exec_lo, s11
.LBB4_301:
	s_delay_alu instid0(SALU_CYCLE_1)
	s_or_b32 exec_lo, exec_lo, s10
.LBB4_302:
	s_delay_alu instid0(SALU_CYCLE_1)
	s_or_b32 exec_lo, exec_lo, s9
.LBB4_303:
	s_delay_alu instid0(SALU_CYCLE_1)
	s_or_b32 exec_lo, exec_lo, s6
.LBB4_304:
	s_delay_alu instid0(SALU_CYCLE_1)
	s_or_b32 exec_lo, exec_lo, s3
.LBB4_305:
	s_delay_alu instid0(SALU_CYCLE_1) | instskip(SKIP_2) | instid1(VALU_DEP_1)
	s_or_b32 exec_lo, exec_lo, s2
	v_mul_f32_e32 v29, v11, v29
	s_mov_b32 s2, exec_lo
	v_cmpx_nle_f32_e64 0x40a00000, |v29|
	s_cbranch_execz .LBB4_317
; %bb.306:
	v_mov_b32_e32 v33, 6
	s_mov_b32 s3, exec_lo
	v_cmpx_nle_f32_e64 0x40600000, |v29|
	s_cbranch_execz .LBB4_316
; %bb.307:
	v_mov_b32_e32 v33, 5
	;; [unrolled: 5-line block ×5, first 2 shown]
	s_mov_b32 s11, exec_lo
	v_cmpx_nle_f32_e64 0x3f400000, |v29|
; %bb.311:
	v_cmp_le_f32_e64 s12, 0x3e800000, |v29|
	s_delay_alu instid0(VALU_DEP_1)
	v_cndmask_b32_e64 v33, 0, 1, s12
; %bb.312:
	s_or_b32 exec_lo, exec_lo, s11
.LBB4_313:
	s_delay_alu instid0(SALU_CYCLE_1)
	s_or_b32 exec_lo, exec_lo, s10
.LBB4_314:
	s_delay_alu instid0(SALU_CYCLE_1)
	s_or_b32 exec_lo, exec_lo, s9
.LBB4_315:
	s_delay_alu instid0(SALU_CYCLE_1)
	s_or_b32 exec_lo, exec_lo, s6
.LBB4_316:
	s_delay_alu instid0(SALU_CYCLE_1)
	s_or_b32 exec_lo, exec_lo, s3
.LBB4_317:
	s_delay_alu instid0(SALU_CYCLE_1) | instskip(SKIP_3) | instid1(VALU_DEP_2)
	s_or_b32 exec_lo, exec_lo, s2
	v_dual_mul_f32 v65, v11, v27 :: v_dual_mov_b32 v64, 7
	v_mov_b32_e32 v27, 7
	s_mov_b32 s2, exec_lo
	v_cmpx_nle_f32_e64 0x40a00000, |v65|
	s_cbranch_execz .LBB4_329
; %bb.318:
	v_mov_b32_e32 v64, 6
	s_mov_b32 s3, exec_lo
	v_cmpx_nle_f32_e64 0x40600000, |v65|
	s_cbranch_execz .LBB4_328
; %bb.319:
	;; [unrolled: 5-line block ×5, first 2 shown]
	v_mov_b32_e32 v64, 2
	s_mov_b32 s11, exec_lo
	v_cmpx_nle_f32_e64 0x3f400000, |v65|
; %bb.323:
	v_cmp_le_f32_e64 s12, 0x3e800000, |v65|
	s_delay_alu instid0(VALU_DEP_1)
	v_cndmask_b32_e64 v64, 0, 1, s12
; %bb.324:
	s_or_b32 exec_lo, exec_lo, s11
.LBB4_325:
	s_delay_alu instid0(SALU_CYCLE_1)
	s_or_b32 exec_lo, exec_lo, s10
.LBB4_326:
	s_delay_alu instid0(SALU_CYCLE_1)
	s_or_b32 exec_lo, exec_lo, s9
.LBB4_327:
	s_delay_alu instid0(SALU_CYCLE_1)
	s_or_b32 exec_lo, exec_lo, s6
.LBB4_328:
	s_delay_alu instid0(SALU_CYCLE_1)
	s_or_b32 exec_lo, exec_lo, s3
.LBB4_329:
	s_delay_alu instid0(SALU_CYCLE_1) | instskip(SKIP_2) | instid1(VALU_DEP_1)
	s_or_b32 exec_lo, exec_lo, s2
	v_mul_f32_e32 v22, v11, v22
	s_mov_b32 s2, exec_lo
	v_cmpx_nle_f32_e64 0x40a00000, |v22|
	s_cbranch_execz .LBB4_341
; %bb.330:
	v_mov_b32_e32 v27, 6
	s_mov_b32 s3, exec_lo
	v_cmpx_nle_f32_e64 0x40600000, |v22|
	s_cbranch_execz .LBB4_340
; %bb.331:
	v_mov_b32_e32 v27, 5
	;; [unrolled: 5-line block ×5, first 2 shown]
	s_mov_b32 s11, exec_lo
	v_cmpx_nle_f32_e64 0x3f400000, |v22|
; %bb.335:
	v_cmp_le_f32_e64 s12, 0x3e800000, |v22|
	s_delay_alu instid0(VALU_DEP_1)
	v_cndmask_b32_e64 v27, 0, 1, s12
; %bb.336:
	s_or_b32 exec_lo, exec_lo, s11
.LBB4_337:
	s_delay_alu instid0(SALU_CYCLE_1)
	s_or_b32 exec_lo, exec_lo, s10
.LBB4_338:
	s_delay_alu instid0(SALU_CYCLE_1)
	s_or_b32 exec_lo, exec_lo, s9
.LBB4_339:
	s_delay_alu instid0(SALU_CYCLE_1)
	s_or_b32 exec_lo, exec_lo, s6
.LBB4_340:
	s_delay_alu instid0(SALU_CYCLE_1)
	s_or_b32 exec_lo, exec_lo, s3
.LBB4_341:
	s_delay_alu instid0(SALU_CYCLE_1) | instskip(SKIP_3) | instid1(VALU_DEP_2)
	s_or_b32 exec_lo, exec_lo, s2
	v_dual_mul_f32 v67, v11, v20 :: v_dual_mov_b32 v20, 7
	v_mov_b32_e32 v66, 7
	s_mov_b32 s2, exec_lo
	v_cmpx_nle_f32_e64 0x40a00000, |v67|
	s_cbranch_execz .LBB4_353
; %bb.342:
	v_mov_b32_e32 v66, 6
	s_mov_b32 s3, exec_lo
	v_cmpx_nle_f32_e64 0x40600000, |v67|
	s_cbranch_execz .LBB4_352
; %bb.343:
	;; [unrolled: 5-line block ×5, first 2 shown]
	v_mov_b32_e32 v66, 2
	s_mov_b32 s11, exec_lo
	v_cmpx_nle_f32_e64 0x3f400000, |v67|
; %bb.347:
	v_cmp_le_f32_e64 s12, 0x3e800000, |v67|
	s_delay_alu instid0(VALU_DEP_1)
	v_cndmask_b32_e64 v66, 0, 1, s12
; %bb.348:
	s_or_b32 exec_lo, exec_lo, s11
.LBB4_349:
	s_delay_alu instid0(SALU_CYCLE_1)
	s_or_b32 exec_lo, exec_lo, s10
.LBB4_350:
	s_delay_alu instid0(SALU_CYCLE_1)
	s_or_b32 exec_lo, exec_lo, s9
.LBB4_351:
	s_delay_alu instid0(SALU_CYCLE_1)
	s_or_b32 exec_lo, exec_lo, s6
.LBB4_352:
	s_delay_alu instid0(SALU_CYCLE_1)
	s_or_b32 exec_lo, exec_lo, s3
.LBB4_353:
	s_delay_alu instid0(SALU_CYCLE_1) | instskip(SKIP_2) | instid1(VALU_DEP_1)
	s_or_b32 exec_lo, exec_lo, s2
	v_mul_f32_e32 v16, v11, v16
	s_mov_b32 s2, exec_lo
	v_cmpx_nle_f32_e64 0x40a00000, |v16|
	s_cbranch_execz .LBB4_365
; %bb.354:
	v_mov_b32_e32 v20, 6
	s_mov_b32 s3, exec_lo
	v_cmpx_nle_f32_e64 0x40600000, |v16|
	s_cbranch_execz .LBB4_364
; %bb.355:
	v_mov_b32_e32 v20, 5
	;; [unrolled: 5-line block ×5, first 2 shown]
	s_mov_b32 s11, exec_lo
	v_cmpx_nle_f32_e64 0x3f400000, |v16|
; %bb.359:
	v_cmp_le_f32_e64 s12, 0x3e800000, |v16|
	s_delay_alu instid0(VALU_DEP_1)
	v_cndmask_b32_e64 v20, 0, 1, s12
; %bb.360:
	s_or_b32 exec_lo, exec_lo, s11
.LBB4_361:
	s_delay_alu instid0(SALU_CYCLE_1)
	s_or_b32 exec_lo, exec_lo, s10
.LBB4_362:
	s_delay_alu instid0(SALU_CYCLE_1)
	s_or_b32 exec_lo, exec_lo, s9
.LBB4_363:
	s_delay_alu instid0(SALU_CYCLE_1)
	s_or_b32 exec_lo, exec_lo, s6
.LBB4_364:
	s_delay_alu instid0(SALU_CYCLE_1)
	s_or_b32 exec_lo, exec_lo, s3
.LBB4_365:
	s_delay_alu instid0(SALU_CYCLE_1) | instskip(SKIP_3) | instid1(VALU_DEP_2)
	s_or_b32 exec_lo, exec_lo, s2
	v_dual_mul_f32 v69, v11, v14 :: v_dual_mov_b32 v14, 7
	v_mov_b32_e32 v68, 7
	s_mov_b32 s2, exec_lo
	v_cmpx_nle_f32_e64 0x40a00000, |v69|
	s_cbranch_execz .LBB4_377
; %bb.366:
	v_mov_b32_e32 v68, 6
	s_mov_b32 s3, exec_lo
	v_cmpx_nle_f32_e64 0x40600000, |v69|
	s_cbranch_execz .LBB4_376
; %bb.367:
	;; [unrolled: 5-line block ×5, first 2 shown]
	v_mov_b32_e32 v68, 2
	s_mov_b32 s11, exec_lo
	v_cmpx_nle_f32_e64 0x3f400000, |v69|
; %bb.371:
	v_cmp_le_f32_e64 s12, 0x3e800000, |v69|
	s_delay_alu instid0(VALU_DEP_1)
	v_cndmask_b32_e64 v68, 0, 1, s12
; %bb.372:
	s_or_b32 exec_lo, exec_lo, s11
.LBB4_373:
	s_delay_alu instid0(SALU_CYCLE_1)
	s_or_b32 exec_lo, exec_lo, s10
.LBB4_374:
	s_delay_alu instid0(SALU_CYCLE_1)
	s_or_b32 exec_lo, exec_lo, s9
.LBB4_375:
	s_delay_alu instid0(SALU_CYCLE_1)
	s_or_b32 exec_lo, exec_lo, s6
.LBB4_376:
	s_delay_alu instid0(SALU_CYCLE_1)
	s_or_b32 exec_lo, exec_lo, s3
.LBB4_377:
	s_delay_alu instid0(SALU_CYCLE_1) | instskip(SKIP_3) | instid1(VALU_DEP_1)
	s_or_b32 exec_lo, exec_lo, s2
	s_load_b64 s[2:3], s[0:1], 0x8
	v_mul_f32_e32 v9, v11, v9
	s_mov_b32 s6, exec_lo
	v_cmpx_nle_f32_e64 0x40a00000, |v9|
	s_cbranch_execz .LBB4_389
; %bb.378:
	v_mov_b32_e32 v14, 6
	s_mov_b32 s9, exec_lo
	v_cmpx_nle_f32_e64 0x40600000, |v9|
	s_cbranch_execz .LBB4_388
; %bb.379:
	v_mov_b32_e32 v14, 5
	;; [unrolled: 5-line block ×5, first 2 shown]
	s_mov_b32 s13, exec_lo
	v_cmpx_nle_f32_e64 0x3f400000, |v9|
; %bb.383:
	v_cmp_le_f32_e64 s14, 0x3e800000, |v9|
	s_delay_alu instid0(VALU_DEP_1)
	v_cndmask_b32_e64 v14, 0, 1, s14
; %bb.384:
	s_or_b32 exec_lo, exec_lo, s13
.LBB4_385:
	s_delay_alu instid0(SALU_CYCLE_1)
	s_or_b32 exec_lo, exec_lo, s12
.LBB4_386:
	s_delay_alu instid0(SALU_CYCLE_1)
	s_or_b32 exec_lo, exec_lo, s11
.LBB4_387:
	s_delay_alu instid0(SALU_CYCLE_1)
	s_or_b32 exec_lo, exec_lo, s10
.LBB4_388:
	s_delay_alu instid0(SALU_CYCLE_1)
	s_or_b32 exec_lo, exec_lo, s9
.LBB4_389:
	s_delay_alu instid0(SALU_CYCLE_1)
	s_or_b32 exec_lo, exec_lo, s6
	v_cmp_gt_f32_e32 vcc_lo, 0, v69
	v_lshlrev_b16 v7, 4, v7
	v_lshlrev_b16 v10, 4, v10
	;; [unrolled: 1-line block ×4, first 2 shown]
	v_cndmask_b32_e64 v11, 0, 1, vcc_lo
	v_cmp_gt_f32_e32 vcc_lo, 0, v67
	s_lshr_b32 s6, s4, 31
	s_load_b64 s[0:1], s[0:1], 0x10
	s_add_i32 s4, s4, s6
	v_lshlrev_b16 v11, 3, v11
	v_cndmask_b32_e64 v67, 0, 1, vcc_lo
	v_cmp_gt_f32_e32 vcc_lo, 0, v65
	s_ashr_i32 s4, s4, 1
	s_delay_alu instid0(SALU_CYCLE_1) | instskip(NEXT) | instid1(VALU_DEP_2)
	s_ashr_i32 s6, s4, 31
	v_lshlrev_b16 v67, 3, v67
	v_cndmask_b32_e64 v65, 0, 1, vcc_lo
	v_cmp_gt_f32_e32 vcc_lo, 0, v63
	v_or_b32_e32 v11, v11, v68
	v_mul_lo_u32 v1, v1, s4
	v_or_b32_e32 v66, v67, v66
	v_lshlrev_b16 v65, 3, v65
	v_cndmask_b32_e64 v63, 0, 1, vcc_lo
	v_cmp_gt_f32_e32 vcc_lo, 0, v60
	s_delay_alu instid0(VALU_DEP_3) | instskip(NEXT) | instid1(VALU_DEP_3)
	v_or_b32_e32 v64, v65, v64
	v_lshlrev_b16 v63, 3, v63
	v_cndmask_b32_e64 v60, 0, 1, vcc_lo
	v_cmp_gt_f32_e32 vcc_lo, 0, v59
	s_delay_alu instid0(VALU_DEP_3) | instskip(NEXT) | instid1(VALU_DEP_3)
	;; [unrolled: 5-line block ×11, first 2 shown]
	v_or_b32_e32 v12, v12, v13
	v_lshlrev_b16 v25, 3, v25
	v_cndmask_b32_e64 v19, 0, 1, vcc_lo
	v_cmp_gt_f32_e32 vcc_lo, 0, v6
	s_delay_alu instid0(VALU_DEP_2) | instskip(SKIP_2) | instid1(VALU_DEP_2)
	v_lshlrev_b16 v19, 3, v19
	v_cndmask_b32_e64 v6, 0, 1, vcc_lo
	v_cmp_gt_f32_e32 vcc_lo, 0, v8
	v_lshlrev_b16 v6, 3, v6
	v_cndmask_b32_e64 v8, 0, 1, vcc_lo
	v_cmp_gt_f32_e32 vcc_lo, 0, v15
	s_delay_alu instid0(VALU_DEP_3) | instskip(NEXT) | instid1(VALU_DEP_3)
	v_or_b32_e32 v5, v6, v5
	v_lshlrev_b16 v8, 7, v8
	v_cndmask_b32_e64 v13, 0, 1, vcc_lo
	v_cmp_gt_f32_e32 vcc_lo, 0, v21
	s_delay_alu instid0(VALU_DEP_3) | instskip(NEXT) | instid1(VALU_DEP_3)
	v_or_b32_e32 v6, v8, v7
	v_lshlrev_b16 v13, 7, v13
	v_cndmask_b32_e64 v15, 0, 1, vcc_lo
	v_lshlrev_b16 v8, 4, v18
	v_cmp_gt_f32_e32 vcc_lo, 0, v26
	v_or_b32_e32 v5, v6, v5
	v_or_b32_e32 v7, v13, v10
	v_lshlrev_b16 v10, 7, v15
	v_or_b32_e32 v15, v19, v17
	v_lshlrev_b16 v18, 4, v28
	v_lshlrev_b16 v19, 4, v35
	v_or_b32_e32 v6, v7, v12
	v_or_b32_e32 v7, v10, v8
	v_cndmask_b32_e64 v10, 0, 1, vcc_lo
	v_cmp_gt_f32_e32 vcc_lo, 0, v32
	v_lshlrev_b16 v8, 4, v23
	v_or_b32_e32 v13, v25, v24
	v_or_b32_e32 v7, v7, v15
	v_lshlrev_b16 v10, 7, v10
	v_cndmask_b32_e64 v12, 0, 1, vcc_lo
	v_cmp_gt_f32_e32 vcc_lo, 0, v38
	v_lshlrev_b16 v23, 4, v49
	v_lshlrev_b16 v24, 4, v43
	v_or_b32_e32 v8, v10, v8
	v_lshlrev_b16 v12, 7, v12
	v_cndmask_b32_e64 v17, 0, 1, vcc_lo
	v_cmp_gt_f32_e32 vcc_lo, 0, v42
	v_lshlrev_b16 v25, 4, v46
	v_or_b32_e32 v13, v8, v13
	v_or_b32_e32 v10, v12, v18
	v_lshlrev_b16 v17, 7, v17
	v_cndmask_b32_e64 v21, 0, 1, vcc_lo
	v_cmp_gt_f32_e32 vcc_lo, 0, v48
	v_lshlrev_b16 v6, 8, v6
	v_or_b32_e32 v10, v10, v30
	v_or_b32_e32 v12, v17, v19
	v_lshlrev_b16 v17, 4, v40
	v_lshlrev_b16 v18, 7, v21
	v_cndmask_b32_e64 v15, 0, 1, vcc_lo
	v_cmp_gt_f32_e32 vcc_lo, 0, v53
	v_or_b32_e32 v12, v12, v36
	v_lshlrev_b16 v13, 8, v13
	v_or_b32_e32 v8, v18, v17
	v_lshlrev_b16 v17, 4, v52
	v_cndmask_b32_e64 v18, 0, 1, vcc_lo
	v_cmp_gt_f32_e32 vcc_lo, 0, v47
	v_lshlrev_b16 v15, 7, v15
	v_or_b32_e32 v5, v5, v6
	v_or_b32_e32 v6, v7, v13
	v_lshlrev_b16 v18, 7, v18
	v_cndmask_b32_e64 v19, 0, 1, vcc_lo
	v_cmp_gt_f32_e32 vcc_lo, 0, v41
	v_mul_lo_u32 v13, v0, s6
	v_and_b32_e32 v5, 0xffff, v5
	v_or_b32_e32 v17, v18, v17
	v_lshlrev_b16 v19, 7, v19
	v_cndmask_b32_e64 v21, 0, 1, vcc_lo
	v_cmp_gt_f32_e32 vcc_lo, 0, v22
	s_delay_alu instid0(VALU_DEP_3) | instskip(NEXT) | instid1(VALU_DEP_3)
	v_or_b32_e32 v18, v19, v23
	v_lshlrev_b16 v21, 7, v21
	v_cndmask_b32_e64 v22, 0, 1, vcc_lo
	v_cmp_gt_f32_e32 vcc_lo, 0, v29
	v_lshlrev_b16 v23, 4, v33
	s_delay_alu instid0(VALU_DEP_4)
	v_or_b32_e32 v19, v21, v24
	v_or_b32_e32 v21, v8, v44
	v_cndmask_b32_e64 v24, 0, 1, vcc_lo
	v_cmp_gt_f32_e32 vcc_lo, 0, v9
	v_or_b32_e32 v8, v15, v25
	v_lshlrev_b16 v25, 4, v27
	v_lshlrev_b16 v22, 7, v22
	;; [unrolled: 1-line block ×3, first 2 shown]
	v_cndmask_b32_e64 v9, 0, 1, vcc_lo
	v_cmp_gt_f32_e32 vcc_lo, 0, v16
	v_or_b32_e32 v15, v17, v54
	v_or_b32_e32 v22, v22, v25
	;; [unrolled: 1-line block ×3, first 2 shown]
	v_lshlrev_b16 v9, 7, v9
	v_cndmask_b32_e64 v16, 0, 1, vcc_lo
	v_cmp_gt_f32_e32 vcc_lo, 0, v34
	v_or_b32_e32 v18, v19, v58
	v_lshlrev_b16 v19, 4, v39
	v_or_b32_e32 v9, v9, v14
	v_lshlrev_b16 v16, 7, v16
	v_cndmask_b32_e64 v14, 0, 1, vcc_lo
	v_or_b32_e32 v23, v24, v23
	s_delay_alu instid0(VALU_DEP_4) | instskip(NEXT) | instid1(VALU_DEP_4)
	v_or_b32_e32 v9, v9, v11
	v_or_b32_e32 v16, v16, v20
	;; [unrolled: 1-line block ×3, first 2 shown]
	v_lshlrev_b16 v11, 7, v14
	v_or_b32_e32 v14, v23, v62
	v_lshlrev_b16 v9, 8, v9
	v_or_b32_e32 v16, v16, v66
	;; [unrolled: 2-line block ×3, first 2 shown]
	s_delay_alu instid0(VALU_DEP_3) | instskip(NEXT) | instid1(VALU_DEP_3)
	v_or_b32_e32 v9, v16, v9
	v_or_b32_e32 v14, v14, v20
	s_delay_alu instid0(VALU_DEP_3) | instskip(SKIP_1) | instid1(VALU_DEP_4)
	v_or_b32_e32 v11, v11, v60
	v_lshlrev_b16 v16, 8, v17
	v_lshlrev_b32_e32 v9, 16, v9
	s_delay_alu instid0(VALU_DEP_4) | instskip(NEXT) | instid1(VALU_DEP_4)
	v_and_b32_e32 v14, 0xffff, v14
	v_lshlrev_b16 v11, 8, v11
	s_delay_alu instid0(VALU_DEP_4) | instskip(SKIP_1) | instid1(VALU_DEP_4)
	v_or_b32_e32 v15, v15, v16
	v_or_b32_e32 v16, v8, v50
	v_or_b32_e32 v8, v14, v9
	s_delay_alu instid0(VALU_DEP_4) | instskip(SKIP_1) | instid1(VALU_DEP_4)
	v_or_b32_e32 v9, v18, v11
	v_lshlrev_b16 v11, 8, v12
	v_lshlrev_b16 v12, 8, v16
	v_and_b32_e32 v14, 0xffff, v15
	v_lshlrev_b32_e32 v16, 16, v6
	v_lshlrev_b32_e32 v15, 16, v9
	v_or_b32_e32 v11, v10, v11
	s_waitcnt lgkmcnt(0)
	v_mad_u64_u32 v[9:10], null, v0, s4, s[2:3]
	v_or_b32_e32 v12, v21, v12
	v_or_b32_e32 v7, v14, v15
	v_lshlrev_b32_e32 v14, 4, v4
	v_and_b32_e32 v11, 0xffff, v11
	v_or_b32_e32 v5, v5, v16
	v_lshlrev_b32_e32 v12, 16, v12
	v_add3_u32 v1, v1, v10, v13
	v_add_co_u32 v9, vcc_lo, v9, v14
	s_and_b32 s2, s7, 1
	s_delay_alu instid0(VALU_DEP_3) | instskip(NEXT) | instid1(VALU_DEP_3)
	v_or_b32_e32 v6, v11, v12
	v_add_co_ci_u32_e32 v10, vcc_lo, 0, v1, vcc_lo
	s_cmp_eq_u32 s2, 0
	s_mov_b32 s2, 0
	global_store_b128 v[9:10], v[5:8], off
	s_cbranch_scc0 .LBB4_391
; %bb.390:
	v_ashrrev_i32_e32 v1, 31, v0
	s_delay_alu instid0(VALU_DEP_1) | instskip(NEXT) | instid1(VALU_DEP_1)
	v_lshrrev_b32_e32 v1, 27, v1
	v_add_nc_u32_e32 v1, v0, v1
	s_delay_alu instid0(VALU_DEP_1) | instskip(NEXT) | instid1(VALU_DEP_1)
	v_and_b32_e32 v5, 0xffe0, v1
	v_sub_nc_u32_e32 v5, v0, v5
	s_delay_alu instid0(VALU_DEP_1) | instskip(NEXT) | instid1(VALU_DEP_1)
	v_bfe_i32 v6, v5, 0, 8
	v_lshrrev_b16 v6, 11, v6
	s_delay_alu instid0(VALU_DEP_1) | instskip(NEXT) | instid1(VALU_DEP_1)
	v_and_b32_e32 v6, 15, v6
	v_add_nc_u16 v5, v5, v6
	s_delay_alu instid0(VALU_DEP_1) | instskip(NEXT) | instid1(VALU_DEP_1)
	v_bfe_i32 v5, v5, 0, 8
	v_ashrrev_i16 v6, 4, v5
	v_ashrrev_i32_e32 v5, 5, v1
	s_delay_alu instid0(VALU_DEP_2)
	v_bfe_i32 v1, v6, 0, 16
	s_and_not1_b32 vcc_lo, exec_lo, s2
	s_cbranch_vccz .LBB4_392
	s_branch .LBB4_393
.LBB4_391:
                                        ; implicit-def: $vgpr5
                                        ; implicit-def: $vgpr1
.LBB4_392:
	s_lshr_b32 s2, s8, 31
	v_sub_nc_u32_e32 v6, 0, v0
	s_add_i32 s2, s8, s2
	s_delay_alu instid0(SALU_CYCLE_1) | instskip(NEXT) | instid1(VALU_DEP_1)
	s_ashr_i32 s2, s2, 1
	v_max_i32_e32 v6, v0, v6
	s_abs_i32 s3, s2
	s_delay_alu instid0(SALU_CYCLE_1) | instskip(SKIP_1) | instid1(VALU_DEP_1)
	v_cvt_f32_u32_e32 v1, s3
	s_sub_i32 s4, 0, s3
	v_rcp_iflag_f32_e32 v1, v1
	s_waitcnt_depctr 0xfff
	v_mul_f32_e32 v1, 0x4f7ffffe, v1
	s_delay_alu instid0(VALU_DEP_1) | instskip(NEXT) | instid1(VALU_DEP_1)
	v_cvt_u32_f32_e32 v1, v1
	v_mul_lo_u32 v5, s4, v1
	s_delay_alu instid0(VALU_DEP_1) | instskip(NEXT) | instid1(VALU_DEP_1)
	v_mul_hi_u32 v5, v1, v5
	v_add_nc_u32_e32 v1, v1, v5
	s_delay_alu instid0(VALU_DEP_1) | instskip(NEXT) | instid1(VALU_DEP_1)
	v_mul_hi_u32 v1, v6, v1
	v_mul_lo_u32 v5, v1, s3
	s_delay_alu instid0(VALU_DEP_1) | instskip(NEXT) | instid1(VALU_DEP_1)
	v_sub_nc_u32_e32 v5, v6, v5
	v_subrev_nc_u32_e32 v7, s3, v5
	v_cmp_le_u32_e32 vcc_lo, s3, v5
	s_delay_alu instid0(VALU_DEP_2) | instskip(NEXT) | instid1(VALU_DEP_1)
	v_dual_cndmask_b32 v5, v5, v7 :: v_dual_add_nc_u32 v6, 1, v1
	v_cndmask_b32_e32 v1, v1, v6, vcc_lo
	v_xor_b32_e32 v6, s2, v0
	s_delay_alu instid0(VALU_DEP_3) | instskip(NEXT) | instid1(VALU_DEP_3)
	v_cmp_le_u32_e32 vcc_lo, s3, v5
	v_add_nc_u32_e32 v7, 1, v1
	s_delay_alu instid0(VALU_DEP_3) | instskip(NEXT) | instid1(VALU_DEP_2)
	v_ashrrev_i32_e32 v6, 31, v6
	v_cndmask_b32_e32 v1, v1, v7, vcc_lo
	s_delay_alu instid0(VALU_DEP_1) | instskip(NEXT) | instid1(VALU_DEP_1)
	v_xor_b32_e32 v1, v1, v6
	v_sub_nc_u32_e32 v1, v1, v6
	s_delay_alu instid0(VALU_DEP_1) | instskip(NEXT) | instid1(VALU_DEP_1)
	v_mul_lo_u32 v5, v1, s2
	v_sub_nc_u32_e32 v0, v0, v5
	s_delay_alu instid0(VALU_DEP_1) | instskip(NEXT) | instid1(VALU_DEP_1)
	v_ashrrev_i32_e32 v5, 31, v0
	v_lshrrev_b32_e32 v5, 28, v5
	s_delay_alu instid0(VALU_DEP_1) | instskip(NEXT) | instid1(VALU_DEP_1)
	v_add_nc_u32_e32 v5, v0, v5
	v_ashrrev_i32_e32 v5, 4, v5
.LBB4_393:
	v_ashrrev_i32_e32 v6, 31, v0
	v_lshlrev_b32_e32 v7, 6, v4
	v_lshrrev_b32_e32 v4, 1, v4
	v_and_b32_e32 v2, 0x7fffff00, v2
	s_lshl_b32 s2, s5, 5
	v_lshrrev_b32_e32 v6, 28, v6
	v_and_b32_e32 v7, 0xc0, v7
	v_and_b32_e32 v4, 2, v4
	s_and_b32 s2, s2, 0x7fffff00
	s_delay_alu instid0(VALU_DEP_3) | instskip(NEXT) | instid1(VALU_DEP_2)
	v_add_nc_u32_e32 v6, v0, v6
	v_or3_b32 v2, v7, v2, v4
	v_mul_lo_u32 v4, v5, s2
	s_delay_alu instid0(VALU_DEP_3) | instskip(NEXT) | instid1(VALU_DEP_3)
	v_and_b32_e32 v6, 0x3ffffff0, v6
	v_add_nc_u32_e32 v1, v2, v1
	v_lshrrev_b32_e32 v2, 23, v3
	s_delay_alu instid0(VALU_DEP_3) | instskip(NEXT) | instid1(VALU_DEP_1)
	v_sub_nc_u32_e32 v0, v0, v6
	v_lshlrev_b32_e32 v0, 2, v0
	s_delay_alu instid0(VALU_DEP_1) | instskip(NEXT) | instid1(VALU_DEP_1)
	v_add3_u32 v0, v1, v0, v4
	v_ashrrev_i32_e32 v1, 31, v0
	v_add_co_u32 v0, vcc_lo, s0, v0
	s_delay_alu instid0(VALU_DEP_2)
	v_add_co_ci_u32_e32 v1, vcc_lo, s1, v1, vcc_lo
	global_store_b8 v[0:1], v2, off
.LBB4_394:
	s_nop 0
	s_sendmsg sendmsg(MSG_DEALLOC_VGPRS)
	s_endpgm
	.section	.rodata,"a",@progbits
	.p2align	6, 0x0
	.amdhsa_kernel _ZN5aiter18quant_mxfp4_kernelI6__halfLNS_16MxScaleRoundModeE0ELb0ELb1ELb0EEEvPKT_PhPfliiib
		.amdhsa_group_segment_fixed_size 0
		.amdhsa_private_segment_fixed_size 0
		.amdhsa_kernarg_size 304
		.amdhsa_user_sgpr_count 15
		.amdhsa_user_sgpr_dispatch_ptr 0
		.amdhsa_user_sgpr_queue_ptr 0
		.amdhsa_user_sgpr_kernarg_segment_ptr 1
		.amdhsa_user_sgpr_dispatch_id 0
		.amdhsa_user_sgpr_private_segment_size 0
		.amdhsa_wavefront_size32 1
		.amdhsa_uses_dynamic_stack 0
		.amdhsa_enable_private_segment 0
		.amdhsa_system_sgpr_workgroup_id_x 1
		.amdhsa_system_sgpr_workgroup_id_y 0
		.amdhsa_system_sgpr_workgroup_id_z 0
		.amdhsa_system_sgpr_workgroup_info 0
		.amdhsa_system_vgpr_workitem_id 0
		.amdhsa_next_free_vgpr 70
		.amdhsa_next_free_sgpr 16
		.amdhsa_reserve_vcc 1
		.amdhsa_float_round_mode_32 0
		.amdhsa_float_round_mode_16_64 0
		.amdhsa_float_denorm_mode_32 3
		.amdhsa_float_denorm_mode_16_64 3
		.amdhsa_dx10_clamp 1
		.amdhsa_ieee_mode 1
		.amdhsa_fp16_overflow 0
		.amdhsa_workgroup_processor_mode 1
		.amdhsa_memory_ordered 1
		.amdhsa_forward_progress 0
		.amdhsa_shared_vgpr_count 0
		.amdhsa_exception_fp_ieee_invalid_op 0
		.amdhsa_exception_fp_denorm_src 0
		.amdhsa_exception_fp_ieee_div_zero 0
		.amdhsa_exception_fp_ieee_overflow 0
		.amdhsa_exception_fp_ieee_underflow 0
		.amdhsa_exception_fp_ieee_inexact 0
		.amdhsa_exception_int_div_zero 0
	.end_amdhsa_kernel
	.section	.text._ZN5aiter18quant_mxfp4_kernelI6__halfLNS_16MxScaleRoundModeE0ELb0ELb1ELb0EEEvPKT_PhPfliiib,"axG",@progbits,_ZN5aiter18quant_mxfp4_kernelI6__halfLNS_16MxScaleRoundModeE0ELb0ELb1ELb0EEEvPKT_PhPfliiib,comdat
.Lfunc_end4:
	.size	_ZN5aiter18quant_mxfp4_kernelI6__halfLNS_16MxScaleRoundModeE0ELb0ELb1ELb0EEEvPKT_PhPfliiib, .Lfunc_end4-_ZN5aiter18quant_mxfp4_kernelI6__halfLNS_16MxScaleRoundModeE0ELb0ELb1ELb0EEEvPKT_PhPfliiib
                                        ; -- End function
	.section	.AMDGPU.csdata,"",@progbits
; Kernel info:
; codeLenInByte = 10348
; NumSgprs: 18
; NumVgprs: 70
; ScratchSize: 0
; MemoryBound: 0
; FloatMode: 240
; IeeeMode: 1
; LDSByteSize: 0 bytes/workgroup (compile time only)
; SGPRBlocks: 2
; VGPRBlocks: 8
; NumSGPRsForWavesPerEU: 18
; NumVGPRsForWavesPerEU: 70
; Occupancy: 16
; WaveLimiterHint : 0
; COMPUTE_PGM_RSRC2:SCRATCH_EN: 0
; COMPUTE_PGM_RSRC2:USER_SGPR: 15
; COMPUTE_PGM_RSRC2:TRAP_HANDLER: 0
; COMPUTE_PGM_RSRC2:TGID_X_EN: 1
; COMPUTE_PGM_RSRC2:TGID_Y_EN: 0
; COMPUTE_PGM_RSRC2:TGID_Z_EN: 0
; COMPUTE_PGM_RSRC2:TIDIG_COMP_CNT: 0
	.section	.text._ZN5aiter18quant_mxfp4_kernelI6__halfLNS_16MxScaleRoundModeE0ELb0ELb0ELb0EEEvPKT_PhPfliiib,"axG",@progbits,_ZN5aiter18quant_mxfp4_kernelI6__halfLNS_16MxScaleRoundModeE0ELb0ELb0ELb0EEEvPKT_PhPfliiib,comdat
	.protected	_ZN5aiter18quant_mxfp4_kernelI6__halfLNS_16MxScaleRoundModeE0ELb0ELb0ELb0EEEvPKT_PhPfliiib ; -- Begin function _ZN5aiter18quant_mxfp4_kernelI6__halfLNS_16MxScaleRoundModeE0ELb0ELb0ELb0EEEvPKT_PhPfliiib
	.globl	_ZN5aiter18quant_mxfp4_kernelI6__halfLNS_16MxScaleRoundModeE0ELb0ELb0ELb0EEEvPKT_PhPfliiib
	.p2align	8
	.type	_ZN5aiter18quant_mxfp4_kernelI6__halfLNS_16MxScaleRoundModeE0ELb0ELb0ELb0EEEvPKT_PhPfliiib,@function
_ZN5aiter18quant_mxfp4_kernelI6__halfLNS_16MxScaleRoundModeE0ELb0ELb0ELb0EEEvPKT_PhPfliiib: ; @_ZN5aiter18quant_mxfp4_kernelI6__halfLNS_16MxScaleRoundModeE0ELb0ELb0ELb0EEEvPKT_PhPfliiib
; %bb.0:
	s_clause 0x1
	s_load_b32 s2, s[0:1], 0x3c
	s_load_b128 s[4:7], s[0:1], 0x20
	v_mov_b32_e32 v1, 0
	s_mov_b32 s3, exec_lo
	s_delay_alu instid0(VALU_DEP_1) | instskip(SKIP_2) | instid1(SALU_CYCLE_1)
	v_mov_b32_e32 v4, v1
	s_waitcnt lgkmcnt(0)
	s_and_b32 s2, s2, 0xffff
	v_mad_u64_u32 v[2:3], null, s2, s15, v[0:1]
	s_ashr_i32 s2, s6, 31
                                        ; implicit-def: $vgpr0_vgpr1
	s_delay_alu instid0(VALU_DEP_1) | instid1(SALU_CYCLE_1)
	v_or_b32_e32 v5, s2, v3
	s_delay_alu instid0(VALU_DEP_1)
	v_cmpx_ne_u64_e32 0, v[4:5]
	s_xor_b32 s3, exec_lo, s3
	s_cbranch_execz .LBB5_2
; %bb.1:
	s_add_u32 s10, s6, s2
	s_mov_b32 s8, s2
	s_mov_b32 s9, s2
	s_addc_u32 s11, s2, s2
	s_delay_alu instid0(SALU_CYCLE_1) | instskip(NEXT) | instid1(SALU_CYCLE_1)
	s_xor_b64 s[10:11], s[10:11], s[8:9]
	v_cvt_f32_u32_e32 v0, s10
	v_cvt_f32_u32_e32 v1, s11
	s_sub_u32 s2, 0, s10
	s_subb_u32 s7, 0, s11
	s_delay_alu instid0(VALU_DEP_1) | instskip(NEXT) | instid1(VALU_DEP_1)
	v_fmamk_f32 v0, v1, 0x4f800000, v0
	v_rcp_f32_e32 v0, v0
	s_waitcnt_depctr 0xfff
	v_mul_f32_e32 v0, 0x5f7ffffc, v0
	s_delay_alu instid0(VALU_DEP_1) | instskip(NEXT) | instid1(VALU_DEP_1)
	v_mul_f32_e32 v1, 0x2f800000, v0
	v_trunc_f32_e32 v1, v1
	s_delay_alu instid0(VALU_DEP_1) | instskip(SKIP_1) | instid1(VALU_DEP_2)
	v_fmamk_f32 v0, v1, 0xcf800000, v0
	v_cvt_u32_f32_e32 v1, v1
	v_cvt_u32_f32_e32 v0, v0
	s_delay_alu instid0(VALU_DEP_2) | instskip(NEXT) | instid1(VALU_DEP_2)
	v_mul_lo_u32 v4, s2, v1
	v_mul_hi_u32 v5, s2, v0
	v_mul_lo_u32 v6, s7, v0
	s_delay_alu instid0(VALU_DEP_2) | instskip(SKIP_1) | instid1(VALU_DEP_2)
	v_add_nc_u32_e32 v4, v5, v4
	v_mul_lo_u32 v5, s2, v0
	v_add_nc_u32_e32 v4, v4, v6
	s_delay_alu instid0(VALU_DEP_2) | instskip(NEXT) | instid1(VALU_DEP_2)
	v_mul_hi_u32 v6, v0, v5
	v_mul_lo_u32 v7, v0, v4
	v_mul_hi_u32 v8, v0, v4
	v_mul_hi_u32 v9, v1, v5
	v_mul_lo_u32 v5, v1, v5
	v_mul_hi_u32 v10, v1, v4
	v_mul_lo_u32 v4, v1, v4
	v_add_co_u32 v6, vcc_lo, v6, v7
	v_add_co_ci_u32_e32 v7, vcc_lo, 0, v8, vcc_lo
	s_delay_alu instid0(VALU_DEP_2) | instskip(NEXT) | instid1(VALU_DEP_2)
	v_add_co_u32 v5, vcc_lo, v6, v5
	v_add_co_ci_u32_e32 v5, vcc_lo, v7, v9, vcc_lo
	v_add_co_ci_u32_e32 v6, vcc_lo, 0, v10, vcc_lo
	v_ashrrev_i32_e32 v9, 31, v3
	s_delay_alu instid0(VALU_DEP_3) | instskip(NEXT) | instid1(VALU_DEP_3)
	v_add_co_u32 v4, vcc_lo, v5, v4
	v_add_co_ci_u32_e32 v5, vcc_lo, 0, v6, vcc_lo
	s_delay_alu instid0(VALU_DEP_2) | instskip(NEXT) | instid1(VALU_DEP_2)
	v_add_co_u32 v0, vcc_lo, v0, v4
	v_add_co_ci_u32_e32 v1, vcc_lo, v1, v5, vcc_lo
	s_delay_alu instid0(VALU_DEP_2) | instskip(SKIP_1) | instid1(VALU_DEP_3)
	v_mul_hi_u32 v4, s2, v0
	v_mul_lo_u32 v6, s7, v0
	v_mul_lo_u32 v5, s2, v1
	s_delay_alu instid0(VALU_DEP_1) | instskip(SKIP_1) | instid1(VALU_DEP_2)
	v_add_nc_u32_e32 v4, v4, v5
	v_mul_lo_u32 v5, s2, v0
	v_add_nc_u32_e32 v4, v4, v6
	s_delay_alu instid0(VALU_DEP_2) | instskip(NEXT) | instid1(VALU_DEP_2)
	v_mul_hi_u32 v6, v0, v5
	v_mul_lo_u32 v7, v0, v4
	v_mul_hi_u32 v8, v0, v4
	v_mul_hi_u32 v10, v1, v5
	v_mul_lo_u32 v5, v1, v5
	v_mul_hi_u32 v11, v1, v4
	v_mul_lo_u32 v4, v1, v4
	v_add_co_u32 v6, vcc_lo, v6, v7
	v_add_co_ci_u32_e32 v7, vcc_lo, 0, v8, vcc_lo
	s_delay_alu instid0(VALU_DEP_2) | instskip(NEXT) | instid1(VALU_DEP_2)
	v_add_co_u32 v5, vcc_lo, v6, v5
	v_add_co_ci_u32_e32 v5, vcc_lo, v7, v10, vcc_lo
	v_add_co_ci_u32_e32 v6, vcc_lo, 0, v11, vcc_lo
	v_add_co_u32 v7, vcc_lo, v2, v9
	v_add_co_ci_u32_e32 v3, vcc_lo, v3, v9, vcc_lo
	s_delay_alu instid0(VALU_DEP_4) | instskip(NEXT) | instid1(VALU_DEP_4)
	v_add_co_u32 v4, vcc_lo, v5, v4
	v_add_co_ci_u32_e32 v5, vcc_lo, 0, v6, vcc_lo
	s_delay_alu instid0(VALU_DEP_4) | instskip(NEXT) | instid1(VALU_DEP_3)
	v_xor_b32_e32 v7, v7, v9
	v_add_co_u32 v6, vcc_lo, v0, v4
	s_delay_alu instid0(VALU_DEP_3) | instskip(SKIP_1) | instid1(VALU_DEP_3)
	v_add_co_ci_u32_e32 v8, vcc_lo, v1, v5, vcc_lo
	v_xor_b32_e32 v10, v3, v9
	v_mul_hi_u32 v11, v7, v6
	s_delay_alu instid0(VALU_DEP_3) | instskip(NEXT) | instid1(VALU_DEP_3)
	v_mad_u64_u32 v[0:1], null, v7, v8, 0
	v_mad_u64_u32 v[3:4], null, v10, v6, 0
	v_mad_u64_u32 v[5:6], null, v10, v8, 0
	s_delay_alu instid0(VALU_DEP_3) | instskip(NEXT) | instid1(VALU_DEP_4)
	v_add_co_u32 v0, vcc_lo, v11, v0
	v_add_co_ci_u32_e32 v1, vcc_lo, 0, v1, vcc_lo
	s_delay_alu instid0(VALU_DEP_2) | instskip(NEXT) | instid1(VALU_DEP_2)
	v_add_co_u32 v0, vcc_lo, v0, v3
	v_add_co_ci_u32_e32 v0, vcc_lo, v1, v4, vcc_lo
	v_add_co_ci_u32_e32 v1, vcc_lo, 0, v6, vcc_lo
	s_delay_alu instid0(VALU_DEP_2) | instskip(NEXT) | instid1(VALU_DEP_2)
	v_add_co_u32 v3, vcc_lo, v0, v5
	v_add_co_ci_u32_e32 v4, vcc_lo, 0, v1, vcc_lo
	s_delay_alu instid0(VALU_DEP_2) | instskip(SKIP_1) | instid1(VALU_DEP_3)
	v_mul_lo_u32 v5, s11, v3
	v_mad_u64_u32 v[0:1], null, s10, v3, 0
	v_mul_lo_u32 v6, s10, v4
	s_delay_alu instid0(VALU_DEP_2) | instskip(NEXT) | instid1(VALU_DEP_2)
	v_sub_co_u32 v0, vcc_lo, v7, v0
	v_add3_u32 v1, v1, v6, v5
	s_delay_alu instid0(VALU_DEP_1) | instskip(NEXT) | instid1(VALU_DEP_1)
	v_sub_nc_u32_e32 v5, v10, v1
	v_subrev_co_ci_u32_e64 v5, s2, s11, v5, vcc_lo
	v_add_co_u32 v6, s2, v3, 2
	s_delay_alu instid0(VALU_DEP_1) | instskip(SKIP_3) | instid1(VALU_DEP_3)
	v_add_co_ci_u32_e64 v7, s2, 0, v4, s2
	v_sub_co_u32 v8, s2, v0, s10
	v_sub_co_ci_u32_e32 v1, vcc_lo, v10, v1, vcc_lo
	v_subrev_co_ci_u32_e64 v5, s2, 0, v5, s2
	v_cmp_le_u32_e32 vcc_lo, s10, v8
	s_delay_alu instid0(VALU_DEP_3) | instskip(SKIP_1) | instid1(VALU_DEP_4)
	v_cmp_eq_u32_e64 s2, s11, v1
	v_cndmask_b32_e64 v8, 0, -1, vcc_lo
	v_cmp_le_u32_e32 vcc_lo, s11, v5
	v_cndmask_b32_e64 v10, 0, -1, vcc_lo
	v_cmp_le_u32_e32 vcc_lo, s10, v0
	v_cndmask_b32_e64 v0, 0, -1, vcc_lo
	v_cmp_le_u32_e32 vcc_lo, s11, v1
	v_cndmask_b32_e64 v11, 0, -1, vcc_lo
	v_cmp_eq_u32_e32 vcc_lo, s11, v5
	s_delay_alu instid0(VALU_DEP_2) | instskip(SKIP_3) | instid1(VALU_DEP_3)
	v_cndmask_b32_e64 v0, v11, v0, s2
	v_cndmask_b32_e32 v5, v10, v8, vcc_lo
	v_add_co_u32 v8, vcc_lo, v3, 1
	v_add_co_ci_u32_e32 v10, vcc_lo, 0, v4, vcc_lo
	v_cmp_ne_u32_e32 vcc_lo, 0, v5
	s_delay_alu instid0(VALU_DEP_2) | instskip(NEXT) | instid1(VALU_DEP_4)
	v_cndmask_b32_e32 v1, v10, v7, vcc_lo
	v_cndmask_b32_e32 v5, v8, v6, vcc_lo
	v_cmp_ne_u32_e32 vcc_lo, 0, v0
	v_xor_b32_e32 v0, s8, v9
	s_delay_alu instid0(VALU_DEP_3) | instskip(SKIP_2) | instid1(VALU_DEP_3)
	v_cndmask_b32_e32 v3, v3, v5, vcc_lo
	v_cndmask_b32_e32 v1, v4, v1, vcc_lo
	v_xor_b32_e32 v4, s9, v9
	v_xor_b32_e32 v3, v3, v0
	s_delay_alu instid0(VALU_DEP_2) | instskip(NEXT) | instid1(VALU_DEP_2)
	v_xor_b32_e32 v1, v1, v4
	v_sub_co_u32 v0, vcc_lo, v3, v0
	s_delay_alu instid0(VALU_DEP_2)
	v_sub_co_ci_u32_e32 v1, vcc_lo, v1, v4, vcc_lo
.LBB5_2:
	s_and_not1_saveexec_b32 s2, s3
	s_cbranch_execz .LBB5_4
; %bb.3:
	v_cvt_f32_u32_e32 v0, s6
	s_sub_i32 s3, 0, s6
	s_delay_alu instid0(VALU_DEP_1) | instskip(SKIP_2) | instid1(VALU_DEP_1)
	v_rcp_iflag_f32_e32 v0, v0
	s_waitcnt_depctr 0xfff
	v_mul_f32_e32 v0, 0x4f7ffffe, v0
	v_cvt_u32_f32_e32 v0, v0
	s_delay_alu instid0(VALU_DEP_1) | instskip(NEXT) | instid1(VALU_DEP_1)
	v_mul_lo_u32 v1, s3, v0
	v_mul_hi_u32 v1, v0, v1
	s_delay_alu instid0(VALU_DEP_1) | instskip(NEXT) | instid1(VALU_DEP_1)
	v_add_nc_u32_e32 v0, v0, v1
	v_mul_hi_u32 v0, v2, v0
	s_delay_alu instid0(VALU_DEP_1) | instskip(SKIP_1) | instid1(VALU_DEP_2)
	v_mul_lo_u32 v1, v0, s6
	v_add_nc_u32_e32 v3, 1, v0
	v_sub_nc_u32_e32 v1, v2, v1
	s_delay_alu instid0(VALU_DEP_1) | instskip(SKIP_1) | instid1(VALU_DEP_2)
	v_subrev_nc_u32_e32 v4, s6, v1
	v_cmp_le_u32_e32 vcc_lo, s6, v1
	v_dual_cndmask_b32 v1, v1, v4 :: v_dual_cndmask_b32 v0, v0, v3
	s_delay_alu instid0(VALU_DEP_1) | instskip(NEXT) | instid1(VALU_DEP_2)
	v_cmp_le_u32_e32 vcc_lo, s6, v1
	v_add_nc_u32_e32 v3, 1, v0
	s_delay_alu instid0(VALU_DEP_1)
	v_dual_mov_b32 v1, 0 :: v_dual_cndmask_b32 v0, v0, v3
.LBB5_4:
	s_or_b32 exec_lo, exec_lo, s2
	s_load_b64 s[2:3], s[0:1], 0x18
	s_delay_alu instid0(VALU_DEP_1) | instskip(NEXT) | instid1(VALU_DEP_1)
	v_mad_u64_u32 v[3:4], null, v0, s6, 0
	v_sub_co_u32 v2, null, v2, v3
	s_waitcnt lgkmcnt(0)
	v_cmp_gt_i64_e32 vcc_lo, s[2:3], v[0:1]
	s_delay_alu instid0(VALU_DEP_2) | instskip(NEXT) | instid1(VALU_DEP_1)
	v_cmp_gt_i32_e64 s2, s5, v2
	s_and_b32 s2, vcc_lo, s2
	s_delay_alu instid0(SALU_CYCLE_1)
	s_and_saveexec_b32 s3, s2
	s_cbranch_execz .LBB5_390
; %bb.5:
	s_ashr_i32 s6, s4, 31
	s_load_b64 s[2:3], s[0:1], 0x0
	v_mul_lo_u32 v5, v1, s4
	v_mad_u64_u32 v[3:4], null, v0, s4, 0
	v_mul_lo_u32 v6, v0, s6
	s_delay_alu instid0(VALU_DEP_1) | instskip(SKIP_1) | instid1(VALU_DEP_2)
	v_add3_u32 v4, v4, v6, v5
	v_dual_mov_b32 v6, 0 :: v_dual_lshlrev_b32 v5, 5, v2
	v_lshlrev_b64 v[3:4], 1, v[3:4]
	s_delay_alu instid0(VALU_DEP_2) | instskip(SKIP_1) | instid1(VALU_DEP_2)
	v_lshlrev_b64 v[5:6], 1, v[5:6]
	s_waitcnt lgkmcnt(0)
	v_add_co_u32 v3, vcc_lo, s2, v3
	s_delay_alu instid0(VALU_DEP_3) | instskip(SKIP_1) | instid1(VALU_DEP_2)
	v_add_co_ci_u32_e32 v4, vcc_lo, s3, v4, vcc_lo
	s_mov_b32 s2, exec_lo
	v_add_co_u32 v7, vcc_lo, v3, v5
	s_delay_alu instid0(VALU_DEP_2)
	v_add_co_ci_u32_e32 v8, vcc_lo, v4, v6, vcc_lo
	s_clause 0x3
	global_load_b128 v[3:6], v[7:8], off
	global_load_b128 v[10:13], v[7:8], off offset:16
	global_load_b128 v[28:31], v[7:8], off offset:32
	;; [unrolled: 1-line block ×3, first 2 shown]
	s_waitcnt vmcnt(3)
	v_lshrrev_b32_e32 v7, 16, v3
	v_cvt_f32_f16_e32 v17, v3
	v_lshrrev_b32_e32 v3, 16, v4
	v_cvt_f32_f16_e32 v9, v4
	;; [unrolled: 2-line block ×3, first 2 shown]
	v_cvt_f32_f16_e32 v16, v5
	v_cvt_f32_f16_e32 v14, v3
	v_lshrrev_b32_e32 v5, 16, v6
	v_cvt_f32_f16_e32 v20, v4
	v_max3_f32 v3, |v17|, 0, |v7|
	v_cvt_f32_f16_e32 v22, v6
	s_waitcnt vmcnt(2)
	v_lshrrev_b32_e32 v4, 16, v10
	v_cvt_f32_f16_e32 v25, v5
	v_cvt_f32_f16_e32 v27, v10
	v_max3_f32 v3, v3, |v9|, |v14|
	v_lshrrev_b32_e32 v5, 16, v11
	v_cvt_f32_f16_e32 v32, v4
	v_cvt_f32_f16_e32 v34, v11
	v_lshrrev_b32_e32 v4, 16, v12
	v_max3_f32 v3, v3, |v16|, |v20|
	v_cvt_f32_f16_e32 v38, v5
	v_cvt_f32_f16_e32 v40, v12
	v_lshrrev_b32_e32 v5, 16, v13
	v_cvt_f32_f16_e32 v41, v4
	v_max3_f32 v3, v3, |v22|, |v25|
	v_cvt_f32_f16_e32 v45, v13
	s_waitcnt vmcnt(1)
	v_lshrrev_b32_e32 v4, 16, v28
	v_cvt_f32_f16_e32 v47, v5
	v_cvt_f32_f16_e32 v51, v28
	v_max3_f32 v3, v3, |v27|, |v32|
	v_lshrrev_b32_e32 v5, 16, v29
	v_cvt_f32_f16_e32 v52, v4
	v_cvt_f32_f16_e32 v48, v29
	v_lshrrev_b32_e32 v4, 16, v30
	v_max3_f32 v3, v3, |v34|, |v38|
	v_cvt_f32_f16_e32 v46, v5
	v_cvt_f32_f16_e32 v42, v30
	v_lshrrev_b32_e32 v5, 16, v31
	v_cvt_f32_f16_e32 v39, v4
	v_max3_f32 v3, v3, |v40|, |v41|
	;; [unrolled: 16-line block ×3, first 2 shown]
	v_cvt_f32_f16_e32 v13, v56
	s_delay_alu instid0(VALU_DEP_4) | instskip(NEXT) | instid1(VALU_DEP_3)
	v_cvt_f32_f16_e32 v8, v5
	v_max3_f32 v3, v3, |v42|, |v39|
	s_delay_alu instid0(VALU_DEP_1) | instskip(NEXT) | instid1(VALU_DEP_1)
	v_max3_f32 v3, v3, |v37|, |v33|
	v_max3_f32 v3, v3, |v31|, |v28|
	s_delay_alu instid0(VALU_DEP_1) | instskip(NEXT) | instid1(VALU_DEP_1)
	v_max3_f32 v3, v3, |v26|, |v21|
	;; [unrolled: 3-line block ×3, first 2 shown]
	v_mul_f32_e32 v3, 0x3e800000, v3
	s_delay_alu instid0(VALU_DEP_1) | instskip(NEXT) | instid1(VALU_DEP_1)
	v_and_b32_e32 v4, 0x7f800000, v3
	v_div_scale_f32 v5, null, v4, v4, 1.0
	v_div_scale_f32 v11, vcc_lo, 1.0, v4, 1.0
	s_delay_alu instid0(VALU_DEP_2) | instskip(SKIP_2) | instid1(VALU_DEP_1)
	v_rcp_f32_e32 v6, v5
	s_waitcnt_depctr 0xfff
	v_fma_f32 v10, -v5, v6, 1.0
	v_fmac_f32_e32 v6, v10, v6
	s_delay_alu instid0(VALU_DEP_1) | instskip(NEXT) | instid1(VALU_DEP_1)
	v_mul_f32_e32 v10, v11, v6
	v_fma_f32 v12, -v5, v10, v11
	s_delay_alu instid0(VALU_DEP_1) | instskip(NEXT) | instid1(VALU_DEP_1)
	v_fmac_f32_e32 v10, v12, v6
	v_fma_f32 v5, -v5, v10, v11
	s_delay_alu instid0(VALU_DEP_1) | instskip(SKIP_2) | instid1(VALU_DEP_3)
	v_div_fmas_f32 v5, v5, v6, v10
	v_cmp_neq_f32_e32 vcc_lo, 0, v4
	v_mov_b32_e32 v6, 7
	v_div_fixup_f32 v5, v5, v4, 1.0
	v_mov_b32_e32 v4, 7
	s_delay_alu instid0(VALU_DEP_2) | instskip(NEXT) | instid1(VALU_DEP_1)
	v_cndmask_b32_e32 v10, 0, v5, vcc_lo
	v_mul_f32_e32 v5, v10, v17
	s_delay_alu instid0(VALU_DEP_1)
	v_cmpx_nle_f32_e64 0x40a00000, |v5|
	s_cbranch_execz .LBB5_17
; %bb.6:
	v_mov_b32_e32 v4, 6
	s_mov_b32 s3, exec_lo
	v_cmpx_nle_f32_e64 0x40600000, |v5|
	s_cbranch_execz .LBB5_16
; %bb.7:
	v_mov_b32_e32 v4, 5
	s_mov_b32 s6, exec_lo
	;; [unrolled: 5-line block ×5, first 2 shown]
	v_cmpx_nle_f32_e64 0x3f400000, |v5|
; %bb.11:
	v_cmp_le_f32_e64 s10, 0x3e800000, |v5|
	s_delay_alu instid0(VALU_DEP_1)
	v_cndmask_b32_e64 v4, 0, 1, s10
; %bb.12:
	s_or_b32 exec_lo, exec_lo, s9
.LBB5_13:
	s_delay_alu instid0(SALU_CYCLE_1)
	s_or_b32 exec_lo, exec_lo, s8
.LBB5_14:
	s_delay_alu instid0(SALU_CYCLE_1)
	s_or_b32 exec_lo, exec_lo, s7
.LBB5_15:
	s_delay_alu instid0(SALU_CYCLE_1)
	s_or_b32 exec_lo, exec_lo, s6
.LBB5_16:
	s_delay_alu instid0(SALU_CYCLE_1)
	s_or_b32 exec_lo, exec_lo, s3
.LBB5_17:
	s_delay_alu instid0(SALU_CYCLE_1) | instskip(SKIP_2) | instid1(VALU_DEP_1)
	s_or_b32 exec_lo, exec_lo, s2
	v_mul_f32_e32 v7, v10, v7
	s_mov_b32 s2, exec_lo
	v_cmpx_nle_f32_e64 0x40a00000, |v7|
	s_cbranch_execz .LBB5_29
; %bb.18:
	v_mov_b32_e32 v6, 6
	s_mov_b32 s3, exec_lo
	v_cmpx_nle_f32_e64 0x40600000, |v7|
	s_cbranch_execz .LBB5_28
; %bb.19:
	v_mov_b32_e32 v6, 5
	;; [unrolled: 5-line block ×5, first 2 shown]
	s_mov_b32 s9, exec_lo
	v_cmpx_nle_f32_e64 0x3f400000, |v7|
; %bb.23:
	v_cmp_le_f32_e64 s10, 0x3e800000, |v7|
	s_delay_alu instid0(VALU_DEP_1)
	v_cndmask_b32_e64 v6, 0, 1, s10
; %bb.24:
	s_or_b32 exec_lo, exec_lo, s9
.LBB5_25:
	s_delay_alu instid0(SALU_CYCLE_1)
	s_or_b32 exec_lo, exec_lo, s8
.LBB5_26:
	s_delay_alu instid0(SALU_CYCLE_1)
	s_or_b32 exec_lo, exec_lo, s7
.LBB5_27:
	s_delay_alu instid0(SALU_CYCLE_1)
	s_or_b32 exec_lo, exec_lo, s6
.LBB5_28:
	s_delay_alu instid0(SALU_CYCLE_1)
	s_or_b32 exec_lo, exec_lo, s3
.LBB5_29:
	s_delay_alu instid0(SALU_CYCLE_1) | instskip(SKIP_3) | instid1(VALU_DEP_2)
	s_or_b32 exec_lo, exec_lo, s2
	v_dual_mul_f32 v11, v10, v9 :: v_dual_mov_b32 v12, 7
	v_mov_b32_e32 v9, 7
	s_mov_b32 s2, exec_lo
	v_cmpx_nle_f32_e64 0x40a00000, |v11|
	s_cbranch_execz .LBB5_41
; %bb.30:
	v_mov_b32_e32 v12, 6
	s_mov_b32 s3, exec_lo
	v_cmpx_nle_f32_e64 0x40600000, |v11|
	s_cbranch_execz .LBB5_40
; %bb.31:
	;; [unrolled: 5-line block ×5, first 2 shown]
	v_mov_b32_e32 v12, 2
	s_mov_b32 s9, exec_lo
	v_cmpx_nle_f32_e64 0x3f400000, |v11|
; %bb.35:
	v_cmp_le_f32_e64 s10, 0x3e800000, |v11|
	s_delay_alu instid0(VALU_DEP_1)
	v_cndmask_b32_e64 v12, 0, 1, s10
; %bb.36:
	s_or_b32 exec_lo, exec_lo, s9
.LBB5_37:
	s_delay_alu instid0(SALU_CYCLE_1)
	s_or_b32 exec_lo, exec_lo, s8
.LBB5_38:
	s_delay_alu instid0(SALU_CYCLE_1)
	s_or_b32 exec_lo, exec_lo, s7
.LBB5_39:
	s_delay_alu instid0(SALU_CYCLE_1)
	s_or_b32 exec_lo, exec_lo, s6
.LBB5_40:
	s_delay_alu instid0(SALU_CYCLE_1)
	s_or_b32 exec_lo, exec_lo, s3
.LBB5_41:
	s_delay_alu instid0(SALU_CYCLE_1) | instskip(SKIP_2) | instid1(VALU_DEP_1)
	s_or_b32 exec_lo, exec_lo, s2
	v_mul_f32_e32 v14, v10, v14
	s_mov_b32 s2, exec_lo
	v_cmpx_nle_f32_e64 0x40a00000, |v14|
	s_cbranch_execz .LBB5_53
; %bb.42:
	v_mov_b32_e32 v9, 6
	s_mov_b32 s3, exec_lo
	v_cmpx_nle_f32_e64 0x40600000, |v14|
	s_cbranch_execz .LBB5_52
; %bb.43:
	v_mov_b32_e32 v9, 5
	;; [unrolled: 5-line block ×5, first 2 shown]
	s_mov_b32 s9, exec_lo
	v_cmpx_nle_f32_e64 0x3f400000, |v14|
; %bb.47:
	v_cmp_le_f32_e64 s10, 0x3e800000, |v14|
	s_delay_alu instid0(VALU_DEP_1)
	v_cndmask_b32_e64 v9, 0, 1, s10
; %bb.48:
	s_or_b32 exec_lo, exec_lo, s9
.LBB5_49:
	s_delay_alu instid0(SALU_CYCLE_1)
	s_or_b32 exec_lo, exec_lo, s8
.LBB5_50:
	s_delay_alu instid0(SALU_CYCLE_1)
	s_or_b32 exec_lo, exec_lo, s7
.LBB5_51:
	s_delay_alu instid0(SALU_CYCLE_1)
	s_or_b32 exec_lo, exec_lo, s6
.LBB5_52:
	s_delay_alu instid0(SALU_CYCLE_1)
	s_or_b32 exec_lo, exec_lo, s3
.LBB5_53:
	s_delay_alu instid0(SALU_CYCLE_1) | instskip(SKIP_3) | instid1(VALU_DEP_2)
	s_or_b32 exec_lo, exec_lo, s2
	v_dual_mul_f32 v18, v10, v16 :: v_dual_mov_b32 v17, 7
	v_mov_b32_e32 v16, 7
	s_mov_b32 s2, exec_lo
	v_cmpx_nle_f32_e64 0x40a00000, |v18|
	s_cbranch_execz .LBB5_65
; %bb.54:
	v_mov_b32_e32 v16, 6
	s_mov_b32 s3, exec_lo
	v_cmpx_nle_f32_e64 0x40600000, |v18|
	s_cbranch_execz .LBB5_64
; %bb.55:
	;; [unrolled: 5-line block ×5, first 2 shown]
	v_mov_b32_e32 v16, 2
	s_mov_b32 s9, exec_lo
	v_cmpx_nle_f32_e64 0x3f400000, |v18|
; %bb.59:
	v_cmp_le_f32_e64 s10, 0x3e800000, |v18|
	s_delay_alu instid0(VALU_DEP_1)
	v_cndmask_b32_e64 v16, 0, 1, s10
; %bb.60:
	s_or_b32 exec_lo, exec_lo, s9
.LBB5_61:
	s_delay_alu instid0(SALU_CYCLE_1)
	s_or_b32 exec_lo, exec_lo, s8
.LBB5_62:
	s_delay_alu instid0(SALU_CYCLE_1)
	s_or_b32 exec_lo, exec_lo, s7
.LBB5_63:
	s_delay_alu instid0(SALU_CYCLE_1)
	s_or_b32 exec_lo, exec_lo, s6
.LBB5_64:
	s_delay_alu instid0(SALU_CYCLE_1)
	s_or_b32 exec_lo, exec_lo, s3
.LBB5_65:
	s_delay_alu instid0(SALU_CYCLE_1) | instskip(SKIP_2) | instid1(VALU_DEP_1)
	s_or_b32 exec_lo, exec_lo, s2
	v_mul_f32_e32 v20, v10, v20
	s_mov_b32 s2, exec_lo
	v_cmpx_nle_f32_e64 0x40a00000, |v20|
	s_cbranch_execz .LBB5_77
; %bb.66:
	v_mov_b32_e32 v17, 6
	s_mov_b32 s3, exec_lo
	v_cmpx_nle_f32_e64 0x40600000, |v20|
	s_cbranch_execz .LBB5_76
; %bb.67:
	v_mov_b32_e32 v17, 5
	;; [unrolled: 5-line block ×5, first 2 shown]
	s_mov_b32 s9, exec_lo
	v_cmpx_nle_f32_e64 0x3f400000, |v20|
; %bb.71:
	v_cmp_le_f32_e64 s10, 0x3e800000, |v20|
	s_delay_alu instid0(VALU_DEP_1)
	v_cndmask_b32_e64 v17, 0, 1, s10
; %bb.72:
	s_or_b32 exec_lo, exec_lo, s9
.LBB5_73:
	s_delay_alu instid0(SALU_CYCLE_1)
	s_or_b32 exec_lo, exec_lo, s8
.LBB5_74:
	s_delay_alu instid0(SALU_CYCLE_1)
	s_or_b32 exec_lo, exec_lo, s7
.LBB5_75:
	s_delay_alu instid0(SALU_CYCLE_1)
	s_or_b32 exec_lo, exec_lo, s6
.LBB5_76:
	s_delay_alu instid0(SALU_CYCLE_1)
	s_or_b32 exec_lo, exec_lo, s3
.LBB5_77:
	s_delay_alu instid0(SALU_CYCLE_1) | instskip(SKIP_3) | instid1(VALU_DEP_2)
	s_or_b32 exec_lo, exec_lo, s2
	v_dual_mul_f32 v24, v10, v22 :: v_dual_mov_b32 v23, 7
	v_mov_b32_e32 v22, 7
	s_mov_b32 s2, exec_lo
	v_cmpx_nle_f32_e64 0x40a00000, |v24|
	s_cbranch_execz .LBB5_89
; %bb.78:
	v_mov_b32_e32 v23, 6
	s_mov_b32 s3, exec_lo
	v_cmpx_nle_f32_e64 0x40600000, |v24|
	s_cbranch_execz .LBB5_88
; %bb.79:
	;; [unrolled: 5-line block ×5, first 2 shown]
	v_mov_b32_e32 v23, 2
	s_mov_b32 s9, exec_lo
	v_cmpx_nle_f32_e64 0x3f400000, |v24|
; %bb.83:
	v_cmp_le_f32_e64 s10, 0x3e800000, |v24|
	s_delay_alu instid0(VALU_DEP_1)
	v_cndmask_b32_e64 v23, 0, 1, s10
; %bb.84:
	s_or_b32 exec_lo, exec_lo, s9
.LBB5_85:
	s_delay_alu instid0(SALU_CYCLE_1)
	s_or_b32 exec_lo, exec_lo, s8
.LBB5_86:
	s_delay_alu instid0(SALU_CYCLE_1)
	s_or_b32 exec_lo, exec_lo, s7
.LBB5_87:
	s_delay_alu instid0(SALU_CYCLE_1)
	s_or_b32 exec_lo, exec_lo, s6
.LBB5_88:
	s_delay_alu instid0(SALU_CYCLE_1)
	s_or_b32 exec_lo, exec_lo, s3
.LBB5_89:
	s_delay_alu instid0(SALU_CYCLE_1) | instskip(SKIP_2) | instid1(VALU_DEP_1)
	s_or_b32 exec_lo, exec_lo, s2
	v_mul_f32_e32 v25, v10, v25
	s_mov_b32 s2, exec_lo
	v_cmpx_nle_f32_e64 0x40a00000, |v25|
	s_cbranch_execz .LBB5_101
; %bb.90:
	v_mov_b32_e32 v22, 6
	s_mov_b32 s3, exec_lo
	v_cmpx_nle_f32_e64 0x40600000, |v25|
	s_cbranch_execz .LBB5_100
; %bb.91:
	v_mov_b32_e32 v22, 5
	;; [unrolled: 5-line block ×5, first 2 shown]
	s_mov_b32 s9, exec_lo
	v_cmpx_nle_f32_e64 0x3f400000, |v25|
; %bb.95:
	v_cmp_le_f32_e64 s10, 0x3e800000, |v25|
	s_delay_alu instid0(VALU_DEP_1)
	v_cndmask_b32_e64 v22, 0, 1, s10
; %bb.96:
	s_or_b32 exec_lo, exec_lo, s9
.LBB5_97:
	s_delay_alu instid0(SALU_CYCLE_1)
	s_or_b32 exec_lo, exec_lo, s8
.LBB5_98:
	s_delay_alu instid0(SALU_CYCLE_1)
	s_or_b32 exec_lo, exec_lo, s7
.LBB5_99:
	s_delay_alu instid0(SALU_CYCLE_1)
	s_or_b32 exec_lo, exec_lo, s6
.LBB5_100:
	s_delay_alu instid0(SALU_CYCLE_1)
	s_or_b32 exec_lo, exec_lo, s3
.LBB5_101:
	s_delay_alu instid0(SALU_CYCLE_1) | instskip(SKIP_3) | instid1(VALU_DEP_2)
	s_or_b32 exec_lo, exec_lo, s2
	v_dual_mul_f32 v30, v10, v27 :: v_dual_mov_b32 v27, 7
	v_mov_b32_e32 v29, 7
	s_mov_b32 s2, exec_lo
	v_cmpx_nle_f32_e64 0x40a00000, |v30|
	s_cbranch_execz .LBB5_113
; %bb.102:
	v_mov_b32_e32 v29, 6
	s_mov_b32 s3, exec_lo
	v_cmpx_nle_f32_e64 0x40600000, |v30|
	s_cbranch_execz .LBB5_112
; %bb.103:
	;; [unrolled: 5-line block ×5, first 2 shown]
	v_mov_b32_e32 v29, 2
	s_mov_b32 s9, exec_lo
	v_cmpx_nle_f32_e64 0x3f400000, |v30|
; %bb.107:
	v_cmp_le_f32_e64 s10, 0x3e800000, |v30|
	s_delay_alu instid0(VALU_DEP_1)
	v_cndmask_b32_e64 v29, 0, 1, s10
; %bb.108:
	s_or_b32 exec_lo, exec_lo, s9
.LBB5_109:
	s_delay_alu instid0(SALU_CYCLE_1)
	s_or_b32 exec_lo, exec_lo, s8
.LBB5_110:
	s_delay_alu instid0(SALU_CYCLE_1)
	s_or_b32 exec_lo, exec_lo, s7
.LBB5_111:
	s_delay_alu instid0(SALU_CYCLE_1)
	s_or_b32 exec_lo, exec_lo, s6
.LBB5_112:
	s_delay_alu instid0(SALU_CYCLE_1)
	s_or_b32 exec_lo, exec_lo, s3
.LBB5_113:
	s_delay_alu instid0(SALU_CYCLE_1) | instskip(SKIP_2) | instid1(VALU_DEP_1)
	s_or_b32 exec_lo, exec_lo, s2
	v_mul_f32_e32 v32, v10, v32
	s_mov_b32 s2, exec_lo
	v_cmpx_nle_f32_e64 0x40a00000, |v32|
	s_cbranch_execz .LBB5_125
; %bb.114:
	v_mov_b32_e32 v27, 6
	s_mov_b32 s3, exec_lo
	v_cmpx_nle_f32_e64 0x40600000, |v32|
	s_cbranch_execz .LBB5_124
; %bb.115:
	v_mov_b32_e32 v27, 5
	;; [unrolled: 5-line block ×5, first 2 shown]
	s_mov_b32 s9, exec_lo
	v_cmpx_nle_f32_e64 0x3f400000, |v32|
; %bb.119:
	v_cmp_le_f32_e64 s10, 0x3e800000, |v32|
	s_delay_alu instid0(VALU_DEP_1)
	v_cndmask_b32_e64 v27, 0, 1, s10
; %bb.120:
	s_or_b32 exec_lo, exec_lo, s9
.LBB5_121:
	s_delay_alu instid0(SALU_CYCLE_1)
	s_or_b32 exec_lo, exec_lo, s8
.LBB5_122:
	s_delay_alu instid0(SALU_CYCLE_1)
	s_or_b32 exec_lo, exec_lo, s7
.LBB5_123:
	s_delay_alu instid0(SALU_CYCLE_1)
	s_or_b32 exec_lo, exec_lo, s6
.LBB5_124:
	s_delay_alu instid0(SALU_CYCLE_1)
	s_or_b32 exec_lo, exec_lo, s3
.LBB5_125:
	s_delay_alu instid0(SALU_CYCLE_1) | instskip(SKIP_3) | instid1(VALU_DEP_2)
	s_or_b32 exec_lo, exec_lo, s2
	v_dual_mul_f32 v36, v10, v34 :: v_dual_mov_b32 v35, 7
	v_mov_b32_e32 v34, 7
	s_mov_b32 s2, exec_lo
	v_cmpx_nle_f32_e64 0x40a00000, |v36|
	s_cbranch_execz .LBB5_137
; %bb.126:
	v_mov_b32_e32 v35, 6
	s_mov_b32 s3, exec_lo
	v_cmpx_nle_f32_e64 0x40600000, |v36|
	s_cbranch_execz .LBB5_136
; %bb.127:
	;; [unrolled: 5-line block ×5, first 2 shown]
	v_mov_b32_e32 v35, 2
	s_mov_b32 s9, exec_lo
	v_cmpx_nle_f32_e64 0x3f400000, |v36|
; %bb.131:
	v_cmp_le_f32_e64 s10, 0x3e800000, |v36|
	s_delay_alu instid0(VALU_DEP_1)
	v_cndmask_b32_e64 v35, 0, 1, s10
; %bb.132:
	s_or_b32 exec_lo, exec_lo, s9
.LBB5_133:
	s_delay_alu instid0(SALU_CYCLE_1)
	s_or_b32 exec_lo, exec_lo, s8
.LBB5_134:
	s_delay_alu instid0(SALU_CYCLE_1)
	s_or_b32 exec_lo, exec_lo, s7
.LBB5_135:
	s_delay_alu instid0(SALU_CYCLE_1)
	s_or_b32 exec_lo, exec_lo, s6
.LBB5_136:
	s_delay_alu instid0(SALU_CYCLE_1)
	s_or_b32 exec_lo, exec_lo, s3
.LBB5_137:
	s_delay_alu instid0(SALU_CYCLE_1) | instskip(SKIP_2) | instid1(VALU_DEP_1)
	s_or_b32 exec_lo, exec_lo, s2
	v_mul_f32_e32 v38, v10, v38
	s_mov_b32 s2, exec_lo
	v_cmpx_nle_f32_e64 0x40a00000, |v38|
	s_cbranch_execz .LBB5_149
; %bb.138:
	v_mov_b32_e32 v34, 6
	s_mov_b32 s3, exec_lo
	v_cmpx_nle_f32_e64 0x40600000, |v38|
	s_cbranch_execz .LBB5_148
; %bb.139:
	v_mov_b32_e32 v34, 5
	;; [unrolled: 5-line block ×5, first 2 shown]
	s_mov_b32 s9, exec_lo
	v_cmpx_nle_f32_e64 0x3f400000, |v38|
; %bb.143:
	v_cmp_le_f32_e64 s10, 0x3e800000, |v38|
	s_delay_alu instid0(VALU_DEP_1)
	v_cndmask_b32_e64 v34, 0, 1, s10
; %bb.144:
	s_or_b32 exec_lo, exec_lo, s9
.LBB5_145:
	s_delay_alu instid0(SALU_CYCLE_1)
	s_or_b32 exec_lo, exec_lo, s8
.LBB5_146:
	s_delay_alu instid0(SALU_CYCLE_1)
	s_or_b32 exec_lo, exec_lo, s7
.LBB5_147:
	s_delay_alu instid0(SALU_CYCLE_1)
	s_or_b32 exec_lo, exec_lo, s6
.LBB5_148:
	s_delay_alu instid0(SALU_CYCLE_1)
	s_or_b32 exec_lo, exec_lo, s3
.LBB5_149:
	s_delay_alu instid0(SALU_CYCLE_1) | instskip(SKIP_3) | instid1(VALU_DEP_2)
	s_or_b32 exec_lo, exec_lo, s2
	v_dual_mul_f32 v43, v10, v40 :: v_dual_mov_b32 v40, 7
	v_mov_b32_e32 v44, 7
	s_mov_b32 s2, exec_lo
	v_cmpx_nle_f32_e64 0x40a00000, |v43|
	s_cbranch_execz .LBB5_161
; %bb.150:
	v_mov_b32_e32 v44, 6
	s_mov_b32 s3, exec_lo
	v_cmpx_nle_f32_e64 0x40600000, |v43|
	s_cbranch_execz .LBB5_160
; %bb.151:
	;; [unrolled: 5-line block ×5, first 2 shown]
	v_mov_b32_e32 v44, 2
	s_mov_b32 s9, exec_lo
	v_cmpx_nle_f32_e64 0x3f400000, |v43|
; %bb.155:
	v_cmp_le_f32_e64 s10, 0x3e800000, |v43|
	s_delay_alu instid0(VALU_DEP_1)
	v_cndmask_b32_e64 v44, 0, 1, s10
; %bb.156:
	s_or_b32 exec_lo, exec_lo, s9
.LBB5_157:
	s_delay_alu instid0(SALU_CYCLE_1)
	s_or_b32 exec_lo, exec_lo, s8
.LBB5_158:
	s_delay_alu instid0(SALU_CYCLE_1)
	s_or_b32 exec_lo, exec_lo, s7
.LBB5_159:
	s_delay_alu instid0(SALU_CYCLE_1)
	s_or_b32 exec_lo, exec_lo, s6
.LBB5_160:
	s_delay_alu instid0(SALU_CYCLE_1)
	s_or_b32 exec_lo, exec_lo, s3
.LBB5_161:
	s_delay_alu instid0(SALU_CYCLE_1) | instskip(SKIP_2) | instid1(VALU_DEP_1)
	s_or_b32 exec_lo, exec_lo, s2
	v_mul_f32_e32 v41, v10, v41
	s_mov_b32 s2, exec_lo
	v_cmpx_nle_f32_e64 0x40a00000, |v41|
	s_cbranch_execz .LBB5_173
; %bb.162:
	v_mov_b32_e32 v40, 6
	s_mov_b32 s3, exec_lo
	v_cmpx_nle_f32_e64 0x40600000, |v41|
	s_cbranch_execz .LBB5_172
; %bb.163:
	v_mov_b32_e32 v40, 5
	;; [unrolled: 5-line block ×5, first 2 shown]
	s_mov_b32 s9, exec_lo
	v_cmpx_nle_f32_e64 0x3f400000, |v41|
; %bb.167:
	v_cmp_le_f32_e64 s10, 0x3e800000, |v41|
	s_delay_alu instid0(VALU_DEP_1)
	v_cndmask_b32_e64 v40, 0, 1, s10
; %bb.168:
	s_or_b32 exec_lo, exec_lo, s9
.LBB5_169:
	s_delay_alu instid0(SALU_CYCLE_1)
	s_or_b32 exec_lo, exec_lo, s8
.LBB5_170:
	s_delay_alu instid0(SALU_CYCLE_1)
	s_or_b32 exec_lo, exec_lo, s7
.LBB5_171:
	s_delay_alu instid0(SALU_CYCLE_1)
	s_or_b32 exec_lo, exec_lo, s6
.LBB5_172:
	s_delay_alu instid0(SALU_CYCLE_1)
	s_or_b32 exec_lo, exec_lo, s3
.LBB5_173:
	s_delay_alu instid0(SALU_CYCLE_1) | instskip(SKIP_3) | instid1(VALU_DEP_2)
	s_or_b32 exec_lo, exec_lo, s2
	v_dual_mul_f32 v50, v10, v45 :: v_dual_mov_b32 v45, 7
	v_mov_b32_e32 v49, 7
	s_mov_b32 s2, exec_lo
	v_cmpx_nle_f32_e64 0x40a00000, |v50|
	s_cbranch_execz .LBB5_185
; %bb.174:
	v_mov_b32_e32 v49, 6
	s_mov_b32 s3, exec_lo
	v_cmpx_nle_f32_e64 0x40600000, |v50|
	s_cbranch_execz .LBB5_184
; %bb.175:
	;; [unrolled: 5-line block ×5, first 2 shown]
	v_mov_b32_e32 v49, 2
	s_mov_b32 s9, exec_lo
	v_cmpx_nle_f32_e64 0x3f400000, |v50|
; %bb.179:
	v_cmp_le_f32_e64 s10, 0x3e800000, |v50|
	s_delay_alu instid0(VALU_DEP_1)
	v_cndmask_b32_e64 v49, 0, 1, s10
; %bb.180:
	s_or_b32 exec_lo, exec_lo, s9
.LBB5_181:
	s_delay_alu instid0(SALU_CYCLE_1)
	s_or_b32 exec_lo, exec_lo, s8
.LBB5_182:
	s_delay_alu instid0(SALU_CYCLE_1)
	s_or_b32 exec_lo, exec_lo, s7
.LBB5_183:
	s_delay_alu instid0(SALU_CYCLE_1)
	s_or_b32 exec_lo, exec_lo, s6
.LBB5_184:
	s_delay_alu instid0(SALU_CYCLE_1)
	s_or_b32 exec_lo, exec_lo, s3
.LBB5_185:
	s_delay_alu instid0(SALU_CYCLE_1) | instskip(SKIP_2) | instid1(VALU_DEP_1)
	s_or_b32 exec_lo, exec_lo, s2
	v_mul_f32_e32 v47, v10, v47
	s_mov_b32 s2, exec_lo
	v_cmpx_nle_f32_e64 0x40a00000, |v47|
	s_cbranch_execz .LBB5_197
; %bb.186:
	v_mov_b32_e32 v45, 6
	s_mov_b32 s3, exec_lo
	v_cmpx_nle_f32_e64 0x40600000, |v47|
	s_cbranch_execz .LBB5_196
; %bb.187:
	v_mov_b32_e32 v45, 5
	;; [unrolled: 5-line block ×5, first 2 shown]
	s_mov_b32 s9, exec_lo
	v_cmpx_nle_f32_e64 0x3f400000, |v47|
; %bb.191:
	v_cmp_le_f32_e64 s10, 0x3e800000, |v47|
	s_delay_alu instid0(VALU_DEP_1)
	v_cndmask_b32_e64 v45, 0, 1, s10
; %bb.192:
	s_or_b32 exec_lo, exec_lo, s9
.LBB5_193:
	s_delay_alu instid0(SALU_CYCLE_1)
	s_or_b32 exec_lo, exec_lo, s8
.LBB5_194:
	s_delay_alu instid0(SALU_CYCLE_1)
	s_or_b32 exec_lo, exec_lo, s7
.LBB5_195:
	s_delay_alu instid0(SALU_CYCLE_1)
	s_or_b32 exec_lo, exec_lo, s6
.LBB5_196:
	s_delay_alu instid0(SALU_CYCLE_1)
	s_or_b32 exec_lo, exec_lo, s3
.LBB5_197:
	s_delay_alu instid0(SALU_CYCLE_1) | instskip(SKIP_3) | instid1(VALU_DEP_2)
	s_or_b32 exec_lo, exec_lo, s2
	v_dual_mul_f32 v54, v10, v51 :: v_dual_mov_b32 v51, 7
	v_mov_b32_e32 v53, 7
	s_mov_b32 s2, exec_lo
	v_cmpx_nle_f32_e64 0x40a00000, |v54|
	s_cbranch_execz .LBB5_209
; %bb.198:
	v_mov_b32_e32 v53, 6
	s_mov_b32 s3, exec_lo
	v_cmpx_nle_f32_e64 0x40600000, |v54|
	s_cbranch_execz .LBB5_208
; %bb.199:
	;; [unrolled: 5-line block ×5, first 2 shown]
	v_mov_b32_e32 v53, 2
	s_mov_b32 s9, exec_lo
	v_cmpx_nle_f32_e64 0x3f400000, |v54|
; %bb.203:
	v_cmp_le_f32_e64 s10, 0x3e800000, |v54|
	s_delay_alu instid0(VALU_DEP_1)
	v_cndmask_b32_e64 v53, 0, 1, s10
; %bb.204:
	s_or_b32 exec_lo, exec_lo, s9
.LBB5_205:
	s_delay_alu instid0(SALU_CYCLE_1)
	s_or_b32 exec_lo, exec_lo, s8
.LBB5_206:
	s_delay_alu instid0(SALU_CYCLE_1)
	s_or_b32 exec_lo, exec_lo, s7
.LBB5_207:
	s_delay_alu instid0(SALU_CYCLE_1)
	s_or_b32 exec_lo, exec_lo, s6
.LBB5_208:
	s_delay_alu instid0(SALU_CYCLE_1)
	s_or_b32 exec_lo, exec_lo, s3
.LBB5_209:
	s_delay_alu instid0(SALU_CYCLE_1) | instskip(SKIP_2) | instid1(VALU_DEP_1)
	s_or_b32 exec_lo, exec_lo, s2
	v_mul_f32_e32 v52, v10, v52
	s_mov_b32 s2, exec_lo
	v_cmpx_nle_f32_e64 0x40a00000, |v52|
	s_cbranch_execz .LBB5_221
; %bb.210:
	v_mov_b32_e32 v51, 6
	s_mov_b32 s3, exec_lo
	v_cmpx_nle_f32_e64 0x40600000, |v52|
	s_cbranch_execz .LBB5_220
; %bb.211:
	v_mov_b32_e32 v51, 5
	;; [unrolled: 5-line block ×5, first 2 shown]
	s_mov_b32 s9, exec_lo
	v_cmpx_nle_f32_e64 0x3f400000, |v52|
; %bb.215:
	v_cmp_le_f32_e64 s10, 0x3e800000, |v52|
	s_delay_alu instid0(VALU_DEP_1)
	v_cndmask_b32_e64 v51, 0, 1, s10
; %bb.216:
	s_or_b32 exec_lo, exec_lo, s9
.LBB5_217:
	s_delay_alu instid0(SALU_CYCLE_1)
	s_or_b32 exec_lo, exec_lo, s8
.LBB5_218:
	s_delay_alu instid0(SALU_CYCLE_1)
	s_or_b32 exec_lo, exec_lo, s7
.LBB5_219:
	s_delay_alu instid0(SALU_CYCLE_1)
	s_or_b32 exec_lo, exec_lo, s6
.LBB5_220:
	s_delay_alu instid0(SALU_CYCLE_1)
	s_or_b32 exec_lo, exec_lo, s3
.LBB5_221:
	s_delay_alu instid0(SALU_CYCLE_1) | instskip(SKIP_3) | instid1(VALU_DEP_2)
	s_or_b32 exec_lo, exec_lo, s2
	v_dual_mul_f32 v56, v10, v48 :: v_dual_mov_b32 v55, 7
	v_mov_b32_e32 v48, 7
	s_mov_b32 s2, exec_lo
	v_cmpx_nle_f32_e64 0x40a00000, |v56|
	s_cbranch_execz .LBB5_233
; %bb.222:
	v_mov_b32_e32 v55, 6
	s_mov_b32 s3, exec_lo
	v_cmpx_nle_f32_e64 0x40600000, |v56|
	s_cbranch_execz .LBB5_232
; %bb.223:
	;; [unrolled: 5-line block ×5, first 2 shown]
	v_mov_b32_e32 v55, 2
	s_mov_b32 s9, exec_lo
	v_cmpx_nle_f32_e64 0x3f400000, |v56|
; %bb.227:
	v_cmp_le_f32_e64 s10, 0x3e800000, |v56|
	s_delay_alu instid0(VALU_DEP_1)
	v_cndmask_b32_e64 v55, 0, 1, s10
; %bb.228:
	s_or_b32 exec_lo, exec_lo, s9
.LBB5_229:
	s_delay_alu instid0(SALU_CYCLE_1)
	s_or_b32 exec_lo, exec_lo, s8
.LBB5_230:
	s_delay_alu instid0(SALU_CYCLE_1)
	s_or_b32 exec_lo, exec_lo, s7
.LBB5_231:
	s_delay_alu instid0(SALU_CYCLE_1)
	s_or_b32 exec_lo, exec_lo, s6
.LBB5_232:
	s_delay_alu instid0(SALU_CYCLE_1)
	s_or_b32 exec_lo, exec_lo, s3
.LBB5_233:
	s_delay_alu instid0(SALU_CYCLE_1) | instskip(SKIP_2) | instid1(VALU_DEP_1)
	s_or_b32 exec_lo, exec_lo, s2
	v_mul_f32_e32 v46, v10, v46
	s_mov_b32 s2, exec_lo
	v_cmpx_nle_f32_e64 0x40a00000, |v46|
	s_cbranch_execz .LBB5_245
; %bb.234:
	v_mov_b32_e32 v48, 6
	s_mov_b32 s3, exec_lo
	v_cmpx_nle_f32_e64 0x40600000, |v46|
	s_cbranch_execz .LBB5_244
; %bb.235:
	v_mov_b32_e32 v48, 5
	;; [unrolled: 5-line block ×5, first 2 shown]
	s_mov_b32 s9, exec_lo
	v_cmpx_nle_f32_e64 0x3f400000, |v46|
; %bb.239:
	v_cmp_le_f32_e64 s10, 0x3e800000, |v46|
	s_delay_alu instid0(VALU_DEP_1)
	v_cndmask_b32_e64 v48, 0, 1, s10
; %bb.240:
	s_or_b32 exec_lo, exec_lo, s9
.LBB5_241:
	s_delay_alu instid0(SALU_CYCLE_1)
	s_or_b32 exec_lo, exec_lo, s8
.LBB5_242:
	s_delay_alu instid0(SALU_CYCLE_1)
	s_or_b32 exec_lo, exec_lo, s7
.LBB5_243:
	s_delay_alu instid0(SALU_CYCLE_1)
	s_or_b32 exec_lo, exec_lo, s6
.LBB5_244:
	s_delay_alu instid0(SALU_CYCLE_1)
	s_or_b32 exec_lo, exec_lo, s3
.LBB5_245:
	s_delay_alu instid0(SALU_CYCLE_1) | instskip(SKIP_3) | instid1(VALU_DEP_2)
	s_or_b32 exec_lo, exec_lo, s2
	v_dual_mul_f32 v58, v10, v42 :: v_dual_mov_b32 v57, 7
	v_mov_b32_e32 v42, 7
	s_mov_b32 s2, exec_lo
	v_cmpx_nle_f32_e64 0x40a00000, |v58|
	s_cbranch_execz .LBB5_257
; %bb.246:
	v_mov_b32_e32 v57, 6
	s_mov_b32 s3, exec_lo
	v_cmpx_nle_f32_e64 0x40600000, |v58|
	s_cbranch_execz .LBB5_256
; %bb.247:
	;; [unrolled: 5-line block ×5, first 2 shown]
	v_mov_b32_e32 v57, 2
	s_mov_b32 s9, exec_lo
	v_cmpx_nle_f32_e64 0x3f400000, |v58|
; %bb.251:
	v_cmp_le_f32_e64 s10, 0x3e800000, |v58|
	s_delay_alu instid0(VALU_DEP_1)
	v_cndmask_b32_e64 v57, 0, 1, s10
; %bb.252:
	s_or_b32 exec_lo, exec_lo, s9
.LBB5_253:
	s_delay_alu instid0(SALU_CYCLE_1)
	s_or_b32 exec_lo, exec_lo, s8
.LBB5_254:
	s_delay_alu instid0(SALU_CYCLE_1)
	s_or_b32 exec_lo, exec_lo, s7
.LBB5_255:
	s_delay_alu instid0(SALU_CYCLE_1)
	s_or_b32 exec_lo, exec_lo, s6
.LBB5_256:
	s_delay_alu instid0(SALU_CYCLE_1)
	s_or_b32 exec_lo, exec_lo, s3
.LBB5_257:
	s_delay_alu instid0(SALU_CYCLE_1) | instskip(SKIP_2) | instid1(VALU_DEP_1)
	s_or_b32 exec_lo, exec_lo, s2
	v_mul_f32_e32 v39, v10, v39
	s_mov_b32 s2, exec_lo
	v_cmpx_nle_f32_e64 0x40a00000, |v39|
	s_cbranch_execz .LBB5_269
; %bb.258:
	v_mov_b32_e32 v42, 6
	s_mov_b32 s3, exec_lo
	v_cmpx_nle_f32_e64 0x40600000, |v39|
	s_cbranch_execz .LBB5_268
; %bb.259:
	v_mov_b32_e32 v42, 5
	;; [unrolled: 5-line block ×5, first 2 shown]
	s_mov_b32 s9, exec_lo
	v_cmpx_nle_f32_e64 0x3f400000, |v39|
; %bb.263:
	v_cmp_le_f32_e64 s10, 0x3e800000, |v39|
	s_delay_alu instid0(VALU_DEP_1)
	v_cndmask_b32_e64 v42, 0, 1, s10
; %bb.264:
	s_or_b32 exec_lo, exec_lo, s9
.LBB5_265:
	s_delay_alu instid0(SALU_CYCLE_1)
	s_or_b32 exec_lo, exec_lo, s8
.LBB5_266:
	s_delay_alu instid0(SALU_CYCLE_1)
	s_or_b32 exec_lo, exec_lo, s7
.LBB5_267:
	s_delay_alu instid0(SALU_CYCLE_1)
	s_or_b32 exec_lo, exec_lo, s6
.LBB5_268:
	s_delay_alu instid0(SALU_CYCLE_1)
	s_or_b32 exec_lo, exec_lo, s3
.LBB5_269:
	s_delay_alu instid0(SALU_CYCLE_1) | instskip(SKIP_3) | instid1(VALU_DEP_2)
	s_or_b32 exec_lo, exec_lo, s2
	v_dual_mul_f32 v59, v10, v37 :: v_dual_mov_b32 v60, 7
	v_mov_b32_e32 v37, 7
	s_mov_b32 s2, exec_lo
	v_cmpx_nle_f32_e64 0x40a00000, |v59|
	s_cbranch_execz .LBB5_281
; %bb.270:
	v_mov_b32_e32 v60, 6
	s_mov_b32 s3, exec_lo
	v_cmpx_nle_f32_e64 0x40600000, |v59|
	s_cbranch_execz .LBB5_280
; %bb.271:
	;; [unrolled: 5-line block ×5, first 2 shown]
	v_mov_b32_e32 v60, 2
	s_mov_b32 s9, exec_lo
	v_cmpx_nle_f32_e64 0x3f400000, |v59|
; %bb.275:
	v_cmp_le_f32_e64 s10, 0x3e800000, |v59|
	s_delay_alu instid0(VALU_DEP_1)
	v_cndmask_b32_e64 v60, 0, 1, s10
; %bb.276:
	s_or_b32 exec_lo, exec_lo, s9
.LBB5_277:
	s_delay_alu instid0(SALU_CYCLE_1)
	s_or_b32 exec_lo, exec_lo, s8
.LBB5_278:
	s_delay_alu instid0(SALU_CYCLE_1)
	s_or_b32 exec_lo, exec_lo, s7
.LBB5_279:
	s_delay_alu instid0(SALU_CYCLE_1)
	s_or_b32 exec_lo, exec_lo, s6
.LBB5_280:
	s_delay_alu instid0(SALU_CYCLE_1)
	s_or_b32 exec_lo, exec_lo, s3
.LBB5_281:
	s_delay_alu instid0(SALU_CYCLE_1) | instskip(SKIP_2) | instid1(VALU_DEP_1)
	s_or_b32 exec_lo, exec_lo, s2
	v_mul_f32_e32 v33, v10, v33
	s_mov_b32 s2, exec_lo
	v_cmpx_nle_f32_e64 0x40a00000, |v33|
	s_cbranch_execz .LBB5_293
; %bb.282:
	v_mov_b32_e32 v37, 6
	s_mov_b32 s3, exec_lo
	v_cmpx_nle_f32_e64 0x40600000, |v33|
	s_cbranch_execz .LBB5_292
; %bb.283:
	v_mov_b32_e32 v37, 5
	s_mov_b32 s6, exec_lo
	v_cmpx_nle_f32_e64 0x40200000, |v33|
	s_cbranch_execz .LBB5_291
; %bb.284:
	v_mov_b32_e32 v37, 4
	s_mov_b32 s7, exec_lo
	v_cmpx_nle_f32_e64 0x3fe00000, |v33|
	s_cbranch_execz .LBB5_290
; %bb.285:
	v_mov_b32_e32 v37, 3
	s_mov_b32 s8, exec_lo
	v_cmpx_nle_f32_e64 0x3fa00000, |v33|
	s_cbranch_execz .LBB5_289
; %bb.286:
	v_mov_b32_e32 v37, 2
	s_mov_b32 s9, exec_lo
	v_cmpx_nle_f32_e64 0x3f400000, |v33|
; %bb.287:
	v_cmp_le_f32_e64 s10, 0x3e800000, |v33|
	s_delay_alu instid0(VALU_DEP_1)
	v_cndmask_b32_e64 v37, 0, 1, s10
; %bb.288:
	s_or_b32 exec_lo, exec_lo, s9
.LBB5_289:
	s_delay_alu instid0(SALU_CYCLE_1)
	s_or_b32 exec_lo, exec_lo, s8
.LBB5_290:
	s_delay_alu instid0(SALU_CYCLE_1)
	s_or_b32 exec_lo, exec_lo, s7
.LBB5_291:
	s_delay_alu instid0(SALU_CYCLE_1)
	s_or_b32 exec_lo, exec_lo, s6
.LBB5_292:
	s_delay_alu instid0(SALU_CYCLE_1)
	s_or_b32 exec_lo, exec_lo, s3
.LBB5_293:
	s_delay_alu instid0(SALU_CYCLE_1) | instskip(SKIP_3) | instid1(VALU_DEP_2)
	s_or_b32 exec_lo, exec_lo, s2
	v_dual_mul_f32 v62, v10, v31 :: v_dual_mov_b32 v31, 7
	v_mov_b32_e32 v61, 7
	s_mov_b32 s2, exec_lo
	v_cmpx_nle_f32_e64 0x40a00000, |v62|
	s_cbranch_execz .LBB5_305
; %bb.294:
	v_mov_b32_e32 v61, 6
	s_mov_b32 s3, exec_lo
	v_cmpx_nle_f32_e64 0x40600000, |v62|
	s_cbranch_execz .LBB5_304
; %bb.295:
	;; [unrolled: 5-line block ×5, first 2 shown]
	v_mov_b32_e32 v61, 2
	s_mov_b32 s9, exec_lo
	v_cmpx_nle_f32_e64 0x3f400000, |v62|
; %bb.299:
	v_cmp_le_f32_e64 s10, 0x3e800000, |v62|
	s_delay_alu instid0(VALU_DEP_1)
	v_cndmask_b32_e64 v61, 0, 1, s10
; %bb.300:
	s_or_b32 exec_lo, exec_lo, s9
.LBB5_301:
	s_delay_alu instid0(SALU_CYCLE_1)
	s_or_b32 exec_lo, exec_lo, s8
.LBB5_302:
	s_delay_alu instid0(SALU_CYCLE_1)
	s_or_b32 exec_lo, exec_lo, s7
.LBB5_303:
	s_delay_alu instid0(SALU_CYCLE_1)
	s_or_b32 exec_lo, exec_lo, s6
.LBB5_304:
	s_delay_alu instid0(SALU_CYCLE_1)
	s_or_b32 exec_lo, exec_lo, s3
.LBB5_305:
	s_delay_alu instid0(SALU_CYCLE_1) | instskip(SKIP_2) | instid1(VALU_DEP_1)
	s_or_b32 exec_lo, exec_lo, s2
	v_mul_f32_e32 v28, v10, v28
	s_mov_b32 s2, exec_lo
	v_cmpx_nle_f32_e64 0x40a00000, |v28|
	s_cbranch_execz .LBB5_317
; %bb.306:
	v_mov_b32_e32 v31, 6
	s_mov_b32 s3, exec_lo
	v_cmpx_nle_f32_e64 0x40600000, |v28|
	s_cbranch_execz .LBB5_316
; %bb.307:
	v_mov_b32_e32 v31, 5
	s_mov_b32 s6, exec_lo
	v_cmpx_nle_f32_e64 0x40200000, |v28|
	s_cbranch_execz .LBB5_315
; %bb.308:
	v_mov_b32_e32 v31, 4
	s_mov_b32 s7, exec_lo
	v_cmpx_nle_f32_e64 0x3fe00000, |v28|
	s_cbranch_execz .LBB5_314
; %bb.309:
	v_mov_b32_e32 v31, 3
	s_mov_b32 s8, exec_lo
	v_cmpx_nle_f32_e64 0x3fa00000, |v28|
	s_cbranch_execz .LBB5_313
; %bb.310:
	v_mov_b32_e32 v31, 2
	s_mov_b32 s9, exec_lo
	v_cmpx_nle_f32_e64 0x3f400000, |v28|
; %bb.311:
	v_cmp_le_f32_e64 s10, 0x3e800000, |v28|
	s_delay_alu instid0(VALU_DEP_1)
	v_cndmask_b32_e64 v31, 0, 1, s10
; %bb.312:
	s_or_b32 exec_lo, exec_lo, s9
.LBB5_313:
	s_delay_alu instid0(SALU_CYCLE_1)
	s_or_b32 exec_lo, exec_lo, s8
.LBB5_314:
	s_delay_alu instid0(SALU_CYCLE_1)
	s_or_b32 exec_lo, exec_lo, s7
.LBB5_315:
	s_delay_alu instid0(SALU_CYCLE_1)
	s_or_b32 exec_lo, exec_lo, s6
.LBB5_316:
	s_delay_alu instid0(SALU_CYCLE_1)
	s_or_b32 exec_lo, exec_lo, s3
.LBB5_317:
	s_delay_alu instid0(SALU_CYCLE_1) | instskip(SKIP_3) | instid1(VALU_DEP_2)
	s_or_b32 exec_lo, exec_lo, s2
	v_dual_mul_f32 v64, v10, v26 :: v_dual_mov_b32 v63, 7
	v_mov_b32_e32 v26, 7
	s_mov_b32 s2, exec_lo
	v_cmpx_nle_f32_e64 0x40a00000, |v64|
	s_cbranch_execz .LBB5_329
; %bb.318:
	v_mov_b32_e32 v63, 6
	s_mov_b32 s3, exec_lo
	v_cmpx_nle_f32_e64 0x40600000, |v64|
	s_cbranch_execz .LBB5_328
; %bb.319:
	;; [unrolled: 5-line block ×5, first 2 shown]
	v_mov_b32_e32 v63, 2
	s_mov_b32 s9, exec_lo
	v_cmpx_nle_f32_e64 0x3f400000, |v64|
; %bb.323:
	v_cmp_le_f32_e64 s10, 0x3e800000, |v64|
	s_delay_alu instid0(VALU_DEP_1)
	v_cndmask_b32_e64 v63, 0, 1, s10
; %bb.324:
	s_or_b32 exec_lo, exec_lo, s9
.LBB5_325:
	s_delay_alu instid0(SALU_CYCLE_1)
	s_or_b32 exec_lo, exec_lo, s8
.LBB5_326:
	s_delay_alu instid0(SALU_CYCLE_1)
	s_or_b32 exec_lo, exec_lo, s7
.LBB5_327:
	s_delay_alu instid0(SALU_CYCLE_1)
	s_or_b32 exec_lo, exec_lo, s6
.LBB5_328:
	s_delay_alu instid0(SALU_CYCLE_1)
	s_or_b32 exec_lo, exec_lo, s3
.LBB5_329:
	s_delay_alu instid0(SALU_CYCLE_1) | instskip(SKIP_2) | instid1(VALU_DEP_1)
	s_or_b32 exec_lo, exec_lo, s2
	v_mul_f32_e32 v21, v10, v21
	s_mov_b32 s2, exec_lo
	v_cmpx_nle_f32_e64 0x40a00000, |v21|
	s_cbranch_execz .LBB5_341
; %bb.330:
	v_mov_b32_e32 v26, 6
	s_mov_b32 s3, exec_lo
	v_cmpx_nle_f32_e64 0x40600000, |v21|
	s_cbranch_execz .LBB5_340
; %bb.331:
	v_mov_b32_e32 v26, 5
	;; [unrolled: 5-line block ×5, first 2 shown]
	s_mov_b32 s9, exec_lo
	v_cmpx_nle_f32_e64 0x3f400000, |v21|
; %bb.335:
	v_cmp_le_f32_e64 s10, 0x3e800000, |v21|
	s_delay_alu instid0(VALU_DEP_1)
	v_cndmask_b32_e64 v26, 0, 1, s10
; %bb.336:
	s_or_b32 exec_lo, exec_lo, s9
.LBB5_337:
	s_delay_alu instid0(SALU_CYCLE_1)
	s_or_b32 exec_lo, exec_lo, s8
.LBB5_338:
	s_delay_alu instid0(SALU_CYCLE_1)
	s_or_b32 exec_lo, exec_lo, s7
.LBB5_339:
	s_delay_alu instid0(SALU_CYCLE_1)
	s_or_b32 exec_lo, exec_lo, s6
.LBB5_340:
	s_delay_alu instid0(SALU_CYCLE_1)
	s_or_b32 exec_lo, exec_lo, s3
.LBB5_341:
	s_delay_alu instid0(SALU_CYCLE_1) | instskip(SKIP_3) | instid1(VALU_DEP_2)
	s_or_b32 exec_lo, exec_lo, s2
	v_dual_mul_f32 v65, v10, v19 :: v_dual_mov_b32 v66, 7
	v_mov_b32_e32 v19, 7
	s_mov_b32 s2, exec_lo
	v_cmpx_nle_f32_e64 0x40a00000, |v65|
	s_cbranch_execz .LBB5_353
; %bb.342:
	v_mov_b32_e32 v66, 6
	s_mov_b32 s3, exec_lo
	v_cmpx_nle_f32_e64 0x40600000, |v65|
	s_cbranch_execz .LBB5_352
; %bb.343:
	;; [unrolled: 5-line block ×5, first 2 shown]
	v_mov_b32_e32 v66, 2
	s_mov_b32 s9, exec_lo
	v_cmpx_nle_f32_e64 0x3f400000, |v65|
; %bb.347:
	v_cmp_le_f32_e64 s10, 0x3e800000, |v65|
	s_delay_alu instid0(VALU_DEP_1)
	v_cndmask_b32_e64 v66, 0, 1, s10
; %bb.348:
	s_or_b32 exec_lo, exec_lo, s9
.LBB5_349:
	s_delay_alu instid0(SALU_CYCLE_1)
	s_or_b32 exec_lo, exec_lo, s8
.LBB5_350:
	s_delay_alu instid0(SALU_CYCLE_1)
	s_or_b32 exec_lo, exec_lo, s7
.LBB5_351:
	s_delay_alu instid0(SALU_CYCLE_1)
	s_or_b32 exec_lo, exec_lo, s6
.LBB5_352:
	s_delay_alu instid0(SALU_CYCLE_1)
	s_or_b32 exec_lo, exec_lo, s3
.LBB5_353:
	s_delay_alu instid0(SALU_CYCLE_1) | instskip(SKIP_2) | instid1(VALU_DEP_1)
	s_or_b32 exec_lo, exec_lo, s2
	v_mul_f32_e32 v15, v10, v15
	s_mov_b32 s2, exec_lo
	v_cmpx_nle_f32_e64 0x40a00000, |v15|
	s_cbranch_execz .LBB5_365
; %bb.354:
	v_mov_b32_e32 v19, 6
	s_mov_b32 s3, exec_lo
	v_cmpx_nle_f32_e64 0x40600000, |v15|
	s_cbranch_execz .LBB5_364
; %bb.355:
	v_mov_b32_e32 v19, 5
	;; [unrolled: 5-line block ×5, first 2 shown]
	s_mov_b32 s9, exec_lo
	v_cmpx_nle_f32_e64 0x3f400000, |v15|
; %bb.359:
	v_cmp_le_f32_e64 s10, 0x3e800000, |v15|
	s_delay_alu instid0(VALU_DEP_1)
	v_cndmask_b32_e64 v19, 0, 1, s10
; %bb.360:
	s_or_b32 exec_lo, exec_lo, s9
.LBB5_361:
	s_delay_alu instid0(SALU_CYCLE_1)
	s_or_b32 exec_lo, exec_lo, s8
.LBB5_362:
	s_delay_alu instid0(SALU_CYCLE_1)
	s_or_b32 exec_lo, exec_lo, s7
.LBB5_363:
	s_delay_alu instid0(SALU_CYCLE_1)
	s_or_b32 exec_lo, exec_lo, s6
.LBB5_364:
	s_delay_alu instid0(SALU_CYCLE_1)
	s_or_b32 exec_lo, exec_lo, s3
.LBB5_365:
	s_delay_alu instid0(SALU_CYCLE_1) | instskip(SKIP_4) | instid1(VALU_DEP_2)
	s_or_b32 exec_lo, exec_lo, s2
	s_load_b64 s[2:3], s[0:1], 0x10
	v_dual_mul_f32 v68, v10, v13 :: v_dual_mov_b32 v13, 7
	v_mov_b32_e32 v67, 7
	s_mov_b32 s6, exec_lo
	v_cmpx_nle_f32_e64 0x40a00000, |v68|
	s_cbranch_execz .LBB5_377
; %bb.366:
	v_mov_b32_e32 v67, 6
	s_mov_b32 s7, exec_lo
	v_cmpx_nle_f32_e64 0x40600000, |v68|
	s_cbranch_execz .LBB5_376
; %bb.367:
	;; [unrolled: 5-line block ×5, first 2 shown]
	v_mov_b32_e32 v67, 2
	s_mov_b32 s11, exec_lo
	v_cmpx_nle_f32_e64 0x3f400000, |v68|
; %bb.371:
	v_cmp_le_f32_e64 s12, 0x3e800000, |v68|
	s_delay_alu instid0(VALU_DEP_1)
	v_cndmask_b32_e64 v67, 0, 1, s12
; %bb.372:
	s_or_b32 exec_lo, exec_lo, s11
.LBB5_373:
	s_delay_alu instid0(SALU_CYCLE_1)
	s_or_b32 exec_lo, exec_lo, s10
.LBB5_374:
	s_delay_alu instid0(SALU_CYCLE_1)
	s_or_b32 exec_lo, exec_lo, s9
.LBB5_375:
	s_delay_alu instid0(SALU_CYCLE_1)
	s_or_b32 exec_lo, exec_lo, s8
.LBB5_376:
	s_delay_alu instid0(SALU_CYCLE_1)
	s_or_b32 exec_lo, exec_lo, s7
.LBB5_377:
	s_delay_alu instid0(SALU_CYCLE_1) | instskip(SKIP_3) | instid1(VALU_DEP_1)
	s_or_b32 exec_lo, exec_lo, s6
	s_load_b64 s[0:1], s[0:1], 0x8
	v_mul_f32_e32 v8, v10, v8
	s_mov_b32 s6, exec_lo
	v_cmpx_nle_f32_e64 0x40a00000, |v8|
	s_cbranch_execz .LBB5_389
; %bb.378:
	v_mov_b32_e32 v13, 6
	s_mov_b32 s7, exec_lo
	v_cmpx_nle_f32_e64 0x40600000, |v8|
	s_cbranch_execz .LBB5_388
; %bb.379:
	v_mov_b32_e32 v13, 5
	;; [unrolled: 5-line block ×5, first 2 shown]
	s_mov_b32 s11, exec_lo
	v_cmpx_nle_f32_e64 0x3f400000, |v8|
; %bb.383:
	v_cmp_le_f32_e64 s12, 0x3e800000, |v8|
	s_delay_alu instid0(VALU_DEP_1)
	v_cndmask_b32_e64 v13, 0, 1, s12
; %bb.384:
	s_or_b32 exec_lo, exec_lo, s11
.LBB5_385:
	s_delay_alu instid0(SALU_CYCLE_1)
	s_or_b32 exec_lo, exec_lo, s10
.LBB5_386:
	s_delay_alu instid0(SALU_CYCLE_1)
	s_or_b32 exec_lo, exec_lo, s9
.LBB5_387:
	s_delay_alu instid0(SALU_CYCLE_1)
	s_or_b32 exec_lo, exec_lo, s8
.LBB5_388:
	s_delay_alu instid0(SALU_CYCLE_1)
	s_or_b32 exec_lo, exec_lo, s7
.LBB5_389:
	s_delay_alu instid0(SALU_CYCLE_1)
	s_or_b32 exec_lo, exec_lo, s6
	v_cmp_gt_f32_e32 vcc_lo, 0, v68
	v_lshlrev_b16 v6, 4, v6
	v_lshlrev_b16 v9, 4, v9
	;; [unrolled: 1-line block ×4, first 2 shown]
	v_cndmask_b32_e64 v10, 0, 1, vcc_lo
	v_cmp_gt_f32_e32 vcc_lo, 0, v65
	s_lshr_b32 s6, s4, 31
	s_delay_alu instid0(SALU_CYCLE_1) | instskip(NEXT) | instid1(VALU_DEP_2)
	s_add_i32 s4, s4, s6
	v_lshlrev_b16 v10, 3, v10
	v_cndmask_b32_e64 v65, 0, 1, vcc_lo
	v_cmp_gt_f32_e32 vcc_lo, 0, v64
	s_ashr_i32 s4, s4, 1
	s_delay_alu instid0(SALU_CYCLE_1) | instskip(NEXT) | instid1(VALU_DEP_2)
	s_ashr_i32 s6, s4, 31
	v_lshlrev_b16 v65, 3, v65
	v_cndmask_b32_e64 v64, 0, 1, vcc_lo
	v_cmp_gt_f32_e32 vcc_lo, 0, v62
	v_or_b32_e32 v10, v10, v67
	v_mul_lo_u32 v1, v1, s4
	v_or_b32_e32 v65, v65, v66
	v_lshlrev_b16 v64, 3, v64
	v_cndmask_b32_e64 v62, 0, 1, vcc_lo
	v_cmp_gt_f32_e32 vcc_lo, 0, v59
	s_delay_alu instid0(VALU_DEP_3) | instskip(NEXT) | instid1(VALU_DEP_3)
	v_or_b32_e32 v63, v64, v63
	v_lshlrev_b16 v62, 3, v62
	v_cndmask_b32_e64 v59, 0, 1, vcc_lo
	v_cmp_gt_f32_e32 vcc_lo, 0, v58
	s_delay_alu instid0(VALU_DEP_3) | instskip(NEXT) | instid1(VALU_DEP_3)
	;; [unrolled: 5-line block ×11, first 2 shown]
	v_or_b32_e32 v11, v11, v12
	v_lshlrev_b16 v24, 3, v24
	v_cndmask_b32_e64 v18, 0, 1, vcc_lo
	v_cmp_gt_f32_e32 vcc_lo, 0, v5
	s_delay_alu instid0(VALU_DEP_2) | instskip(SKIP_2) | instid1(VALU_DEP_2)
	v_lshlrev_b16 v18, 3, v18
	v_cndmask_b32_e64 v5, 0, 1, vcc_lo
	v_cmp_gt_f32_e32 vcc_lo, 0, v7
	v_lshlrev_b16 v5, 3, v5
	v_cndmask_b32_e64 v7, 0, 1, vcc_lo
	v_cmp_gt_f32_e32 vcc_lo, 0, v14
	s_delay_alu instid0(VALU_DEP_3) | instskip(NEXT) | instid1(VALU_DEP_3)
	v_or_b32_e32 v4, v5, v4
	v_lshlrev_b16 v7, 7, v7
	v_cndmask_b32_e64 v12, 0, 1, vcc_lo
	v_cmp_gt_f32_e32 vcc_lo, 0, v20
	s_delay_alu instid0(VALU_DEP_3) | instskip(NEXT) | instid1(VALU_DEP_3)
	v_or_b32_e32 v5, v7, v6
	v_lshlrev_b16 v12, 7, v12
	v_cndmask_b32_e64 v14, 0, 1, vcc_lo
	v_lshlrev_b16 v7, 4, v17
	v_cmp_gt_f32_e32 vcc_lo, 0, v25
	v_or_b32_e32 v4, v5, v4
	v_or_b32_e32 v6, v12, v9
	v_lshlrev_b16 v9, 7, v14
	v_or_b32_e32 v14, v18, v16
	v_lshlrev_b16 v17, 4, v27
	v_lshlrev_b16 v18, 4, v34
	v_or_b32_e32 v5, v6, v11
	v_or_b32_e32 v6, v9, v7
	v_cndmask_b32_e64 v9, 0, 1, vcc_lo
	v_cmp_gt_f32_e32 vcc_lo, 0, v32
	v_lshlrev_b16 v7, 4, v22
	v_or_b32_e32 v12, v24, v23
	v_or_b32_e32 v6, v6, v14
	v_lshlrev_b16 v9, 7, v9
	v_cndmask_b32_e64 v11, 0, 1, vcc_lo
	v_cmp_gt_f32_e32 vcc_lo, 0, v38
	v_lshlrev_b16 v14, 4, v45
	v_lshlrev_b16 v22, 4, v48
	v_or_b32_e32 v7, v9, v7
	v_lshlrev_b16 v11, 7, v11
	v_cndmask_b32_e64 v16, 0, 1, vcc_lo
	v_cmp_gt_f32_e32 vcc_lo, 0, v41
	v_lshlrev_b16 v25, 4, v26
	v_or_b32_e32 v7, v7, v12
	v_or_b32_e32 v9, v11, v17
	v_lshlrev_b16 v16, 7, v16
	v_cndmask_b32_e64 v20, 0, 1, vcc_lo
	v_cmp_gt_f32_e32 vcc_lo, 0, v47
	v_lshlrev_b16 v5, 8, v5
	v_or_b32_e32 v9, v9, v29
	v_or_b32_e32 v11, v16, v18
	v_lshlrev_b16 v16, 4, v40
	v_lshlrev_b16 v17, 7, v20
	v_lshlrev_b16 v20, 4, v51
	v_or_b32_e32 v4, v4, v5
	v_or_b32_e32 v11, v11, v35
	v_lshlrev_b16 v5, 8, v7
	v_or_b32_e32 v12, v17, v16
	v_cndmask_b32_e64 v16, 0, 1, vcc_lo
	v_cmp_gt_f32_e32 vcc_lo, 0, v52
	v_lshlrev_b16 v11, 8, v11
	s_delay_alu instid0(VALU_DEP_4) | instskip(NEXT) | instid1(VALU_DEP_4)
	v_or_b32_e32 v12, v12, v43
	v_lshlrev_b16 v16, 7, v16
	v_cndmask_b32_e64 v17, 0, 1, vcc_lo
	v_cmp_gt_f32_e32 vcc_lo, 0, v46
	v_or_b32_e32 v9, v9, v11
	s_delay_alu instid0(VALU_DEP_4) | instskip(NEXT) | instid1(VALU_DEP_4)
	v_or_b32_e32 v14, v16, v14
	v_lshlrev_b16 v17, 7, v17
	v_cndmask_b32_e64 v18, 0, 1, vcc_lo
	v_cmp_gt_f32_e32 vcc_lo, 0, v39
	s_delay_alu instid0(VALU_DEP_4) | instskip(NEXT) | instid1(VALU_DEP_4)
	v_or_b32_e32 v14, v14, v49
	v_or_b32_e32 v16, v17, v20
	s_delay_alu instid0(VALU_DEP_4)
	v_lshlrev_b16 v18, 7, v18
	v_cndmask_b32_e64 v23, 0, 1, vcc_lo
	v_cmp_gt_f32_e32 vcc_lo, 0, v33
	v_lshlrev_b16 v11, 8, v14
	v_or_b32_e32 v16, v16, v53
	v_or_b32_e32 v17, v18, v22
	v_lshlrev_b16 v18, 4, v42
	v_cndmask_b32_e64 v22, 0, 1, vcc_lo
	v_cmp_gt_f32_e32 vcc_lo, 0, v21
	v_lshlrev_b16 v20, 7, v23
	v_lshlrev_b16 v23, 4, v31
	v_or_b32_e32 v17, v17, v55
	v_and_b32_e32 v14, 0xffff, v9
	v_cndmask_b32_e64 v21, 0, 1, vcc_lo
	v_cmp_gt_f32_e32 vcc_lo, 0, v28
	v_or_b32_e32 v18, v20, v18
	v_lshlrev_b16 v20, 4, v37
	s_delay_alu instid0(VALU_DEP_4) | instskip(SKIP_3) | instid1(VALU_DEP_4)
	v_lshlrev_b16 v21, 7, v21
	v_cndmask_b32_e64 v24, 0, 1, vcc_lo
	v_cmp_gt_f32_e32 vcc_lo, 0, v8
	v_or_b32_e32 v18, v18, v57
	v_or_b32_e32 v21, v21, v25
	s_delay_alu instid0(VALU_DEP_4) | instskip(SKIP_2) | instid1(VALU_DEP_2)
	v_lshlrev_b16 v24, 7, v24
	v_cndmask_b32_e64 v8, 0, 1, vcc_lo
	v_cmp_gt_f32_e32 vcc_lo, 0, v15
	v_lshlrev_b16 v8, 7, v8
	v_cndmask_b32_e64 v15, 0, 1, vcc_lo
	s_delay_alu instid0(VALU_DEP_2) | instskip(NEXT) | instid1(VALU_DEP_2)
	v_or_b32_e32 v8, v8, v13
	v_lshlrev_b16 v15, 7, v15
	v_lshlrev_b16 v13, 7, v22
	v_or_b32_e32 v22, v24, v23
	s_delay_alu instid0(VALU_DEP_4) | instskip(NEXT) | instid1(VALU_DEP_4)
	v_or_b32_e32 v8, v8, v10
	v_or_b32_e32 v15, v15, v19
	;; [unrolled: 1-line block ×5, first 2 shown]
	v_lshlrev_b16 v8, 8, v8
	v_or_b32_e32 v15, v15, v65
	v_lshlrev_b16 v19, 8, v19
	v_lshrrev_b32_e32 v20, 23, v3
	v_or_b32_e32 v10, v10, v59
	s_delay_alu instid0(VALU_DEP_4) | instskip(NEXT) | instid1(VALU_DEP_4)
	v_or_b32_e32 v8, v15, v8
	v_or_b32_e32 v3, v13, v19
	v_lshlrev_b16 v13, 8, v17
	s_delay_alu instid0(VALU_DEP_4) | instskip(NEXT) | instid1(VALU_DEP_4)
	v_lshlrev_b16 v10, 8, v10
	v_lshlrev_b32_e32 v15, 16, v8
	s_delay_alu instid0(VALU_DEP_4) | instskip(NEXT) | instid1(VALU_DEP_4)
	v_and_b32_e32 v3, 0xffff, v3
	v_or_b32_e32 v8, v16, v13
	v_mul_lo_u32 v16, v0, s6
	v_or_b32_e32 v10, v18, v10
	s_delay_alu instid0(VALU_DEP_3)
	v_and_b32_e32 v13, 0xffff, v8
	v_or_b32_e32 v8, v12, v11
	v_and_b32_e32 v12, 0xffff, v4
	v_or_b32_e32 v4, v6, v5
	s_waitcnt lgkmcnt(0)
	v_mad_u64_u32 v[6:7], null, v0, s4, s[0:1]
	v_lshlrev_b32_e32 v11, 16, v8
	v_mad_u64_u32 v[8:9], null, v0, s5, v[2:3]
	v_lshlrev_b32_e32 v0, 16, v4
	v_lshlrev_b32_e32 v9, 4, v2
	;; [unrolled: 1-line block ×3, first 2 shown]
	v_add3_u32 v1, v1, v7, v16
	v_or_b32_e32 v5, v3, v15
	v_or_b32_e32 v2, v12, v0
	v_ashrrev_i32_e32 v7, 31, v8
	v_add_co_u32 v0, vcc_lo, v6, v9
	v_add_co_ci_u32_e32 v1, vcc_lo, 0, v1, vcc_lo
	v_add_co_u32 v6, vcc_lo, s2, v8
	v_or_b32_e32 v4, v13, v10
	v_or_b32_e32 v3, v14, v11
	v_add_co_ci_u32_e32 v7, vcc_lo, s3, v7, vcc_lo
	global_store_b128 v[0:1], v[2:5], off
	global_store_b8 v[6:7], v20, off
.LBB5_390:
	s_nop 0
	s_sendmsg sendmsg(MSG_DEALLOC_VGPRS)
	s_endpgm
	.section	.rodata,"a",@progbits
	.p2align	6, 0x0
	.amdhsa_kernel _ZN5aiter18quant_mxfp4_kernelI6__halfLNS_16MxScaleRoundModeE0ELb0ELb0ELb0EEEvPKT_PhPfliiib
		.amdhsa_group_segment_fixed_size 0
		.amdhsa_private_segment_fixed_size 0
		.amdhsa_kernarg_size 304
		.amdhsa_user_sgpr_count 15
		.amdhsa_user_sgpr_dispatch_ptr 0
		.amdhsa_user_sgpr_queue_ptr 0
		.amdhsa_user_sgpr_kernarg_segment_ptr 1
		.amdhsa_user_sgpr_dispatch_id 0
		.amdhsa_user_sgpr_private_segment_size 0
		.amdhsa_wavefront_size32 1
		.amdhsa_uses_dynamic_stack 0
		.amdhsa_enable_private_segment 0
		.amdhsa_system_sgpr_workgroup_id_x 1
		.amdhsa_system_sgpr_workgroup_id_y 0
		.amdhsa_system_sgpr_workgroup_id_z 0
		.amdhsa_system_sgpr_workgroup_info 0
		.amdhsa_system_vgpr_workitem_id 0
		.amdhsa_next_free_vgpr 69
		.amdhsa_next_free_sgpr 16
		.amdhsa_reserve_vcc 1
		.amdhsa_float_round_mode_32 0
		.amdhsa_float_round_mode_16_64 0
		.amdhsa_float_denorm_mode_32 3
		.amdhsa_float_denorm_mode_16_64 3
		.amdhsa_dx10_clamp 1
		.amdhsa_ieee_mode 1
		.amdhsa_fp16_overflow 0
		.amdhsa_workgroup_processor_mode 1
		.amdhsa_memory_ordered 1
		.amdhsa_forward_progress 0
		.amdhsa_shared_vgpr_count 0
		.amdhsa_exception_fp_ieee_invalid_op 0
		.amdhsa_exception_fp_denorm_src 0
		.amdhsa_exception_fp_ieee_div_zero 0
		.amdhsa_exception_fp_ieee_overflow 0
		.amdhsa_exception_fp_ieee_underflow 0
		.amdhsa_exception_fp_ieee_inexact 0
		.amdhsa_exception_int_div_zero 0
	.end_amdhsa_kernel
	.section	.text._ZN5aiter18quant_mxfp4_kernelI6__halfLNS_16MxScaleRoundModeE0ELb0ELb0ELb0EEEvPKT_PhPfliiib,"axG",@progbits,_ZN5aiter18quant_mxfp4_kernelI6__halfLNS_16MxScaleRoundModeE0ELb0ELb0ELb0EEEvPKT_PhPfliiib,comdat
.Lfunc_end5:
	.size	_ZN5aiter18quant_mxfp4_kernelI6__halfLNS_16MxScaleRoundModeE0ELb0ELb0ELb0EEEvPKT_PhPfliiib, .Lfunc_end5-_ZN5aiter18quant_mxfp4_kernelI6__halfLNS_16MxScaleRoundModeE0ELb0ELb0ELb0EEEvPKT_PhPfliiib
                                        ; -- End function
	.section	.AMDGPU.csdata,"",@progbits
; Kernel info:
; codeLenInByte = 9904
; NumSgprs: 18
; NumVgprs: 69
; ScratchSize: 0
; MemoryBound: 0
; FloatMode: 240
; IeeeMode: 1
; LDSByteSize: 0 bytes/workgroup (compile time only)
; SGPRBlocks: 2
; VGPRBlocks: 8
; NumSGPRsForWavesPerEU: 18
; NumVGPRsForWavesPerEU: 69
; Occupancy: 16
; WaveLimiterHint : 0
; COMPUTE_PGM_RSRC2:SCRATCH_EN: 0
; COMPUTE_PGM_RSRC2:USER_SGPR: 15
; COMPUTE_PGM_RSRC2:TRAP_HANDLER: 0
; COMPUTE_PGM_RSRC2:TGID_X_EN: 1
; COMPUTE_PGM_RSRC2:TGID_Y_EN: 0
; COMPUTE_PGM_RSRC2:TGID_Z_EN: 0
; COMPUTE_PGM_RSRC2:TIDIG_COMP_CNT: 0
	.section	.text._ZN5aiter18quant_mxfp4_kernelI6__halfLNS_16MxScaleRoundModeE1ELb1ELb0ELb1EEEvPKT_PhPfliiib,"axG",@progbits,_ZN5aiter18quant_mxfp4_kernelI6__halfLNS_16MxScaleRoundModeE1ELb1ELb0ELb1EEEvPKT_PhPfliiib,comdat
	.protected	_ZN5aiter18quant_mxfp4_kernelI6__halfLNS_16MxScaleRoundModeE1ELb1ELb0ELb1EEEvPKT_PhPfliiib ; -- Begin function _ZN5aiter18quant_mxfp4_kernelI6__halfLNS_16MxScaleRoundModeE1ELb1ELb0ELb1EEEvPKT_PhPfliiib
	.globl	_ZN5aiter18quant_mxfp4_kernelI6__halfLNS_16MxScaleRoundModeE1ELb1ELb0ELb1EEEvPKT_PhPfliiib
	.p2align	8
	.type	_ZN5aiter18quant_mxfp4_kernelI6__halfLNS_16MxScaleRoundModeE1ELb1ELb0ELb1EEEvPKT_PhPfliiib,@function
_ZN5aiter18quant_mxfp4_kernelI6__halfLNS_16MxScaleRoundModeE1ELb1ELb0ELb1EEEvPKT_PhPfliiib: ; @_ZN5aiter18quant_mxfp4_kernelI6__halfLNS_16MxScaleRoundModeE1ELb1ELb0ELb1EEEvPKT_PhPfliiib
; %bb.0:
	s_clause 0x1
	s_load_b32 s2, s[0:1], 0x3c
	s_load_b128 s[4:7], s[0:1], 0x20
	v_mov_b32_e32 v1, 0
	s_mov_b32 s3, exec_lo
	s_delay_alu instid0(VALU_DEP_1) | instskip(SKIP_2) | instid1(SALU_CYCLE_1)
	v_mov_b32_e32 v4, v1
	s_waitcnt lgkmcnt(0)
	s_and_b32 s2, s2, 0xffff
	v_mad_u64_u32 v[2:3], null, s2, s15, v[0:1]
	s_ashr_i32 s2, s6, 31
                                        ; implicit-def: $vgpr0_vgpr1
	s_delay_alu instid0(VALU_DEP_1) | instid1(SALU_CYCLE_1)
	v_or_b32_e32 v5, s2, v3
	s_delay_alu instid0(VALU_DEP_1)
	v_cmpx_ne_u64_e32 0, v[4:5]
	s_xor_b32 s3, exec_lo, s3
	s_cbranch_execz .LBB6_2
; %bb.1:
	s_add_u32 s10, s6, s2
	s_mov_b32 s8, s2
	s_mov_b32 s9, s2
	s_addc_u32 s11, s2, s2
	s_delay_alu instid0(SALU_CYCLE_1) | instskip(NEXT) | instid1(SALU_CYCLE_1)
	s_xor_b64 s[10:11], s[10:11], s[8:9]
	v_cvt_f32_u32_e32 v0, s10
	v_cvt_f32_u32_e32 v1, s11
	s_sub_u32 s2, 0, s10
	s_subb_u32 s7, 0, s11
	s_delay_alu instid0(VALU_DEP_1) | instskip(NEXT) | instid1(VALU_DEP_1)
	v_fmamk_f32 v0, v1, 0x4f800000, v0
	v_rcp_f32_e32 v0, v0
	s_waitcnt_depctr 0xfff
	v_mul_f32_e32 v0, 0x5f7ffffc, v0
	s_delay_alu instid0(VALU_DEP_1) | instskip(NEXT) | instid1(VALU_DEP_1)
	v_mul_f32_e32 v1, 0x2f800000, v0
	v_trunc_f32_e32 v1, v1
	s_delay_alu instid0(VALU_DEP_1) | instskip(SKIP_1) | instid1(VALU_DEP_2)
	v_fmamk_f32 v0, v1, 0xcf800000, v0
	v_cvt_u32_f32_e32 v1, v1
	v_cvt_u32_f32_e32 v0, v0
	s_delay_alu instid0(VALU_DEP_2) | instskip(NEXT) | instid1(VALU_DEP_2)
	v_mul_lo_u32 v4, s2, v1
	v_mul_hi_u32 v5, s2, v0
	v_mul_lo_u32 v6, s7, v0
	s_delay_alu instid0(VALU_DEP_2) | instskip(SKIP_1) | instid1(VALU_DEP_2)
	v_add_nc_u32_e32 v4, v5, v4
	v_mul_lo_u32 v5, s2, v0
	v_add_nc_u32_e32 v4, v4, v6
	s_delay_alu instid0(VALU_DEP_2) | instskip(NEXT) | instid1(VALU_DEP_2)
	v_mul_hi_u32 v6, v0, v5
	v_mul_lo_u32 v7, v0, v4
	v_mul_hi_u32 v8, v0, v4
	v_mul_hi_u32 v9, v1, v5
	v_mul_lo_u32 v5, v1, v5
	v_mul_hi_u32 v10, v1, v4
	v_mul_lo_u32 v4, v1, v4
	v_add_co_u32 v6, vcc_lo, v6, v7
	v_add_co_ci_u32_e32 v7, vcc_lo, 0, v8, vcc_lo
	s_delay_alu instid0(VALU_DEP_2) | instskip(NEXT) | instid1(VALU_DEP_2)
	v_add_co_u32 v5, vcc_lo, v6, v5
	v_add_co_ci_u32_e32 v5, vcc_lo, v7, v9, vcc_lo
	v_add_co_ci_u32_e32 v6, vcc_lo, 0, v10, vcc_lo
	v_ashrrev_i32_e32 v9, 31, v3
	s_delay_alu instid0(VALU_DEP_3) | instskip(NEXT) | instid1(VALU_DEP_3)
	v_add_co_u32 v4, vcc_lo, v5, v4
	v_add_co_ci_u32_e32 v5, vcc_lo, 0, v6, vcc_lo
	s_delay_alu instid0(VALU_DEP_2) | instskip(NEXT) | instid1(VALU_DEP_2)
	v_add_co_u32 v0, vcc_lo, v0, v4
	v_add_co_ci_u32_e32 v1, vcc_lo, v1, v5, vcc_lo
	s_delay_alu instid0(VALU_DEP_2) | instskip(SKIP_1) | instid1(VALU_DEP_3)
	v_mul_hi_u32 v4, s2, v0
	v_mul_lo_u32 v6, s7, v0
	v_mul_lo_u32 v5, s2, v1
	s_delay_alu instid0(VALU_DEP_1) | instskip(SKIP_1) | instid1(VALU_DEP_2)
	v_add_nc_u32_e32 v4, v4, v5
	v_mul_lo_u32 v5, s2, v0
	v_add_nc_u32_e32 v4, v4, v6
	s_delay_alu instid0(VALU_DEP_2) | instskip(NEXT) | instid1(VALU_DEP_2)
	v_mul_hi_u32 v6, v0, v5
	v_mul_lo_u32 v7, v0, v4
	v_mul_hi_u32 v8, v0, v4
	v_mul_hi_u32 v10, v1, v5
	v_mul_lo_u32 v5, v1, v5
	v_mul_hi_u32 v11, v1, v4
	v_mul_lo_u32 v4, v1, v4
	v_add_co_u32 v6, vcc_lo, v6, v7
	v_add_co_ci_u32_e32 v7, vcc_lo, 0, v8, vcc_lo
	s_delay_alu instid0(VALU_DEP_2) | instskip(NEXT) | instid1(VALU_DEP_2)
	v_add_co_u32 v5, vcc_lo, v6, v5
	v_add_co_ci_u32_e32 v5, vcc_lo, v7, v10, vcc_lo
	v_add_co_ci_u32_e32 v6, vcc_lo, 0, v11, vcc_lo
	v_add_co_u32 v7, vcc_lo, v2, v9
	v_add_co_ci_u32_e32 v3, vcc_lo, v3, v9, vcc_lo
	s_delay_alu instid0(VALU_DEP_4) | instskip(NEXT) | instid1(VALU_DEP_4)
	v_add_co_u32 v4, vcc_lo, v5, v4
	v_add_co_ci_u32_e32 v5, vcc_lo, 0, v6, vcc_lo
	s_delay_alu instid0(VALU_DEP_4) | instskip(NEXT) | instid1(VALU_DEP_3)
	v_xor_b32_e32 v7, v7, v9
	v_add_co_u32 v6, vcc_lo, v0, v4
	s_delay_alu instid0(VALU_DEP_3) | instskip(SKIP_1) | instid1(VALU_DEP_3)
	v_add_co_ci_u32_e32 v8, vcc_lo, v1, v5, vcc_lo
	v_xor_b32_e32 v10, v3, v9
	v_mul_hi_u32 v11, v7, v6
	s_delay_alu instid0(VALU_DEP_3) | instskip(NEXT) | instid1(VALU_DEP_3)
	v_mad_u64_u32 v[0:1], null, v7, v8, 0
	v_mad_u64_u32 v[3:4], null, v10, v6, 0
	;; [unrolled: 1-line block ×3, first 2 shown]
	s_delay_alu instid0(VALU_DEP_3) | instskip(NEXT) | instid1(VALU_DEP_4)
	v_add_co_u32 v0, vcc_lo, v11, v0
	v_add_co_ci_u32_e32 v1, vcc_lo, 0, v1, vcc_lo
	s_delay_alu instid0(VALU_DEP_2) | instskip(NEXT) | instid1(VALU_DEP_2)
	v_add_co_u32 v0, vcc_lo, v0, v3
	v_add_co_ci_u32_e32 v0, vcc_lo, v1, v4, vcc_lo
	v_add_co_ci_u32_e32 v1, vcc_lo, 0, v6, vcc_lo
	s_delay_alu instid0(VALU_DEP_2) | instskip(NEXT) | instid1(VALU_DEP_2)
	v_add_co_u32 v3, vcc_lo, v0, v5
	v_add_co_ci_u32_e32 v4, vcc_lo, 0, v1, vcc_lo
	s_delay_alu instid0(VALU_DEP_2) | instskip(SKIP_1) | instid1(VALU_DEP_3)
	v_mul_lo_u32 v5, s11, v3
	v_mad_u64_u32 v[0:1], null, s10, v3, 0
	v_mul_lo_u32 v6, s10, v4
	s_delay_alu instid0(VALU_DEP_2) | instskip(NEXT) | instid1(VALU_DEP_2)
	v_sub_co_u32 v0, vcc_lo, v7, v0
	v_add3_u32 v1, v1, v6, v5
	s_delay_alu instid0(VALU_DEP_1) | instskip(NEXT) | instid1(VALU_DEP_1)
	v_sub_nc_u32_e32 v5, v10, v1
	v_subrev_co_ci_u32_e64 v5, s2, s11, v5, vcc_lo
	v_add_co_u32 v6, s2, v3, 2
	s_delay_alu instid0(VALU_DEP_1) | instskip(SKIP_3) | instid1(VALU_DEP_3)
	v_add_co_ci_u32_e64 v7, s2, 0, v4, s2
	v_sub_co_u32 v8, s2, v0, s10
	v_sub_co_ci_u32_e32 v1, vcc_lo, v10, v1, vcc_lo
	v_subrev_co_ci_u32_e64 v5, s2, 0, v5, s2
	v_cmp_le_u32_e32 vcc_lo, s10, v8
	s_delay_alu instid0(VALU_DEP_3) | instskip(SKIP_1) | instid1(VALU_DEP_4)
	v_cmp_eq_u32_e64 s2, s11, v1
	v_cndmask_b32_e64 v8, 0, -1, vcc_lo
	v_cmp_le_u32_e32 vcc_lo, s11, v5
	v_cndmask_b32_e64 v10, 0, -1, vcc_lo
	v_cmp_le_u32_e32 vcc_lo, s10, v0
	;; [unrolled: 2-line block ×3, first 2 shown]
	v_cndmask_b32_e64 v11, 0, -1, vcc_lo
	v_cmp_eq_u32_e32 vcc_lo, s11, v5
	s_delay_alu instid0(VALU_DEP_2) | instskip(SKIP_3) | instid1(VALU_DEP_3)
	v_cndmask_b32_e64 v0, v11, v0, s2
	v_cndmask_b32_e32 v5, v10, v8, vcc_lo
	v_add_co_u32 v8, vcc_lo, v3, 1
	v_add_co_ci_u32_e32 v10, vcc_lo, 0, v4, vcc_lo
	v_cmp_ne_u32_e32 vcc_lo, 0, v5
	s_delay_alu instid0(VALU_DEP_2) | instskip(NEXT) | instid1(VALU_DEP_4)
	v_cndmask_b32_e32 v1, v10, v7, vcc_lo
	v_cndmask_b32_e32 v5, v8, v6, vcc_lo
	v_cmp_ne_u32_e32 vcc_lo, 0, v0
	v_xor_b32_e32 v0, s8, v9
	s_delay_alu instid0(VALU_DEP_3) | instskip(SKIP_2) | instid1(VALU_DEP_3)
	v_cndmask_b32_e32 v3, v3, v5, vcc_lo
	v_cndmask_b32_e32 v1, v4, v1, vcc_lo
	v_xor_b32_e32 v4, s9, v9
	v_xor_b32_e32 v3, v3, v0
	s_delay_alu instid0(VALU_DEP_2) | instskip(NEXT) | instid1(VALU_DEP_2)
	v_xor_b32_e32 v1, v1, v4
	v_sub_co_u32 v0, vcc_lo, v3, v0
	s_delay_alu instid0(VALU_DEP_2)
	v_sub_co_ci_u32_e32 v1, vcc_lo, v1, v4, vcc_lo
.LBB6_2:
	s_and_not1_saveexec_b32 s2, s3
	s_cbranch_execz .LBB6_4
; %bb.3:
	v_cvt_f32_u32_e32 v0, s6
	s_sub_i32 s3, 0, s6
	s_delay_alu instid0(VALU_DEP_1) | instskip(SKIP_2) | instid1(VALU_DEP_1)
	v_rcp_iflag_f32_e32 v0, v0
	s_waitcnt_depctr 0xfff
	v_mul_f32_e32 v0, 0x4f7ffffe, v0
	v_cvt_u32_f32_e32 v0, v0
	s_delay_alu instid0(VALU_DEP_1) | instskip(NEXT) | instid1(VALU_DEP_1)
	v_mul_lo_u32 v1, s3, v0
	v_mul_hi_u32 v1, v0, v1
	s_delay_alu instid0(VALU_DEP_1) | instskip(NEXT) | instid1(VALU_DEP_1)
	v_add_nc_u32_e32 v0, v0, v1
	v_mul_hi_u32 v0, v2, v0
	s_delay_alu instid0(VALU_DEP_1) | instskip(SKIP_1) | instid1(VALU_DEP_2)
	v_mul_lo_u32 v1, v0, s6
	v_add_nc_u32_e32 v3, 1, v0
	v_sub_nc_u32_e32 v1, v2, v1
	s_delay_alu instid0(VALU_DEP_1) | instskip(SKIP_1) | instid1(VALU_DEP_2)
	v_subrev_nc_u32_e32 v4, s6, v1
	v_cmp_le_u32_e32 vcc_lo, s6, v1
	v_dual_cndmask_b32 v1, v1, v4 :: v_dual_cndmask_b32 v0, v0, v3
	s_delay_alu instid0(VALU_DEP_1) | instskip(NEXT) | instid1(VALU_DEP_2)
	v_cmp_le_u32_e32 vcc_lo, s6, v1
	v_add_nc_u32_e32 v3, 1, v0
	s_delay_alu instid0(VALU_DEP_1)
	v_dual_mov_b32 v1, 0 :: v_dual_cndmask_b32 v0, v0, v3
.LBB6_4:
	s_or_b32 exec_lo, exec_lo, s2
	s_load_b64 s[2:3], s[0:1], 0x18
	s_delay_alu instid0(VALU_DEP_1) | instskip(NEXT) | instid1(VALU_DEP_1)
	v_mad_u64_u32 v[3:4], null, v0, s6, 0
	v_sub_co_u32 v2, null, v2, v3
	s_waitcnt lgkmcnt(0)
	v_cmp_gt_i64_e32 vcc_lo, s[2:3], v[0:1]
	s_delay_alu instid0(VALU_DEP_2) | instskip(NEXT) | instid1(VALU_DEP_1)
	v_cmp_gt_i32_e64 s2, s5, v2
	s_and_b32 s2, vcc_lo, s2
	s_delay_alu instid0(SALU_CYCLE_1)
	s_and_saveexec_b32 s3, s2
	s_cbranch_execz .LBB6_390
; %bb.5:
	s_ashr_i32 s5, s4, 31
	s_load_b64 s[2:3], s[0:1], 0x0
	v_mul_lo_u32 v5, v1, s4
	v_mad_u64_u32 v[3:4], null, v0, s4, 0
	v_mul_lo_u32 v6, v0, s5
	s_delay_alu instid0(VALU_DEP_1) | instskip(SKIP_1) | instid1(VALU_DEP_2)
	v_add3_u32 v4, v4, v6, v5
	v_dual_mov_b32 v6, 0 :: v_dual_lshlrev_b32 v5, 5, v2
	v_lshlrev_b64 v[3:4], 1, v[3:4]
	s_delay_alu instid0(VALU_DEP_2) | instskip(SKIP_1) | instid1(VALU_DEP_2)
	v_lshlrev_b64 v[5:6], 1, v[5:6]
	s_waitcnt lgkmcnt(0)
	v_add_co_u32 v3, vcc_lo, s2, v3
	s_delay_alu instid0(VALU_DEP_3) | instskip(SKIP_1) | instid1(VALU_DEP_2)
	v_add_co_ci_u32_e32 v4, vcc_lo, s3, v4, vcc_lo
	s_mov_b32 s2, exec_lo
	v_add_co_u32 v7, vcc_lo, v3, v5
	s_delay_alu instid0(VALU_DEP_2)
	v_add_co_ci_u32_e32 v8, vcc_lo, v4, v6, vcc_lo
	s_clause 0x3
	global_load_b128 v[3:6], v[7:8], off
	global_load_b128 v[10:13], v[7:8], off offset:16
	global_load_b128 v[52:55], v[7:8], off offset:32
	;; [unrolled: 1-line block ×3, first 2 shown]
	s_waitcnt vmcnt(3)
	v_lshrrev_b32_e32 v7, 16, v3
	v_cvt_f32_f16_e32 v17, v3
	v_lshrrev_b32_e32 v3, 16, v4
	v_cvt_f32_f16_e32 v9, v4
	;; [unrolled: 2-line block ×3, first 2 shown]
	v_cvt_f32_f16_e32 v16, v5
	v_cvt_f32_f16_e32 v14, v3
	v_lshrrev_b32_e32 v5, 16, v6
	v_cvt_f32_f16_e32 v20, v4
	v_max3_f32 v3, |v17|, 0, |v7|
	v_cvt_f32_f16_e32 v22, v6
	s_waitcnt vmcnt(2)
	v_lshrrev_b32_e32 v4, 16, v10
	v_cvt_f32_f16_e32 v26, v5
	v_cvt_f32_f16_e32 v28, v10
	v_max3_f32 v3, v3, |v9|, |v14|
	v_lshrrev_b32_e32 v5, 16, v11
	v_cvt_f32_f16_e32 v32, v4
	v_cvt_f32_f16_e32 v34, v11
	v_lshrrev_b32_e32 v4, 16, v12
	v_max3_f32 v3, v3, |v16|, |v20|
	v_cvt_f32_f16_e32 v38, v5
	v_cvt_f32_f16_e32 v40, v12
	v_lshrrev_b32_e32 v5, 16, v13
	v_cvt_f32_f16_e32 v42, v4
	v_max3_f32 v3, v3, |v22|, |v26|
	v_cvt_f32_f16_e32 v46, v13
	s_waitcnt vmcnt(1)
	v_lshrrev_b32_e32 v4, 16, v52
	v_cvt_f32_f16_e32 v47, v5
	v_cvt_f32_f16_e32 v52, v52
	v_max3_f32 v3, v3, |v28|, |v32|
	v_lshrrev_b32_e32 v5, 16, v53
	v_cvt_f32_f16_e32 v51, v4
	v_cvt_f32_f16_e32 v48, v53
	v_lshrrev_b32_e32 v4, 16, v54
	v_max3_f32 v3, v3, |v34|, |v38|
	v_cvt_f32_f16_e32 v45, v5
	v_cvt_f32_f16_e32 v41, v54
	v_lshrrev_b32_e32 v5, 16, v55
	v_cvt_f32_f16_e32 v39, v4
	v_max3_f32 v3, v3, |v40|, |v42|
	;; [unrolled: 16-line block ×3, first 2 shown]
	v_cvt_f32_f16_e32 v13, v59
	s_delay_alu instid0(VALU_DEP_4) | instskip(NEXT) | instid1(VALU_DEP_3)
	v_cvt_f32_f16_e32 v8, v5
	v_max3_f32 v3, v3, |v41|, |v39|
	s_delay_alu instid0(VALU_DEP_1) | instskip(NEXT) | instid1(VALU_DEP_1)
	v_max3_f32 v3, v3, |v35|, |v33|
	v_max3_f32 v3, v3, |v31|, |v27|
	s_delay_alu instid0(VALU_DEP_1) | instskip(NEXT) | instid1(VALU_DEP_1)
	v_max3_f32 v3, v3, |v25|, |v21|
	;; [unrolled: 3-line block ×3, first 2 shown]
	v_mul_f32_e32 v3, 0x3e2aaaab, v3
	s_delay_alu instid0(VALU_DEP_1) | instskip(SKIP_1) | instid1(VALU_DEP_2)
	v_and_b32_e32 v4, 0x7fffff, v3
	v_bfe_u32 v3, v3, 23, 8
	v_cmp_ne_u32_e32 vcc_lo, 0, v4
	s_delay_alu instid0(VALU_DEP_2) | instskip(SKIP_1) | instid1(VALU_DEP_2)
	v_add_co_ci_u32_e32 v4, vcc_lo, 0, v3, vcc_lo
	v_cmp_ne_u32_e32 vcc_lo, 0xff, v3
	v_lshlrev_b32_e32 v4, 23, v4
	s_delay_alu instid0(VALU_DEP_1) | instskip(NEXT) | instid1(VALU_DEP_1)
	v_cndmask_b32_e32 v3, 0x7f800000, v4, vcc_lo
	v_div_scale_f32 v4, null, v3, v3, 1.0
	v_div_scale_f32 v10, vcc_lo, 1.0, v3, 1.0
	s_delay_alu instid0(VALU_DEP_2) | instskip(SKIP_2) | instid1(VALU_DEP_1)
	v_rcp_f32_e32 v5, v4
	s_waitcnt_depctr 0xfff
	v_fma_f32 v6, -v4, v5, 1.0
	v_fmac_f32_e32 v5, v6, v5
	s_delay_alu instid0(VALU_DEP_1) | instskip(NEXT) | instid1(VALU_DEP_1)
	v_mul_f32_e32 v6, v10, v5
	v_fma_f32 v11, -v4, v6, v10
	s_delay_alu instid0(VALU_DEP_1) | instskip(NEXT) | instid1(VALU_DEP_1)
	v_fmac_f32_e32 v6, v11, v5
	v_fma_f32 v4, -v4, v6, v10
	s_delay_alu instid0(VALU_DEP_1) | instskip(SKIP_2) | instid1(VALU_DEP_3)
	v_div_fmas_f32 v4, v4, v5, v6
	v_cmp_neq_f32_e32 vcc_lo, 0, v3
	v_mov_b32_e32 v6, 7
	v_div_fixup_f32 v4, v4, v3, 1.0
	s_delay_alu instid0(VALU_DEP_1) | instskip(NEXT) | instid1(VALU_DEP_1)
	v_cndmask_b32_e32 v12, 0, v4, vcc_lo
	v_dual_mov_b32 v4, 7 :: v_dual_mul_f32 v5, v12, v17
	s_delay_alu instid0(VALU_DEP_1)
	v_cmpx_nle_f32_e64 0x40a00000, |v5|
	s_cbranch_execz .LBB6_17
; %bb.6:
	v_mov_b32_e32 v4, 6
	s_mov_b32 s3, exec_lo
	v_cmpx_nle_f32_e64 0x40600000, |v5|
	s_cbranch_execz .LBB6_16
; %bb.7:
	v_mov_b32_e32 v4, 5
	s_mov_b32 s5, exec_lo
	;; [unrolled: 5-line block ×5, first 2 shown]
	v_cmpx_nle_f32_e64 0x3f400000, |v5|
; %bb.11:
	v_cmp_le_f32_e64 s10, 0x3e800000, |v5|
	s_delay_alu instid0(VALU_DEP_1)
	v_cndmask_b32_e64 v4, 0, 1, s10
; %bb.12:
	s_or_b32 exec_lo, exec_lo, s9
.LBB6_13:
	s_delay_alu instid0(SALU_CYCLE_1)
	s_or_b32 exec_lo, exec_lo, s8
.LBB6_14:
	s_delay_alu instid0(SALU_CYCLE_1)
	s_or_b32 exec_lo, exec_lo, s7
.LBB6_15:
	s_delay_alu instid0(SALU_CYCLE_1)
	s_or_b32 exec_lo, exec_lo, s5
.LBB6_16:
	s_delay_alu instid0(SALU_CYCLE_1)
	s_or_b32 exec_lo, exec_lo, s3
.LBB6_17:
	s_delay_alu instid0(SALU_CYCLE_1) | instskip(SKIP_2) | instid1(VALU_DEP_1)
	s_or_b32 exec_lo, exec_lo, s2
	v_mul_f32_e32 v7, v12, v7
	s_mov_b32 s2, exec_lo
	v_cmpx_nle_f32_e64 0x40a00000, |v7|
	s_cbranch_execz .LBB6_29
; %bb.18:
	v_mov_b32_e32 v6, 6
	s_mov_b32 s3, exec_lo
	v_cmpx_nle_f32_e64 0x40600000, |v7|
	s_cbranch_execz .LBB6_28
; %bb.19:
	v_mov_b32_e32 v6, 5
	;; [unrolled: 5-line block ×5, first 2 shown]
	s_mov_b32 s9, exec_lo
	v_cmpx_nle_f32_e64 0x3f400000, |v7|
; %bb.23:
	v_cmp_le_f32_e64 s10, 0x3e800000, |v7|
	s_delay_alu instid0(VALU_DEP_1)
	v_cndmask_b32_e64 v6, 0, 1, s10
; %bb.24:
	s_or_b32 exec_lo, exec_lo, s9
.LBB6_25:
	s_delay_alu instid0(SALU_CYCLE_1)
	s_or_b32 exec_lo, exec_lo, s8
.LBB6_26:
	s_delay_alu instid0(SALU_CYCLE_1)
	s_or_b32 exec_lo, exec_lo, s7
.LBB6_27:
	s_delay_alu instid0(SALU_CYCLE_1)
	s_or_b32 exec_lo, exec_lo, s5
.LBB6_28:
	s_delay_alu instid0(SALU_CYCLE_1)
	s_or_b32 exec_lo, exec_lo, s3
.LBB6_29:
	s_delay_alu instid0(SALU_CYCLE_1) | instskip(SKIP_3) | instid1(VALU_DEP_2)
	s_or_b32 exec_lo, exec_lo, s2
	v_dual_mul_f32 v10, v12, v9 :: v_dual_mov_b32 v11, 7
	v_mov_b32_e32 v9, 7
	s_mov_b32 s2, exec_lo
	v_cmpx_nle_f32_e64 0x40a00000, |v10|
	s_cbranch_execz .LBB6_41
; %bb.30:
	v_mov_b32_e32 v9, 6
	s_mov_b32 s3, exec_lo
	v_cmpx_nle_f32_e64 0x40600000, |v10|
	s_cbranch_execz .LBB6_40
; %bb.31:
	v_mov_b32_e32 v9, 5
	s_mov_b32 s5, exec_lo
	v_cmpx_nle_f32_e64 0x40200000, |v10|
	s_cbranch_execz .LBB6_39
; %bb.32:
	v_mov_b32_e32 v9, 4
	s_mov_b32 s7, exec_lo
	v_cmpx_nle_f32_e64 0x3fe00000, |v10|
	s_cbranch_execz .LBB6_38
; %bb.33:
	v_mov_b32_e32 v9, 3
	s_mov_b32 s8, exec_lo
	v_cmpx_nle_f32_e64 0x3fa00000, |v10|
	s_cbranch_execz .LBB6_37
; %bb.34:
	v_mov_b32_e32 v9, 2
	s_mov_b32 s9, exec_lo
	v_cmpx_nle_f32_e64 0x3f400000, |v10|
; %bb.35:
	v_cmp_le_f32_e64 s10, 0x3e800000, |v10|
	s_delay_alu instid0(VALU_DEP_1)
	v_cndmask_b32_e64 v9, 0, 1, s10
; %bb.36:
	s_or_b32 exec_lo, exec_lo, s9
.LBB6_37:
	s_delay_alu instid0(SALU_CYCLE_1)
	s_or_b32 exec_lo, exec_lo, s8
.LBB6_38:
	s_delay_alu instid0(SALU_CYCLE_1)
	s_or_b32 exec_lo, exec_lo, s7
.LBB6_39:
	s_delay_alu instid0(SALU_CYCLE_1)
	s_or_b32 exec_lo, exec_lo, s5
.LBB6_40:
	s_delay_alu instid0(SALU_CYCLE_1)
	s_or_b32 exec_lo, exec_lo, s3
.LBB6_41:
	s_delay_alu instid0(SALU_CYCLE_1) | instskip(SKIP_2) | instid1(VALU_DEP_1)
	s_or_b32 exec_lo, exec_lo, s2
	v_mul_f32_e32 v14, v12, v14
	s_mov_b32 s2, exec_lo
	v_cmpx_nle_f32_e64 0x40a00000, |v14|
	s_cbranch_execz .LBB6_53
; %bb.42:
	v_mov_b32_e32 v11, 6
	s_mov_b32 s3, exec_lo
	v_cmpx_nle_f32_e64 0x40600000, |v14|
	s_cbranch_execz .LBB6_52
; %bb.43:
	v_mov_b32_e32 v11, 5
	;; [unrolled: 5-line block ×5, first 2 shown]
	s_mov_b32 s9, exec_lo
	v_cmpx_nle_f32_e64 0x3f400000, |v14|
; %bb.47:
	v_cmp_le_f32_e64 s10, 0x3e800000, |v14|
	s_delay_alu instid0(VALU_DEP_1)
	v_cndmask_b32_e64 v11, 0, 1, s10
; %bb.48:
	s_or_b32 exec_lo, exec_lo, s9
.LBB6_49:
	s_delay_alu instid0(SALU_CYCLE_1)
	s_or_b32 exec_lo, exec_lo, s8
.LBB6_50:
	s_delay_alu instid0(SALU_CYCLE_1)
	s_or_b32 exec_lo, exec_lo, s7
.LBB6_51:
	s_delay_alu instid0(SALU_CYCLE_1)
	s_or_b32 exec_lo, exec_lo, s5
.LBB6_52:
	s_delay_alu instid0(SALU_CYCLE_1)
	s_or_b32 exec_lo, exec_lo, s3
.LBB6_53:
	s_delay_alu instid0(SALU_CYCLE_1) | instskip(SKIP_3) | instid1(VALU_DEP_2)
	s_or_b32 exec_lo, exec_lo, s2
	v_dual_mul_f32 v18, v12, v16 :: v_dual_mov_b32 v17, 7
	v_mov_b32_e32 v16, 7
	s_mov_b32 s2, exec_lo
	v_cmpx_nle_f32_e64 0x40a00000, |v18|
	s_cbranch_execz .LBB6_65
; %bb.54:
	v_mov_b32_e32 v17, 6
	s_mov_b32 s3, exec_lo
	v_cmpx_nle_f32_e64 0x40600000, |v18|
	s_cbranch_execz .LBB6_64
; %bb.55:
	;; [unrolled: 5-line block ×5, first 2 shown]
	v_mov_b32_e32 v17, 2
	s_mov_b32 s9, exec_lo
	v_cmpx_nle_f32_e64 0x3f400000, |v18|
; %bb.59:
	v_cmp_le_f32_e64 s10, 0x3e800000, |v18|
	s_delay_alu instid0(VALU_DEP_1)
	v_cndmask_b32_e64 v17, 0, 1, s10
; %bb.60:
	s_or_b32 exec_lo, exec_lo, s9
.LBB6_61:
	s_delay_alu instid0(SALU_CYCLE_1)
	s_or_b32 exec_lo, exec_lo, s8
.LBB6_62:
	s_delay_alu instid0(SALU_CYCLE_1)
	s_or_b32 exec_lo, exec_lo, s7
.LBB6_63:
	s_delay_alu instid0(SALU_CYCLE_1)
	s_or_b32 exec_lo, exec_lo, s5
.LBB6_64:
	s_delay_alu instid0(SALU_CYCLE_1)
	s_or_b32 exec_lo, exec_lo, s3
.LBB6_65:
	s_delay_alu instid0(SALU_CYCLE_1) | instskip(SKIP_2) | instid1(VALU_DEP_1)
	s_or_b32 exec_lo, exec_lo, s2
	v_mul_f32_e32 v20, v12, v20
	s_mov_b32 s2, exec_lo
	v_cmpx_nle_f32_e64 0x40a00000, |v20|
	s_cbranch_execz .LBB6_77
; %bb.66:
	v_mov_b32_e32 v16, 6
	s_mov_b32 s3, exec_lo
	v_cmpx_nle_f32_e64 0x40600000, |v20|
	s_cbranch_execz .LBB6_76
; %bb.67:
	v_mov_b32_e32 v16, 5
	;; [unrolled: 5-line block ×5, first 2 shown]
	s_mov_b32 s9, exec_lo
	v_cmpx_nle_f32_e64 0x3f400000, |v20|
; %bb.71:
	v_cmp_le_f32_e64 s10, 0x3e800000, |v20|
	s_delay_alu instid0(VALU_DEP_1)
	v_cndmask_b32_e64 v16, 0, 1, s10
; %bb.72:
	s_or_b32 exec_lo, exec_lo, s9
.LBB6_73:
	s_delay_alu instid0(SALU_CYCLE_1)
	s_or_b32 exec_lo, exec_lo, s8
.LBB6_74:
	s_delay_alu instid0(SALU_CYCLE_1)
	s_or_b32 exec_lo, exec_lo, s7
.LBB6_75:
	s_delay_alu instid0(SALU_CYCLE_1)
	s_or_b32 exec_lo, exec_lo, s5
.LBB6_76:
	s_delay_alu instid0(SALU_CYCLE_1)
	s_or_b32 exec_lo, exec_lo, s3
.LBB6_77:
	s_delay_alu instid0(SALU_CYCLE_1) | instskip(SKIP_3) | instid1(VALU_DEP_2)
	s_or_b32 exec_lo, exec_lo, s2
	v_dual_mul_f32 v24, v12, v22 :: v_dual_mov_b32 v23, 7
	v_mov_b32_e32 v22, 7
	s_mov_b32 s2, exec_lo
	v_cmpx_nle_f32_e64 0x40a00000, |v24|
	s_cbranch_execz .LBB6_89
; %bb.78:
	v_mov_b32_e32 v23, 6
	s_mov_b32 s3, exec_lo
	v_cmpx_nle_f32_e64 0x40600000, |v24|
	s_cbranch_execz .LBB6_88
; %bb.79:
	;; [unrolled: 5-line block ×5, first 2 shown]
	v_mov_b32_e32 v23, 2
	s_mov_b32 s9, exec_lo
	v_cmpx_nle_f32_e64 0x3f400000, |v24|
; %bb.83:
	v_cmp_le_f32_e64 s10, 0x3e800000, |v24|
	s_delay_alu instid0(VALU_DEP_1)
	v_cndmask_b32_e64 v23, 0, 1, s10
; %bb.84:
	s_or_b32 exec_lo, exec_lo, s9
.LBB6_85:
	s_delay_alu instid0(SALU_CYCLE_1)
	s_or_b32 exec_lo, exec_lo, s8
.LBB6_86:
	s_delay_alu instid0(SALU_CYCLE_1)
	s_or_b32 exec_lo, exec_lo, s7
.LBB6_87:
	s_delay_alu instid0(SALU_CYCLE_1)
	s_or_b32 exec_lo, exec_lo, s5
.LBB6_88:
	s_delay_alu instid0(SALU_CYCLE_1)
	s_or_b32 exec_lo, exec_lo, s3
.LBB6_89:
	s_delay_alu instid0(SALU_CYCLE_1) | instskip(SKIP_2) | instid1(VALU_DEP_1)
	s_or_b32 exec_lo, exec_lo, s2
	v_mul_f32_e32 v26, v12, v26
	s_mov_b32 s2, exec_lo
	v_cmpx_nle_f32_e64 0x40a00000, |v26|
	s_cbranch_execz .LBB6_101
; %bb.90:
	v_mov_b32_e32 v22, 6
	s_mov_b32 s3, exec_lo
	v_cmpx_nle_f32_e64 0x40600000, |v26|
	s_cbranch_execz .LBB6_100
; %bb.91:
	v_mov_b32_e32 v22, 5
	;; [unrolled: 5-line block ×5, first 2 shown]
	s_mov_b32 s9, exec_lo
	v_cmpx_nle_f32_e64 0x3f400000, |v26|
; %bb.95:
	v_cmp_le_f32_e64 s10, 0x3e800000, |v26|
	s_delay_alu instid0(VALU_DEP_1)
	v_cndmask_b32_e64 v22, 0, 1, s10
; %bb.96:
	s_or_b32 exec_lo, exec_lo, s9
.LBB6_97:
	s_delay_alu instid0(SALU_CYCLE_1)
	s_or_b32 exec_lo, exec_lo, s8
.LBB6_98:
	s_delay_alu instid0(SALU_CYCLE_1)
	s_or_b32 exec_lo, exec_lo, s7
.LBB6_99:
	s_delay_alu instid0(SALU_CYCLE_1)
	s_or_b32 exec_lo, exec_lo, s5
.LBB6_100:
	s_delay_alu instid0(SALU_CYCLE_1)
	s_or_b32 exec_lo, exec_lo, s3
.LBB6_101:
	s_delay_alu instid0(SALU_CYCLE_1) | instskip(SKIP_3) | instid1(VALU_DEP_2)
	s_or_b32 exec_lo, exec_lo, s2
	v_dual_mul_f32 v29, v12, v28 :: v_dual_mov_b32 v28, 7
	v_mov_b32_e32 v30, 7
	s_mov_b32 s2, exec_lo
	v_cmpx_nle_f32_e64 0x40a00000, |v29|
	s_cbranch_execz .LBB6_113
; %bb.102:
	v_mov_b32_e32 v30, 6
	s_mov_b32 s3, exec_lo
	v_cmpx_nle_f32_e64 0x40600000, |v29|
	s_cbranch_execz .LBB6_112
; %bb.103:
	;; [unrolled: 5-line block ×5, first 2 shown]
	v_mov_b32_e32 v30, 2
	s_mov_b32 s9, exec_lo
	v_cmpx_nle_f32_e64 0x3f400000, |v29|
; %bb.107:
	v_cmp_le_f32_e64 s10, 0x3e800000, |v29|
	s_delay_alu instid0(VALU_DEP_1)
	v_cndmask_b32_e64 v30, 0, 1, s10
; %bb.108:
	s_or_b32 exec_lo, exec_lo, s9
.LBB6_109:
	s_delay_alu instid0(SALU_CYCLE_1)
	s_or_b32 exec_lo, exec_lo, s8
.LBB6_110:
	s_delay_alu instid0(SALU_CYCLE_1)
	s_or_b32 exec_lo, exec_lo, s7
.LBB6_111:
	s_delay_alu instid0(SALU_CYCLE_1)
	s_or_b32 exec_lo, exec_lo, s5
.LBB6_112:
	s_delay_alu instid0(SALU_CYCLE_1)
	s_or_b32 exec_lo, exec_lo, s3
.LBB6_113:
	s_delay_alu instid0(SALU_CYCLE_1) | instskip(SKIP_2) | instid1(VALU_DEP_1)
	s_or_b32 exec_lo, exec_lo, s2
	v_mul_f32_e32 v32, v12, v32
	s_mov_b32 s2, exec_lo
	v_cmpx_nle_f32_e64 0x40a00000, |v32|
	s_cbranch_execz .LBB6_125
; %bb.114:
	v_mov_b32_e32 v28, 6
	s_mov_b32 s3, exec_lo
	v_cmpx_nle_f32_e64 0x40600000, |v32|
	s_cbranch_execz .LBB6_124
; %bb.115:
	v_mov_b32_e32 v28, 5
	s_mov_b32 s5, exec_lo
	v_cmpx_nle_f32_e64 0x40200000, |v32|
	s_cbranch_execz .LBB6_123
; %bb.116:
	v_mov_b32_e32 v28, 4
	s_mov_b32 s7, exec_lo
	v_cmpx_nle_f32_e64 0x3fe00000, |v32|
	s_cbranch_execz .LBB6_122
; %bb.117:
	v_mov_b32_e32 v28, 3
	s_mov_b32 s8, exec_lo
	v_cmpx_nle_f32_e64 0x3fa00000, |v32|
	s_cbranch_execz .LBB6_121
; %bb.118:
	v_mov_b32_e32 v28, 2
	s_mov_b32 s9, exec_lo
	v_cmpx_nle_f32_e64 0x3f400000, |v32|
; %bb.119:
	v_cmp_le_f32_e64 s10, 0x3e800000, |v32|
	s_delay_alu instid0(VALU_DEP_1)
	v_cndmask_b32_e64 v28, 0, 1, s10
; %bb.120:
	s_or_b32 exec_lo, exec_lo, s9
.LBB6_121:
	s_delay_alu instid0(SALU_CYCLE_1)
	s_or_b32 exec_lo, exec_lo, s8
.LBB6_122:
	s_delay_alu instid0(SALU_CYCLE_1)
	s_or_b32 exec_lo, exec_lo, s7
.LBB6_123:
	s_delay_alu instid0(SALU_CYCLE_1)
	s_or_b32 exec_lo, exec_lo, s5
.LBB6_124:
	s_delay_alu instid0(SALU_CYCLE_1)
	s_or_b32 exec_lo, exec_lo, s3
.LBB6_125:
	s_delay_alu instid0(SALU_CYCLE_1) | instskip(SKIP_3) | instid1(VALU_DEP_2)
	s_or_b32 exec_lo, exec_lo, s2
	v_dual_mul_f32 v37, v12, v34 :: v_dual_mov_b32 v34, 7
	v_mov_b32_e32 v36, 7
	s_mov_b32 s2, exec_lo
	v_cmpx_nle_f32_e64 0x40a00000, |v37|
	s_cbranch_execz .LBB6_137
; %bb.126:
	v_mov_b32_e32 v36, 6
	s_mov_b32 s3, exec_lo
	v_cmpx_nle_f32_e64 0x40600000, |v37|
	s_cbranch_execz .LBB6_136
; %bb.127:
	;; [unrolled: 5-line block ×5, first 2 shown]
	v_mov_b32_e32 v36, 2
	s_mov_b32 s9, exec_lo
	v_cmpx_nle_f32_e64 0x3f400000, |v37|
; %bb.131:
	v_cmp_le_f32_e64 s10, 0x3e800000, |v37|
	s_delay_alu instid0(VALU_DEP_1)
	v_cndmask_b32_e64 v36, 0, 1, s10
; %bb.132:
	s_or_b32 exec_lo, exec_lo, s9
.LBB6_133:
	s_delay_alu instid0(SALU_CYCLE_1)
	s_or_b32 exec_lo, exec_lo, s8
.LBB6_134:
	s_delay_alu instid0(SALU_CYCLE_1)
	s_or_b32 exec_lo, exec_lo, s7
.LBB6_135:
	s_delay_alu instid0(SALU_CYCLE_1)
	s_or_b32 exec_lo, exec_lo, s5
.LBB6_136:
	s_delay_alu instid0(SALU_CYCLE_1)
	s_or_b32 exec_lo, exec_lo, s3
.LBB6_137:
	s_delay_alu instid0(SALU_CYCLE_1) | instskip(SKIP_2) | instid1(VALU_DEP_1)
	s_or_b32 exec_lo, exec_lo, s2
	v_mul_f32_e32 v38, v12, v38
	s_mov_b32 s2, exec_lo
	v_cmpx_nle_f32_e64 0x40a00000, |v38|
	s_cbranch_execz .LBB6_149
; %bb.138:
	v_mov_b32_e32 v34, 6
	s_mov_b32 s3, exec_lo
	v_cmpx_nle_f32_e64 0x40600000, |v38|
	s_cbranch_execz .LBB6_148
; %bb.139:
	v_mov_b32_e32 v34, 5
	;; [unrolled: 5-line block ×5, first 2 shown]
	s_mov_b32 s9, exec_lo
	v_cmpx_nle_f32_e64 0x3f400000, |v38|
; %bb.143:
	v_cmp_le_f32_e64 s10, 0x3e800000, |v38|
	s_delay_alu instid0(VALU_DEP_1)
	v_cndmask_b32_e64 v34, 0, 1, s10
; %bb.144:
	s_or_b32 exec_lo, exec_lo, s9
.LBB6_145:
	s_delay_alu instid0(SALU_CYCLE_1)
	s_or_b32 exec_lo, exec_lo, s8
.LBB6_146:
	s_delay_alu instid0(SALU_CYCLE_1)
	s_or_b32 exec_lo, exec_lo, s7
.LBB6_147:
	s_delay_alu instid0(SALU_CYCLE_1)
	s_or_b32 exec_lo, exec_lo, s5
.LBB6_148:
	s_delay_alu instid0(SALU_CYCLE_1)
	s_or_b32 exec_lo, exec_lo, s3
.LBB6_149:
	s_delay_alu instid0(SALU_CYCLE_1) | instskip(SKIP_3) | instid1(VALU_DEP_2)
	s_or_b32 exec_lo, exec_lo, s2
	v_dual_mul_f32 v44, v12, v40 :: v_dual_mov_b32 v43, 7
	v_mov_b32_e32 v40, 7
	s_mov_b32 s2, exec_lo
	v_cmpx_nle_f32_e64 0x40a00000, |v44|
	s_cbranch_execz .LBB6_161
; %bb.150:
	v_mov_b32_e32 v43, 6
	s_mov_b32 s3, exec_lo
	v_cmpx_nle_f32_e64 0x40600000, |v44|
	s_cbranch_execz .LBB6_160
; %bb.151:
	;; [unrolled: 5-line block ×5, first 2 shown]
	v_mov_b32_e32 v43, 2
	s_mov_b32 s9, exec_lo
	v_cmpx_nle_f32_e64 0x3f400000, |v44|
; %bb.155:
	v_cmp_le_f32_e64 s10, 0x3e800000, |v44|
	s_delay_alu instid0(VALU_DEP_1)
	v_cndmask_b32_e64 v43, 0, 1, s10
; %bb.156:
	s_or_b32 exec_lo, exec_lo, s9
.LBB6_157:
	s_delay_alu instid0(SALU_CYCLE_1)
	s_or_b32 exec_lo, exec_lo, s8
.LBB6_158:
	s_delay_alu instid0(SALU_CYCLE_1)
	s_or_b32 exec_lo, exec_lo, s7
.LBB6_159:
	s_delay_alu instid0(SALU_CYCLE_1)
	s_or_b32 exec_lo, exec_lo, s5
.LBB6_160:
	s_delay_alu instid0(SALU_CYCLE_1)
	s_or_b32 exec_lo, exec_lo, s3
.LBB6_161:
	s_delay_alu instid0(SALU_CYCLE_1) | instskip(SKIP_2) | instid1(VALU_DEP_1)
	s_or_b32 exec_lo, exec_lo, s2
	v_mul_f32_e32 v42, v12, v42
	s_mov_b32 s2, exec_lo
	v_cmpx_nle_f32_e64 0x40a00000, |v42|
	s_cbranch_execz .LBB6_173
; %bb.162:
	v_mov_b32_e32 v40, 6
	s_mov_b32 s3, exec_lo
	v_cmpx_nle_f32_e64 0x40600000, |v42|
	s_cbranch_execz .LBB6_172
; %bb.163:
	v_mov_b32_e32 v40, 5
	;; [unrolled: 5-line block ×5, first 2 shown]
	s_mov_b32 s9, exec_lo
	v_cmpx_nle_f32_e64 0x3f400000, |v42|
; %bb.167:
	v_cmp_le_f32_e64 s10, 0x3e800000, |v42|
	s_delay_alu instid0(VALU_DEP_1)
	v_cndmask_b32_e64 v40, 0, 1, s10
; %bb.168:
	s_or_b32 exec_lo, exec_lo, s9
.LBB6_169:
	s_delay_alu instid0(SALU_CYCLE_1)
	s_or_b32 exec_lo, exec_lo, s8
.LBB6_170:
	s_delay_alu instid0(SALU_CYCLE_1)
	s_or_b32 exec_lo, exec_lo, s7
.LBB6_171:
	s_delay_alu instid0(SALU_CYCLE_1)
	s_or_b32 exec_lo, exec_lo, s5
.LBB6_172:
	s_delay_alu instid0(SALU_CYCLE_1)
	s_or_b32 exec_lo, exec_lo, s3
.LBB6_173:
	s_delay_alu instid0(SALU_CYCLE_1) | instskip(SKIP_3) | instid1(VALU_DEP_2)
	s_or_b32 exec_lo, exec_lo, s2
	v_dual_mul_f32 v50, v12, v46 :: v_dual_mov_b32 v49, 7
	v_mov_b32_e32 v46, 7
	s_mov_b32 s2, exec_lo
	v_cmpx_nle_f32_e64 0x40a00000, |v50|
	s_cbranch_execz .LBB6_185
; %bb.174:
	v_mov_b32_e32 v49, 6
	s_mov_b32 s3, exec_lo
	v_cmpx_nle_f32_e64 0x40600000, |v50|
	s_cbranch_execz .LBB6_184
; %bb.175:
	;; [unrolled: 5-line block ×5, first 2 shown]
	v_mov_b32_e32 v49, 2
	s_mov_b32 s9, exec_lo
	v_cmpx_nle_f32_e64 0x3f400000, |v50|
; %bb.179:
	v_cmp_le_f32_e64 s10, 0x3e800000, |v50|
	s_delay_alu instid0(VALU_DEP_1)
	v_cndmask_b32_e64 v49, 0, 1, s10
; %bb.180:
	s_or_b32 exec_lo, exec_lo, s9
.LBB6_181:
	s_delay_alu instid0(SALU_CYCLE_1)
	s_or_b32 exec_lo, exec_lo, s8
.LBB6_182:
	s_delay_alu instid0(SALU_CYCLE_1)
	s_or_b32 exec_lo, exec_lo, s7
.LBB6_183:
	s_delay_alu instid0(SALU_CYCLE_1)
	s_or_b32 exec_lo, exec_lo, s5
.LBB6_184:
	s_delay_alu instid0(SALU_CYCLE_1)
	s_or_b32 exec_lo, exec_lo, s3
.LBB6_185:
	s_delay_alu instid0(SALU_CYCLE_1) | instskip(SKIP_2) | instid1(VALU_DEP_1)
	s_or_b32 exec_lo, exec_lo, s2
	v_mul_f32_e32 v47, v12, v47
	s_mov_b32 s2, exec_lo
	v_cmpx_nle_f32_e64 0x40a00000, |v47|
	s_cbranch_execz .LBB6_197
; %bb.186:
	v_mov_b32_e32 v46, 6
	s_mov_b32 s3, exec_lo
	v_cmpx_nle_f32_e64 0x40600000, |v47|
	s_cbranch_execz .LBB6_196
; %bb.187:
	v_mov_b32_e32 v46, 5
	;; [unrolled: 5-line block ×5, first 2 shown]
	s_mov_b32 s9, exec_lo
	v_cmpx_nle_f32_e64 0x3f400000, |v47|
; %bb.191:
	v_cmp_le_f32_e64 s10, 0x3e800000, |v47|
	s_delay_alu instid0(VALU_DEP_1)
	v_cndmask_b32_e64 v46, 0, 1, s10
; %bb.192:
	s_or_b32 exec_lo, exec_lo, s9
.LBB6_193:
	s_delay_alu instid0(SALU_CYCLE_1)
	s_or_b32 exec_lo, exec_lo, s8
.LBB6_194:
	s_delay_alu instid0(SALU_CYCLE_1)
	s_or_b32 exec_lo, exec_lo, s7
.LBB6_195:
	s_delay_alu instid0(SALU_CYCLE_1)
	s_or_b32 exec_lo, exec_lo, s5
.LBB6_196:
	s_delay_alu instid0(SALU_CYCLE_1)
	s_or_b32 exec_lo, exec_lo, s3
.LBB6_197:
	s_delay_alu instid0(SALU_CYCLE_1) | instskip(SKIP_3) | instid1(VALU_DEP_2)
	s_or_b32 exec_lo, exec_lo, s2
	v_dual_mul_f32 v54, v12, v52 :: v_dual_mov_b32 v53, 7
	v_mov_b32_e32 v52, 7
	s_mov_b32 s2, exec_lo
	v_cmpx_nle_f32_e64 0x40a00000, |v54|
	s_cbranch_execz .LBB6_209
; %bb.198:
	v_mov_b32_e32 v53, 6
	s_mov_b32 s3, exec_lo
	v_cmpx_nle_f32_e64 0x40600000, |v54|
	s_cbranch_execz .LBB6_208
; %bb.199:
	;; [unrolled: 5-line block ×5, first 2 shown]
	v_mov_b32_e32 v53, 2
	s_mov_b32 s9, exec_lo
	v_cmpx_nle_f32_e64 0x3f400000, |v54|
; %bb.203:
	v_cmp_le_f32_e64 s10, 0x3e800000, |v54|
	s_delay_alu instid0(VALU_DEP_1)
	v_cndmask_b32_e64 v53, 0, 1, s10
; %bb.204:
	s_or_b32 exec_lo, exec_lo, s9
.LBB6_205:
	s_delay_alu instid0(SALU_CYCLE_1)
	s_or_b32 exec_lo, exec_lo, s8
.LBB6_206:
	s_delay_alu instid0(SALU_CYCLE_1)
	s_or_b32 exec_lo, exec_lo, s7
.LBB6_207:
	s_delay_alu instid0(SALU_CYCLE_1)
	s_or_b32 exec_lo, exec_lo, s5
.LBB6_208:
	s_delay_alu instid0(SALU_CYCLE_1)
	s_or_b32 exec_lo, exec_lo, s3
.LBB6_209:
	s_delay_alu instid0(SALU_CYCLE_1) | instskip(SKIP_2) | instid1(VALU_DEP_1)
	s_or_b32 exec_lo, exec_lo, s2
	v_mul_f32_e32 v51, v12, v51
	s_mov_b32 s2, exec_lo
	v_cmpx_nle_f32_e64 0x40a00000, |v51|
	s_cbranch_execz .LBB6_221
; %bb.210:
	v_mov_b32_e32 v52, 6
	s_mov_b32 s3, exec_lo
	v_cmpx_nle_f32_e64 0x40600000, |v51|
	s_cbranch_execz .LBB6_220
; %bb.211:
	v_mov_b32_e32 v52, 5
	s_mov_b32 s5, exec_lo
	v_cmpx_nle_f32_e64 0x40200000, |v51|
	s_cbranch_execz .LBB6_219
; %bb.212:
	v_mov_b32_e32 v52, 4
	s_mov_b32 s7, exec_lo
	v_cmpx_nle_f32_e64 0x3fe00000, |v51|
	s_cbranch_execz .LBB6_218
; %bb.213:
	v_mov_b32_e32 v52, 3
	s_mov_b32 s8, exec_lo
	v_cmpx_nle_f32_e64 0x3fa00000, |v51|
	s_cbranch_execz .LBB6_217
; %bb.214:
	v_mov_b32_e32 v52, 2
	s_mov_b32 s9, exec_lo
	v_cmpx_nle_f32_e64 0x3f400000, |v51|
; %bb.215:
	v_cmp_le_f32_e64 s10, 0x3e800000, |v51|
	s_delay_alu instid0(VALU_DEP_1)
	v_cndmask_b32_e64 v52, 0, 1, s10
; %bb.216:
	s_or_b32 exec_lo, exec_lo, s9
.LBB6_217:
	s_delay_alu instid0(SALU_CYCLE_1)
	s_or_b32 exec_lo, exec_lo, s8
.LBB6_218:
	s_delay_alu instid0(SALU_CYCLE_1)
	s_or_b32 exec_lo, exec_lo, s7
.LBB6_219:
	s_delay_alu instid0(SALU_CYCLE_1)
	s_or_b32 exec_lo, exec_lo, s5
.LBB6_220:
	s_delay_alu instid0(SALU_CYCLE_1)
	s_or_b32 exec_lo, exec_lo, s3
.LBB6_221:
	s_delay_alu instid0(SALU_CYCLE_1) | instskip(SKIP_3) | instid1(VALU_DEP_2)
	s_or_b32 exec_lo, exec_lo, s2
	v_dual_mul_f32 v55, v12, v48 :: v_dual_mov_b32 v48, 7
	v_mov_b32_e32 v56, 7
	s_mov_b32 s2, exec_lo
	v_cmpx_nle_f32_e64 0x40a00000, |v55|
	s_cbranch_execz .LBB6_233
; %bb.222:
	v_mov_b32_e32 v56, 6
	s_mov_b32 s3, exec_lo
	v_cmpx_nle_f32_e64 0x40600000, |v55|
	s_cbranch_execz .LBB6_232
; %bb.223:
	;; [unrolled: 5-line block ×5, first 2 shown]
	v_mov_b32_e32 v56, 2
	s_mov_b32 s9, exec_lo
	v_cmpx_nle_f32_e64 0x3f400000, |v55|
; %bb.227:
	v_cmp_le_f32_e64 s10, 0x3e800000, |v55|
	s_delay_alu instid0(VALU_DEP_1)
	v_cndmask_b32_e64 v56, 0, 1, s10
; %bb.228:
	s_or_b32 exec_lo, exec_lo, s9
.LBB6_229:
	s_delay_alu instid0(SALU_CYCLE_1)
	s_or_b32 exec_lo, exec_lo, s8
.LBB6_230:
	s_delay_alu instid0(SALU_CYCLE_1)
	s_or_b32 exec_lo, exec_lo, s7
.LBB6_231:
	s_delay_alu instid0(SALU_CYCLE_1)
	s_or_b32 exec_lo, exec_lo, s5
.LBB6_232:
	s_delay_alu instid0(SALU_CYCLE_1)
	s_or_b32 exec_lo, exec_lo, s3
.LBB6_233:
	s_delay_alu instid0(SALU_CYCLE_1) | instskip(SKIP_2) | instid1(VALU_DEP_1)
	s_or_b32 exec_lo, exec_lo, s2
	v_mul_f32_e32 v45, v12, v45
	s_mov_b32 s2, exec_lo
	v_cmpx_nle_f32_e64 0x40a00000, |v45|
	s_cbranch_execz .LBB6_245
; %bb.234:
	v_mov_b32_e32 v48, 6
	s_mov_b32 s3, exec_lo
	v_cmpx_nle_f32_e64 0x40600000, |v45|
	s_cbranch_execz .LBB6_244
; %bb.235:
	v_mov_b32_e32 v48, 5
	;; [unrolled: 5-line block ×5, first 2 shown]
	s_mov_b32 s9, exec_lo
	v_cmpx_nle_f32_e64 0x3f400000, |v45|
; %bb.239:
	v_cmp_le_f32_e64 s10, 0x3e800000, |v45|
	s_delay_alu instid0(VALU_DEP_1)
	v_cndmask_b32_e64 v48, 0, 1, s10
; %bb.240:
	s_or_b32 exec_lo, exec_lo, s9
.LBB6_241:
	s_delay_alu instid0(SALU_CYCLE_1)
	s_or_b32 exec_lo, exec_lo, s8
.LBB6_242:
	s_delay_alu instid0(SALU_CYCLE_1)
	s_or_b32 exec_lo, exec_lo, s7
.LBB6_243:
	s_delay_alu instid0(SALU_CYCLE_1)
	s_or_b32 exec_lo, exec_lo, s5
.LBB6_244:
	s_delay_alu instid0(SALU_CYCLE_1)
	s_or_b32 exec_lo, exec_lo, s3
.LBB6_245:
	s_delay_alu instid0(SALU_CYCLE_1) | instskip(SKIP_3) | instid1(VALU_DEP_2)
	s_or_b32 exec_lo, exec_lo, s2
	v_dual_mul_f32 v58, v12, v41 :: v_dual_mov_b32 v41, 7
	v_mov_b32_e32 v57, 7
	s_mov_b32 s2, exec_lo
	v_cmpx_nle_f32_e64 0x40a00000, |v58|
	s_cbranch_execz .LBB6_257
; %bb.246:
	v_mov_b32_e32 v57, 6
	s_mov_b32 s3, exec_lo
	v_cmpx_nle_f32_e64 0x40600000, |v58|
	s_cbranch_execz .LBB6_256
; %bb.247:
	;; [unrolled: 5-line block ×5, first 2 shown]
	v_mov_b32_e32 v57, 2
	s_mov_b32 s9, exec_lo
	v_cmpx_nle_f32_e64 0x3f400000, |v58|
; %bb.251:
	v_cmp_le_f32_e64 s10, 0x3e800000, |v58|
	s_delay_alu instid0(VALU_DEP_1)
	v_cndmask_b32_e64 v57, 0, 1, s10
; %bb.252:
	s_or_b32 exec_lo, exec_lo, s9
.LBB6_253:
	s_delay_alu instid0(SALU_CYCLE_1)
	s_or_b32 exec_lo, exec_lo, s8
.LBB6_254:
	s_delay_alu instid0(SALU_CYCLE_1)
	s_or_b32 exec_lo, exec_lo, s7
.LBB6_255:
	s_delay_alu instid0(SALU_CYCLE_1)
	s_or_b32 exec_lo, exec_lo, s5
.LBB6_256:
	s_delay_alu instid0(SALU_CYCLE_1)
	s_or_b32 exec_lo, exec_lo, s3
.LBB6_257:
	s_delay_alu instid0(SALU_CYCLE_1) | instskip(SKIP_2) | instid1(VALU_DEP_1)
	s_or_b32 exec_lo, exec_lo, s2
	v_mul_f32_e32 v39, v12, v39
	s_mov_b32 s2, exec_lo
	v_cmpx_nle_f32_e64 0x40a00000, |v39|
	s_cbranch_execz .LBB6_269
; %bb.258:
	v_mov_b32_e32 v41, 6
	s_mov_b32 s3, exec_lo
	v_cmpx_nle_f32_e64 0x40600000, |v39|
	s_cbranch_execz .LBB6_268
; %bb.259:
	v_mov_b32_e32 v41, 5
	;; [unrolled: 5-line block ×5, first 2 shown]
	s_mov_b32 s9, exec_lo
	v_cmpx_nle_f32_e64 0x3f400000, |v39|
; %bb.263:
	v_cmp_le_f32_e64 s10, 0x3e800000, |v39|
	s_delay_alu instid0(VALU_DEP_1)
	v_cndmask_b32_e64 v41, 0, 1, s10
; %bb.264:
	s_or_b32 exec_lo, exec_lo, s9
.LBB6_265:
	s_delay_alu instid0(SALU_CYCLE_1)
	s_or_b32 exec_lo, exec_lo, s8
.LBB6_266:
	s_delay_alu instid0(SALU_CYCLE_1)
	s_or_b32 exec_lo, exec_lo, s7
.LBB6_267:
	s_delay_alu instid0(SALU_CYCLE_1)
	s_or_b32 exec_lo, exec_lo, s5
.LBB6_268:
	s_delay_alu instid0(SALU_CYCLE_1)
	s_or_b32 exec_lo, exec_lo, s3
.LBB6_269:
	s_delay_alu instid0(SALU_CYCLE_1) | instskip(SKIP_3) | instid1(VALU_DEP_2)
	s_or_b32 exec_lo, exec_lo, s2
	v_dual_mul_f32 v60, v12, v35 :: v_dual_mov_b32 v35, 7
	v_mov_b32_e32 v59, 7
	s_mov_b32 s2, exec_lo
	v_cmpx_nle_f32_e64 0x40a00000, |v60|
	s_cbranch_execz .LBB6_281
; %bb.270:
	v_mov_b32_e32 v59, 6
	s_mov_b32 s3, exec_lo
	v_cmpx_nle_f32_e64 0x40600000, |v60|
	s_cbranch_execz .LBB6_280
; %bb.271:
	v_mov_b32_e32 v59, 5
	s_mov_b32 s5, exec_lo
	v_cmpx_nle_f32_e64 0x40200000, |v60|
	s_cbranch_execz .LBB6_279
; %bb.272:
	v_mov_b32_e32 v59, 4
	s_mov_b32 s7, exec_lo
	v_cmpx_nle_f32_e64 0x3fe00000, |v60|
	s_cbranch_execz .LBB6_278
; %bb.273:
	v_mov_b32_e32 v59, 3
	s_mov_b32 s8, exec_lo
	v_cmpx_nle_f32_e64 0x3fa00000, |v60|
	s_cbranch_execz .LBB6_277
; %bb.274:
	v_mov_b32_e32 v59, 2
	s_mov_b32 s9, exec_lo
	v_cmpx_nle_f32_e64 0x3f400000, |v60|
; %bb.275:
	v_cmp_le_f32_e64 s10, 0x3e800000, |v60|
	s_delay_alu instid0(VALU_DEP_1)
	v_cndmask_b32_e64 v59, 0, 1, s10
; %bb.276:
	s_or_b32 exec_lo, exec_lo, s9
.LBB6_277:
	s_delay_alu instid0(SALU_CYCLE_1)
	s_or_b32 exec_lo, exec_lo, s8
.LBB6_278:
	s_delay_alu instid0(SALU_CYCLE_1)
	s_or_b32 exec_lo, exec_lo, s7
.LBB6_279:
	s_delay_alu instid0(SALU_CYCLE_1)
	s_or_b32 exec_lo, exec_lo, s5
.LBB6_280:
	s_delay_alu instid0(SALU_CYCLE_1)
	s_or_b32 exec_lo, exec_lo, s3
.LBB6_281:
	s_delay_alu instid0(SALU_CYCLE_1) | instskip(SKIP_2) | instid1(VALU_DEP_1)
	s_or_b32 exec_lo, exec_lo, s2
	v_mul_f32_e32 v33, v12, v33
	s_mov_b32 s2, exec_lo
	v_cmpx_nle_f32_e64 0x40a00000, |v33|
	s_cbranch_execz .LBB6_293
; %bb.282:
	v_mov_b32_e32 v35, 6
	s_mov_b32 s3, exec_lo
	v_cmpx_nle_f32_e64 0x40600000, |v33|
	s_cbranch_execz .LBB6_292
; %bb.283:
	v_mov_b32_e32 v35, 5
	;; [unrolled: 5-line block ×5, first 2 shown]
	s_mov_b32 s9, exec_lo
	v_cmpx_nle_f32_e64 0x3f400000, |v33|
; %bb.287:
	v_cmp_le_f32_e64 s10, 0x3e800000, |v33|
	s_delay_alu instid0(VALU_DEP_1)
	v_cndmask_b32_e64 v35, 0, 1, s10
; %bb.288:
	s_or_b32 exec_lo, exec_lo, s9
.LBB6_289:
	s_delay_alu instid0(SALU_CYCLE_1)
	s_or_b32 exec_lo, exec_lo, s8
.LBB6_290:
	s_delay_alu instid0(SALU_CYCLE_1)
	s_or_b32 exec_lo, exec_lo, s7
.LBB6_291:
	s_delay_alu instid0(SALU_CYCLE_1)
	s_or_b32 exec_lo, exec_lo, s5
.LBB6_292:
	s_delay_alu instid0(SALU_CYCLE_1)
	s_or_b32 exec_lo, exec_lo, s3
.LBB6_293:
	s_delay_alu instid0(SALU_CYCLE_1) | instskip(SKIP_3) | instid1(VALU_DEP_2)
	s_or_b32 exec_lo, exec_lo, s2
	v_dual_mul_f32 v62, v12, v31 :: v_dual_mov_b32 v31, 7
	v_mov_b32_e32 v61, 7
	s_mov_b32 s2, exec_lo
	v_cmpx_nle_f32_e64 0x40a00000, |v62|
	s_cbranch_execz .LBB6_305
; %bb.294:
	v_mov_b32_e32 v61, 6
	s_mov_b32 s3, exec_lo
	v_cmpx_nle_f32_e64 0x40600000, |v62|
	s_cbranch_execz .LBB6_304
; %bb.295:
	;; [unrolled: 5-line block ×5, first 2 shown]
	v_mov_b32_e32 v61, 2
	s_mov_b32 s9, exec_lo
	v_cmpx_nle_f32_e64 0x3f400000, |v62|
; %bb.299:
	v_cmp_le_f32_e64 s10, 0x3e800000, |v62|
	s_delay_alu instid0(VALU_DEP_1)
	v_cndmask_b32_e64 v61, 0, 1, s10
; %bb.300:
	s_or_b32 exec_lo, exec_lo, s9
.LBB6_301:
	s_delay_alu instid0(SALU_CYCLE_1)
	s_or_b32 exec_lo, exec_lo, s8
.LBB6_302:
	s_delay_alu instid0(SALU_CYCLE_1)
	s_or_b32 exec_lo, exec_lo, s7
.LBB6_303:
	s_delay_alu instid0(SALU_CYCLE_1)
	s_or_b32 exec_lo, exec_lo, s5
.LBB6_304:
	s_delay_alu instid0(SALU_CYCLE_1)
	s_or_b32 exec_lo, exec_lo, s3
.LBB6_305:
	s_delay_alu instid0(SALU_CYCLE_1) | instskip(SKIP_2) | instid1(VALU_DEP_1)
	s_or_b32 exec_lo, exec_lo, s2
	v_mul_f32_e32 v27, v12, v27
	s_mov_b32 s2, exec_lo
	v_cmpx_nle_f32_e64 0x40a00000, |v27|
	s_cbranch_execz .LBB6_317
; %bb.306:
	v_mov_b32_e32 v31, 6
	s_mov_b32 s3, exec_lo
	v_cmpx_nle_f32_e64 0x40600000, |v27|
	s_cbranch_execz .LBB6_316
; %bb.307:
	v_mov_b32_e32 v31, 5
	;; [unrolled: 5-line block ×5, first 2 shown]
	s_mov_b32 s9, exec_lo
	v_cmpx_nle_f32_e64 0x3f400000, |v27|
; %bb.311:
	v_cmp_le_f32_e64 s10, 0x3e800000, |v27|
	s_delay_alu instid0(VALU_DEP_1)
	v_cndmask_b32_e64 v31, 0, 1, s10
; %bb.312:
	s_or_b32 exec_lo, exec_lo, s9
.LBB6_313:
	s_delay_alu instid0(SALU_CYCLE_1)
	s_or_b32 exec_lo, exec_lo, s8
.LBB6_314:
	s_delay_alu instid0(SALU_CYCLE_1)
	s_or_b32 exec_lo, exec_lo, s7
.LBB6_315:
	s_delay_alu instid0(SALU_CYCLE_1)
	s_or_b32 exec_lo, exec_lo, s5
.LBB6_316:
	s_delay_alu instid0(SALU_CYCLE_1)
	s_or_b32 exec_lo, exec_lo, s3
.LBB6_317:
	s_delay_alu instid0(SALU_CYCLE_1) | instskip(SKIP_3) | instid1(VALU_DEP_2)
	s_or_b32 exec_lo, exec_lo, s2
	v_dual_mul_f32 v64, v12, v25 :: v_dual_mov_b32 v25, 7
	v_mov_b32_e32 v63, 7
	s_mov_b32 s2, exec_lo
	v_cmpx_nle_f32_e64 0x40a00000, |v64|
	s_cbranch_execz .LBB6_329
; %bb.318:
	v_mov_b32_e32 v63, 6
	s_mov_b32 s3, exec_lo
	v_cmpx_nle_f32_e64 0x40600000, |v64|
	s_cbranch_execz .LBB6_328
; %bb.319:
	;; [unrolled: 5-line block ×5, first 2 shown]
	v_mov_b32_e32 v63, 2
	s_mov_b32 s9, exec_lo
	v_cmpx_nle_f32_e64 0x3f400000, |v64|
; %bb.323:
	v_cmp_le_f32_e64 s10, 0x3e800000, |v64|
	s_delay_alu instid0(VALU_DEP_1)
	v_cndmask_b32_e64 v63, 0, 1, s10
; %bb.324:
	s_or_b32 exec_lo, exec_lo, s9
.LBB6_325:
	s_delay_alu instid0(SALU_CYCLE_1)
	s_or_b32 exec_lo, exec_lo, s8
.LBB6_326:
	s_delay_alu instid0(SALU_CYCLE_1)
	s_or_b32 exec_lo, exec_lo, s7
.LBB6_327:
	s_delay_alu instid0(SALU_CYCLE_1)
	s_or_b32 exec_lo, exec_lo, s5
.LBB6_328:
	s_delay_alu instid0(SALU_CYCLE_1)
	s_or_b32 exec_lo, exec_lo, s3
.LBB6_329:
	s_delay_alu instid0(SALU_CYCLE_1) | instskip(SKIP_2) | instid1(VALU_DEP_1)
	s_or_b32 exec_lo, exec_lo, s2
	v_mul_f32_e32 v21, v12, v21
	s_mov_b32 s2, exec_lo
	v_cmpx_nle_f32_e64 0x40a00000, |v21|
	s_cbranch_execz .LBB6_341
; %bb.330:
	v_mov_b32_e32 v25, 6
	s_mov_b32 s3, exec_lo
	v_cmpx_nle_f32_e64 0x40600000, |v21|
	s_cbranch_execz .LBB6_340
; %bb.331:
	v_mov_b32_e32 v25, 5
	;; [unrolled: 5-line block ×5, first 2 shown]
	s_mov_b32 s9, exec_lo
	v_cmpx_nle_f32_e64 0x3f400000, |v21|
; %bb.335:
	v_cmp_le_f32_e64 s10, 0x3e800000, |v21|
	s_delay_alu instid0(VALU_DEP_1)
	v_cndmask_b32_e64 v25, 0, 1, s10
; %bb.336:
	s_or_b32 exec_lo, exec_lo, s9
.LBB6_337:
	s_delay_alu instid0(SALU_CYCLE_1)
	s_or_b32 exec_lo, exec_lo, s8
.LBB6_338:
	s_delay_alu instid0(SALU_CYCLE_1)
	s_or_b32 exec_lo, exec_lo, s7
.LBB6_339:
	s_delay_alu instid0(SALU_CYCLE_1)
	s_or_b32 exec_lo, exec_lo, s5
.LBB6_340:
	s_delay_alu instid0(SALU_CYCLE_1)
	s_or_b32 exec_lo, exec_lo, s3
.LBB6_341:
	s_delay_alu instid0(SALU_CYCLE_1) | instskip(SKIP_3) | instid1(VALU_DEP_2)
	s_or_b32 exec_lo, exec_lo, s2
	v_dual_mul_f32 v65, v12, v19 :: v_dual_mov_b32 v66, 7
	v_mov_b32_e32 v19, 7
	s_mov_b32 s2, exec_lo
	v_cmpx_nle_f32_e64 0x40a00000, |v65|
	s_cbranch_execz .LBB6_353
; %bb.342:
	v_mov_b32_e32 v66, 6
	s_mov_b32 s3, exec_lo
	v_cmpx_nle_f32_e64 0x40600000, |v65|
	s_cbranch_execz .LBB6_352
; %bb.343:
	;; [unrolled: 5-line block ×5, first 2 shown]
	v_mov_b32_e32 v66, 2
	s_mov_b32 s9, exec_lo
	v_cmpx_nle_f32_e64 0x3f400000, |v65|
; %bb.347:
	v_cmp_le_f32_e64 s10, 0x3e800000, |v65|
	s_delay_alu instid0(VALU_DEP_1)
	v_cndmask_b32_e64 v66, 0, 1, s10
; %bb.348:
	s_or_b32 exec_lo, exec_lo, s9
.LBB6_349:
	s_delay_alu instid0(SALU_CYCLE_1)
	s_or_b32 exec_lo, exec_lo, s8
.LBB6_350:
	s_delay_alu instid0(SALU_CYCLE_1)
	s_or_b32 exec_lo, exec_lo, s7
.LBB6_351:
	s_delay_alu instid0(SALU_CYCLE_1)
	s_or_b32 exec_lo, exec_lo, s5
.LBB6_352:
	s_delay_alu instid0(SALU_CYCLE_1)
	s_or_b32 exec_lo, exec_lo, s3
.LBB6_353:
	s_delay_alu instid0(SALU_CYCLE_1) | instskip(SKIP_2) | instid1(VALU_DEP_1)
	s_or_b32 exec_lo, exec_lo, s2
	v_mul_f32_e32 v15, v12, v15
	s_mov_b32 s2, exec_lo
	v_cmpx_nle_f32_e64 0x40a00000, |v15|
	s_cbranch_execz .LBB6_365
; %bb.354:
	v_mov_b32_e32 v19, 6
	s_mov_b32 s3, exec_lo
	v_cmpx_nle_f32_e64 0x40600000, |v15|
	s_cbranch_execz .LBB6_364
; %bb.355:
	v_mov_b32_e32 v19, 5
	;; [unrolled: 5-line block ×5, first 2 shown]
	s_mov_b32 s9, exec_lo
	v_cmpx_nle_f32_e64 0x3f400000, |v15|
; %bb.359:
	v_cmp_le_f32_e64 s10, 0x3e800000, |v15|
	s_delay_alu instid0(VALU_DEP_1)
	v_cndmask_b32_e64 v19, 0, 1, s10
; %bb.360:
	s_or_b32 exec_lo, exec_lo, s9
.LBB6_361:
	s_delay_alu instid0(SALU_CYCLE_1)
	s_or_b32 exec_lo, exec_lo, s8
.LBB6_362:
	s_delay_alu instid0(SALU_CYCLE_1)
	s_or_b32 exec_lo, exec_lo, s7
.LBB6_363:
	s_delay_alu instid0(SALU_CYCLE_1)
	s_or_b32 exec_lo, exec_lo, s5
.LBB6_364:
	s_delay_alu instid0(SALU_CYCLE_1)
	s_or_b32 exec_lo, exec_lo, s3
.LBB6_365:
	s_delay_alu instid0(SALU_CYCLE_1) | instskip(SKIP_4) | instid1(VALU_DEP_2)
	s_or_b32 exec_lo, exec_lo, s2
	s_load_b64 s[2:3], s[0:1], 0x10
	v_dual_mul_f32 v67, v12, v13 :: v_dual_mov_b32 v68, 7
	v_mov_b32_e32 v13, 7
	s_mov_b32 s5, exec_lo
	v_cmpx_nle_f32_e64 0x40a00000, |v67|
	s_cbranch_execz .LBB6_377
; %bb.366:
	v_mov_b32_e32 v68, 6
	s_mov_b32 s7, exec_lo
	v_cmpx_nle_f32_e64 0x40600000, |v67|
	s_cbranch_execz .LBB6_376
; %bb.367:
	v_mov_b32_e32 v68, 5
	s_mov_b32 s8, exec_lo
	v_cmpx_nle_f32_e64 0x40200000, |v67|
	s_cbranch_execz .LBB6_375
; %bb.368:
	v_mov_b32_e32 v68, 4
	s_mov_b32 s9, exec_lo
	v_cmpx_nle_f32_e64 0x3fe00000, |v67|
	s_cbranch_execz .LBB6_374
; %bb.369:
	v_mov_b32_e32 v68, 3
	s_mov_b32 s10, exec_lo
	v_cmpx_nle_f32_e64 0x3fa00000, |v67|
	s_cbranch_execz .LBB6_373
; %bb.370:
	v_mov_b32_e32 v68, 2
	s_mov_b32 s11, exec_lo
	v_cmpx_nle_f32_e64 0x3f400000, |v67|
; %bb.371:
	v_cmp_le_f32_e64 s12, 0x3e800000, |v67|
	s_delay_alu instid0(VALU_DEP_1)
	v_cndmask_b32_e64 v68, 0, 1, s12
; %bb.372:
	s_or_b32 exec_lo, exec_lo, s11
.LBB6_373:
	s_delay_alu instid0(SALU_CYCLE_1)
	s_or_b32 exec_lo, exec_lo, s10
.LBB6_374:
	s_delay_alu instid0(SALU_CYCLE_1)
	s_or_b32 exec_lo, exec_lo, s9
.LBB6_375:
	s_delay_alu instid0(SALU_CYCLE_1)
	s_or_b32 exec_lo, exec_lo, s8
.LBB6_376:
	s_delay_alu instid0(SALU_CYCLE_1)
	s_or_b32 exec_lo, exec_lo, s7
.LBB6_377:
	s_delay_alu instid0(SALU_CYCLE_1) | instskip(SKIP_3) | instid1(VALU_DEP_1)
	s_or_b32 exec_lo, exec_lo, s5
	s_load_b64 s[0:1], s[0:1], 0x8
	v_mul_f32_e32 v8, v12, v8
	s_mov_b32 s5, exec_lo
	v_cmpx_nle_f32_e64 0x40a00000, |v8|
	s_cbranch_execz .LBB6_389
; %bb.378:
	v_mov_b32_e32 v13, 6
	s_mov_b32 s7, exec_lo
	v_cmpx_nle_f32_e64 0x40600000, |v8|
	s_cbranch_execz .LBB6_388
; %bb.379:
	v_mov_b32_e32 v13, 5
	;; [unrolled: 5-line block ×5, first 2 shown]
	s_mov_b32 s11, exec_lo
	v_cmpx_nle_f32_e64 0x3f400000, |v8|
; %bb.383:
	v_cmp_le_f32_e64 s12, 0x3e800000, |v8|
	s_delay_alu instid0(VALU_DEP_1)
	v_cndmask_b32_e64 v13, 0, 1, s12
; %bb.384:
	s_or_b32 exec_lo, exec_lo, s11
.LBB6_385:
	s_delay_alu instid0(SALU_CYCLE_1)
	s_or_b32 exec_lo, exec_lo, s10
.LBB6_386:
	s_delay_alu instid0(SALU_CYCLE_1)
	s_or_b32 exec_lo, exec_lo, s9
.LBB6_387:
	s_delay_alu instid0(SALU_CYCLE_1)
	s_or_b32 exec_lo, exec_lo, s8
.LBB6_388:
	s_delay_alu instid0(SALU_CYCLE_1)
	s_or_b32 exec_lo, exec_lo, s7
.LBB6_389:
	s_delay_alu instid0(SALU_CYCLE_1)
	s_or_b32 exec_lo, exec_lo, s5
	v_cmp_gt_f32_e32 vcc_lo, 0, v67
	v_lshlrev_b16 v6, 4, v6
	v_lshlrev_b16 v25, 4, v25
	;; [unrolled: 1-line block ×4, first 2 shown]
	v_cndmask_b32_e64 v12, 0, 1, vcc_lo
	v_cmp_gt_f32_e32 vcc_lo, 0, v65
	s_lshr_b32 s5, s4, 31
	s_delay_alu instid0(SALU_CYCLE_1) | instskip(NEXT) | instid1(VALU_DEP_2)
	s_add_i32 s4, s4, s5
	v_lshlrev_b16 v12, 3, v12
	v_cndmask_b32_e64 v65, 0, 1, vcc_lo
	v_cmp_gt_f32_e32 vcc_lo, 0, v64
	s_ashr_i32 s4, s4, 1
	s_delay_alu instid0(SALU_CYCLE_1) | instskip(NEXT) | instid1(VALU_DEP_2)
	s_ashr_i32 s5, s4, 31
	v_lshlrev_b16 v65, 3, v65
	v_cndmask_b32_e64 v64, 0, 1, vcc_lo
	v_cmp_gt_f32_e32 vcc_lo, 0, v62
	v_or_b32_e32 v12, v12, v68
	v_mul_lo_u32 v1, v1, s4
	v_or_b32_e32 v65, v65, v66
	v_lshlrev_b16 v64, 3, v64
	v_cndmask_b32_e64 v62, 0, 1, vcc_lo
	v_cmp_gt_f32_e32 vcc_lo, 0, v60
	s_delay_alu instid0(VALU_DEP_3) | instskip(NEXT) | instid1(VALU_DEP_3)
	v_or_b32_e32 v63, v64, v63
	v_lshlrev_b16 v62, 3, v62
	v_cndmask_b32_e64 v60, 0, 1, vcc_lo
	v_cmp_gt_f32_e32 vcc_lo, 0, v58
	s_delay_alu instid0(VALU_DEP_3) | instskip(NEXT) | instid1(VALU_DEP_3)
	;; [unrolled: 5-line block ×10, first 2 shown]
	v_or_b32_e32 v29, v29, v30
	v_lshlrev_b16 v24, 3, v24
	v_cndmask_b32_e64 v18, 0, 1, vcc_lo
	v_cmp_gt_f32_e32 vcc_lo, 0, v5
	s_delay_alu instid0(VALU_DEP_2) | instskip(SKIP_2) | instid1(VALU_DEP_2)
	v_lshlrev_b16 v18, 3, v18
	v_cndmask_b32_e64 v5, 0, 1, vcc_lo
	v_cmp_gt_f32_e32 vcc_lo, 0, v7
	v_lshlrev_b16 v5, 3, v5
	v_cndmask_b32_e64 v7, 0, 1, vcc_lo
	v_cmp_gt_f32_e32 vcc_lo, 0, v10
	s_delay_alu instid0(VALU_DEP_3) | instskip(NEXT) | instid1(VALU_DEP_3)
	v_or_b32_e32 v4, v5, v4
	v_lshlrev_b16 v7, 7, v7
	v_cndmask_b32_e64 v10, 0, 1, vcc_lo
	v_cmp_gt_f32_e32 vcc_lo, 0, v14
	s_delay_alu instid0(VALU_DEP_3)
	v_or_b32_e32 v5, v7, v6
	v_lshlrev_b16 v6, 4, v11
	v_cndmask_b32_e64 v14, 0, 1, vcc_lo
	v_cmp_gt_f32_e32 vcc_lo, 0, v20
	v_lshlrev_b16 v10, 3, v10
	v_or_b32_e32 v4, v5, v4
	v_or_b32_e32 v11, v24, v23
	v_lshlrev_b16 v7, 7, v14
	v_or_b32_e32 v14, v18, v17
	v_or_b32_e32 v9, v10, v9
	v_lshlrev_b16 v10, 4, v22
	v_lshlrev_b16 v22, 4, v34
	v_or_b32_e32 v5, v7, v6
	v_cndmask_b32_e64 v6, 0, 1, vcc_lo
	v_cmp_gt_f32_e32 vcc_lo, 0, v26
	v_lshlrev_b16 v23, 4, v40
	s_delay_alu instid0(VALU_DEP_4)
	v_or_b32_e32 v9, v5, v9
	v_lshlrev_b16 v5, 4, v16
	v_cndmask_b32_e64 v7, 0, 1, vcc_lo
	v_cmp_gt_f32_e32 vcc_lo, 0, v32
	v_lshlrev_b16 v6, 7, v6
	v_lshlrev_b16 v16, 4, v28
	;; [unrolled: 1-line block ×4, first 2 shown]
	v_cndmask_b32_e64 v17, 0, 1, vcc_lo
	v_cmp_gt_f32_e32 vcc_lo, 0, v38
	v_or_b32_e32 v5, v6, v5
	v_or_b32_e32 v4, v4, v9
	;; [unrolled: 1-line block ×3, first 2 shown]
	v_lshlrev_b16 v17, 7, v17
	v_cndmask_b32_e64 v18, 0, 1, vcc_lo
	v_cmp_gt_f32_e32 vcc_lo, 0, v42
	v_or_b32_e32 v14, v5, v14
	v_or_b32_e32 v11, v6, v11
	v_or_b32_e32 v7, v17, v16
	v_lshlrev_b16 v18, 7, v18
	v_cndmask_b32_e64 v20, 0, 1, vcc_lo
	v_cmp_gt_f32_e32 vcc_lo, 0, v51
	v_lshlrev_b16 v6, 4, v52
	v_lshlrev_b16 v5, 4, v46
	v_or_b32_e32 v10, v18, v22
	v_lshlrev_b16 v20, 7, v20
	v_cndmask_b32_e64 v17, 0, 1, vcc_lo
	v_cmp_gt_f32_e32 vcc_lo, 0, v45
	v_lshlrev_b16 v22, 4, v48
	v_or_b32_e32 v10, v10, v36
	v_or_b32_e32 v16, v20, v23
	v_lshlrev_b16 v17, 7, v17
	v_cndmask_b32_e64 v18, 0, 1, vcc_lo
	v_cmp_gt_f32_e32 vcc_lo, 0, v39
	v_lshlrev_b16 v23, 4, v41
	v_or_b32_e32 v7, v7, v29
	v_or_b32_e32 v6, v17, v6
	v_lshlrev_b16 v18, 7, v18
	v_cndmask_b32_e64 v20, 0, 1, vcc_lo
	v_cmp_gt_f32_e32 vcc_lo, 0, v47
	v_or_b32_e32 v16, v16, v43
	v_or_b32_e32 v6, v6, v53
	;; [unrolled: 1-line block ×3, first 2 shown]
	v_lshlrev_b16 v20, 7, v20
	v_cndmask_b32_e64 v24, 0, 1, vcc_lo
	v_cmp_gt_f32_e32 vcc_lo, 0, v33
	v_lshlrev_b16 v22, 4, v35
	v_or_b32_e32 v17, v17, v55
	v_or_b32_e32 v18, v20, v23
	v_lshlrev_b16 v23, 4, v31
	v_cndmask_b32_e64 v20, 0, 1, vcc_lo
	v_cmp_gt_f32_e32 vcc_lo, 0, v21
	v_lshlrev_b16 v17, 8, v17
	v_or_b32_e32 v18, v18, v57
	v_lshlrev_b16 v11, 8, v11
	v_lshlrev_b16 v20, 7, v20
	v_cndmask_b32_e64 v21, 0, 1, vcc_lo
	v_cmp_gt_f32_e32 vcc_lo, 0, v27
	v_or_b32_e32 v6, v6, v17
	s_delay_alu instid0(VALU_DEP_3) | instskip(SKIP_2) | instid1(VALU_DEP_3)
	v_lshlrev_b16 v21, 7, v21
	v_cndmask_b32_e64 v26, 0, 1, vcc_lo
	v_cmp_gt_f32_e32 vcc_lo, 0, v8
	v_or_b32_e32 v21, v21, v25
	s_delay_alu instid0(VALU_DEP_3) | instskip(SKIP_2) | instid1(VALU_DEP_2)
	v_lshlrev_b16 v26, 7, v26
	v_cndmask_b32_e64 v8, 0, 1, vcc_lo
	v_cmp_gt_f32_e32 vcc_lo, 0, v15
	v_lshlrev_b16 v8, 7, v8
	v_cndmask_b32_e64 v15, 0, 1, vcc_lo
	s_delay_alu instid0(VALU_DEP_2) | instskip(NEXT) | instid1(VALU_DEP_2)
	v_or_b32_e32 v8, v8, v13
	v_lshlrev_b16 v15, 7, v15
	v_or_b32_e32 v13, v20, v22
	v_or_b32_e32 v20, v26, v23
	s_delay_alu instid0(VALU_DEP_4) | instskip(NEXT) | instid1(VALU_DEP_4)
	v_or_b32_e32 v8, v8, v12
	v_or_b32_e32 v15, v15, v19
	;; [unrolled: 1-line block ×5, first 2 shown]
	v_lshlrev_b16 v8, 8, v8
	v_or_b32_e32 v15, v15, v65
	v_lshlrev_b16 v19, 8, v19
	v_lshlrev_b16 v12, 8, v12
	;; [unrolled: 1-line block ×3, first 2 shown]
	s_delay_alu instid0(VALU_DEP_4) | instskip(NEXT) | instid1(VALU_DEP_4)
	v_or_b32_e32 v8, v15, v8
	v_or_b32_e32 v13, v13, v19
	s_delay_alu instid0(VALU_DEP_4) | instskip(NEXT) | instid1(VALU_DEP_4)
	v_or_b32_e32 v12, v18, v12
	v_or_b32_e32 v5, v20, v5
	v_ashrrev_i32_e32 v18, 31, v0
	v_lshlrev_b32_e32 v8, 16, v8
	v_and_b32_e32 v13, 0xffff, v13
	v_and_b32_e32 v15, 0xffff, v6
	v_lshlrev_b32_e32 v12, 16, v12
	v_or_b32_e32 v17, v5, v49
	v_lshrrev_b32_e32 v19, 23, v3
	v_or_b32_e32 v6, v13, v8
	v_lshrrev_b32_e32 v8, 27, v18
	v_or_b32_e32 v5, v15, v12
	v_lshlrev_b16 v3, 8, v10
	v_lshlrev_b16 v10, 8, v17
	s_delay_alu instid0(VALU_DEP_4) | instskip(SKIP_1) | instid1(VALU_DEP_4)
	v_add_nc_u32_e32 v12, v0, v8
	v_or_b32_e32 v8, v14, v11
	v_or_b32_e32 v3, v7, v3
	s_delay_alu instid0(VALU_DEP_4)
	v_or_b32_e32 v7, v16, v10
	v_and_b32_e32 v10, 0xffff, v4
	v_and_b32_e32 v9, 0xffe0, v12
	v_lshlrev_b32_e32 v8, 16, v8
	v_and_b32_e32 v3, 0xffff, v3
	v_lshlrev_b32_e32 v7, 16, v7
	v_lshrrev_b32_e32 v11, 28, v18
	v_sub_nc_u32_e32 v9, v0, v9
	v_lshlrev_b32_e32 v14, 8, v2
	s_delay_alu instid0(VALU_DEP_4) | instskip(SKIP_1) | instid1(VALU_DEP_4)
	v_or_b32_e32 v4, v3, v7
	v_or_b32_e32 v3, v10, v8
	v_bfe_i32 v7, v9, 0, 8
	v_lshlrev_b32_e32 v8, 4, v0
	v_and_b32_e32 v10, -16, v0
	v_add_nc_u32_e32 v11, v0, v11
	s_delay_alu instid0(VALU_DEP_4) | instskip(NEXT) | instid1(VALU_DEP_4)
	v_lshrrev_b16 v7, 11, v7
	v_and_b32_e32 v13, 0xf0, v8
	s_delay_alu instid0(VALU_DEP_4) | instskip(NEXT) | instid1(VALU_DEP_4)
	v_mul_lo_u32 v15, v10, s5
	v_and_b32_e32 v11, 0x3ffffff0, v11
	s_delay_alu instid0(VALU_DEP_4)
	v_and_b32_e32 v16, 15, v7
	s_waitcnt lgkmcnt(0)
	v_mad_u64_u32 v[7:8], null, v10, s4, s[0:1]
	v_lshrrev_b32_e32 v10, 5, v12
	v_lshlrev_b32_e32 v12, 6, v2
	v_add_nc_u16 v9, v9, v16
	v_sub_nc_u32_e32 v0, v0, v11
	v_and_b32_e32 v16, 0x3fffff8, v2
	v_mul_lo_u32 v10, v10, s6
	v_and_b32_e32 v12, 0xc0, v12
	v_bfe_i32 v9, v9, 0, 8
	v_lshrrev_b32_e32 v2, 1, v2
	v_add3_u32 v1, v1, v8, v15
	v_and_b32_e32 v11, 0x7ffffe00, v14
	v_lshl_add_u32 v0, v0, 2, v12
	v_ashrrev_i16 v9, 4, v9
	v_add_lshl_u32 v8, v10, v16, 5
	v_and_b32_e32 v12, 0x100, v14
	s_delay_alu instid0(VALU_DEP_4) | instskip(NEXT) | instid1(VALU_DEP_4)
	v_and_or_b32 v0, v2, 2, v0
	v_bfe_i32 v9, v9, 0, 16
	v_add_co_u32 v2, vcc_lo, v7, v13
	v_add_co_ci_u32_e32 v1, vcc_lo, 0, v1, vcc_lo
	s_delay_alu instid0(VALU_DEP_3) | instskip(NEXT) | instid1(VALU_DEP_3)
	v_add3_u32 v7, v0, v8, v9
	v_add_co_u32 v0, vcc_lo, v2, v11
	s_delay_alu instid0(VALU_DEP_3) | instskip(NEXT) | instid1(VALU_DEP_3)
	v_add_co_ci_u32_e32 v1, vcc_lo, 0, v1, vcc_lo
	v_ashrrev_i32_e32 v2, 31, v7
	s_delay_alu instid0(VALU_DEP_3) | instskip(NEXT) | instid1(VALU_DEP_3)
	v_add_co_u32 v0, vcc_lo, v0, v12
	v_add_co_ci_u32_e32 v1, vcc_lo, 0, v1, vcc_lo
	v_add_co_u32 v7, vcc_lo, s2, v7
	s_delay_alu instid0(VALU_DEP_4)
	v_add_co_ci_u32_e32 v8, vcc_lo, s3, v2, vcc_lo
	global_store_b128 v[0:1], v[3:6], off
	global_store_b8 v[7:8], v19, off
.LBB6_390:
	s_nop 0
	s_sendmsg sendmsg(MSG_DEALLOC_VGPRS)
	s_endpgm
	.section	.rodata,"a",@progbits
	.p2align	6, 0x0
	.amdhsa_kernel _ZN5aiter18quant_mxfp4_kernelI6__halfLNS_16MxScaleRoundModeE1ELb1ELb0ELb1EEEvPKT_PhPfliiib
		.amdhsa_group_segment_fixed_size 0
		.amdhsa_private_segment_fixed_size 0
		.amdhsa_kernarg_size 304
		.amdhsa_user_sgpr_count 15
		.amdhsa_user_sgpr_dispatch_ptr 0
		.amdhsa_user_sgpr_queue_ptr 0
		.amdhsa_user_sgpr_kernarg_segment_ptr 1
		.amdhsa_user_sgpr_dispatch_id 0
		.amdhsa_user_sgpr_private_segment_size 0
		.amdhsa_wavefront_size32 1
		.amdhsa_uses_dynamic_stack 0
		.amdhsa_enable_private_segment 0
		.amdhsa_system_sgpr_workgroup_id_x 1
		.amdhsa_system_sgpr_workgroup_id_y 0
		.amdhsa_system_sgpr_workgroup_id_z 0
		.amdhsa_system_sgpr_workgroup_info 0
		.amdhsa_system_vgpr_workitem_id 0
		.amdhsa_next_free_vgpr 69
		.amdhsa_next_free_sgpr 16
		.amdhsa_reserve_vcc 1
		.amdhsa_float_round_mode_32 0
		.amdhsa_float_round_mode_16_64 0
		.amdhsa_float_denorm_mode_32 3
		.amdhsa_float_denorm_mode_16_64 3
		.amdhsa_dx10_clamp 1
		.amdhsa_ieee_mode 1
		.amdhsa_fp16_overflow 0
		.amdhsa_workgroup_processor_mode 1
		.amdhsa_memory_ordered 1
		.amdhsa_forward_progress 0
		.amdhsa_shared_vgpr_count 0
		.amdhsa_exception_fp_ieee_invalid_op 0
		.amdhsa_exception_fp_denorm_src 0
		.amdhsa_exception_fp_ieee_div_zero 0
		.amdhsa_exception_fp_ieee_overflow 0
		.amdhsa_exception_fp_ieee_underflow 0
		.amdhsa_exception_fp_ieee_inexact 0
		.amdhsa_exception_int_div_zero 0
	.end_amdhsa_kernel
	.section	.text._ZN5aiter18quant_mxfp4_kernelI6__halfLNS_16MxScaleRoundModeE1ELb1ELb0ELb1EEEvPKT_PhPfliiib,"axG",@progbits,_ZN5aiter18quant_mxfp4_kernelI6__halfLNS_16MxScaleRoundModeE1ELb1ELb0ELb1EEEvPKT_PhPfliiib,comdat
.Lfunc_end6:
	.size	_ZN5aiter18quant_mxfp4_kernelI6__halfLNS_16MxScaleRoundModeE1ELb1ELb0ELb1EEEvPKT_PhPfliiib, .Lfunc_end6-_ZN5aiter18quant_mxfp4_kernelI6__halfLNS_16MxScaleRoundModeE1ELb1ELb0ELb1EEEvPKT_PhPfliiib
                                        ; -- End function
	.section	.AMDGPU.csdata,"",@progbits
; Kernel info:
; codeLenInByte = 10180
; NumSgprs: 18
; NumVgprs: 69
; ScratchSize: 0
; MemoryBound: 0
; FloatMode: 240
; IeeeMode: 1
; LDSByteSize: 0 bytes/workgroup (compile time only)
; SGPRBlocks: 2
; VGPRBlocks: 8
; NumSGPRsForWavesPerEU: 18
; NumVGPRsForWavesPerEU: 69
; Occupancy: 16
; WaveLimiterHint : 0
; COMPUTE_PGM_RSRC2:SCRATCH_EN: 0
; COMPUTE_PGM_RSRC2:USER_SGPR: 15
; COMPUTE_PGM_RSRC2:TRAP_HANDLER: 0
; COMPUTE_PGM_RSRC2:TGID_X_EN: 1
; COMPUTE_PGM_RSRC2:TGID_Y_EN: 0
; COMPUTE_PGM_RSRC2:TGID_Z_EN: 0
; COMPUTE_PGM_RSRC2:TIDIG_COMP_CNT: 0
	.section	.text._ZN5aiter18quant_mxfp4_kernelI6__halfLNS_16MxScaleRoundModeE1ELb1ELb0ELb0EEEvPKT_PhPfliiib,"axG",@progbits,_ZN5aiter18quant_mxfp4_kernelI6__halfLNS_16MxScaleRoundModeE1ELb1ELb0ELb0EEEvPKT_PhPfliiib,comdat
	.protected	_ZN5aiter18quant_mxfp4_kernelI6__halfLNS_16MxScaleRoundModeE1ELb1ELb0ELb0EEEvPKT_PhPfliiib ; -- Begin function _ZN5aiter18quant_mxfp4_kernelI6__halfLNS_16MxScaleRoundModeE1ELb1ELb0ELb0EEEvPKT_PhPfliiib
	.globl	_ZN5aiter18quant_mxfp4_kernelI6__halfLNS_16MxScaleRoundModeE1ELb1ELb0ELb0EEEvPKT_PhPfliiib
	.p2align	8
	.type	_ZN5aiter18quant_mxfp4_kernelI6__halfLNS_16MxScaleRoundModeE1ELb1ELb0ELb0EEEvPKT_PhPfliiib,@function
_ZN5aiter18quant_mxfp4_kernelI6__halfLNS_16MxScaleRoundModeE1ELb1ELb0ELb0EEEvPKT_PhPfliiib: ; @_ZN5aiter18quant_mxfp4_kernelI6__halfLNS_16MxScaleRoundModeE1ELb1ELb0ELb0EEEvPKT_PhPfliiib
; %bb.0:
	s_clause 0x1
	s_load_b32 s2, s[0:1], 0x3c
	s_load_b128 s[4:7], s[0:1], 0x20
	v_mov_b32_e32 v1, 0
	s_mov_b32 s3, exec_lo
	s_delay_alu instid0(VALU_DEP_1) | instskip(SKIP_2) | instid1(SALU_CYCLE_1)
	v_mov_b32_e32 v4, v1
	s_waitcnt lgkmcnt(0)
	s_and_b32 s2, s2, 0xffff
	v_mad_u64_u32 v[2:3], null, s2, s15, v[0:1]
	s_ashr_i32 s2, s6, 31
                                        ; implicit-def: $vgpr0_vgpr1
	s_delay_alu instid0(VALU_DEP_1) | instid1(SALU_CYCLE_1)
	v_or_b32_e32 v5, s2, v3
	s_delay_alu instid0(VALU_DEP_1)
	v_cmpx_ne_u64_e32 0, v[4:5]
	s_xor_b32 s3, exec_lo, s3
	s_cbranch_execz .LBB7_2
; %bb.1:
	s_add_u32 s10, s6, s2
	s_mov_b32 s8, s2
	s_mov_b32 s9, s2
	s_addc_u32 s11, s2, s2
	s_delay_alu instid0(SALU_CYCLE_1) | instskip(NEXT) | instid1(SALU_CYCLE_1)
	s_xor_b64 s[10:11], s[10:11], s[8:9]
	v_cvt_f32_u32_e32 v0, s10
	v_cvt_f32_u32_e32 v1, s11
	s_sub_u32 s2, 0, s10
	s_subb_u32 s7, 0, s11
	s_delay_alu instid0(VALU_DEP_1) | instskip(NEXT) | instid1(VALU_DEP_1)
	v_fmamk_f32 v0, v1, 0x4f800000, v0
	v_rcp_f32_e32 v0, v0
	s_waitcnt_depctr 0xfff
	v_mul_f32_e32 v0, 0x5f7ffffc, v0
	s_delay_alu instid0(VALU_DEP_1) | instskip(NEXT) | instid1(VALU_DEP_1)
	v_mul_f32_e32 v1, 0x2f800000, v0
	v_trunc_f32_e32 v1, v1
	s_delay_alu instid0(VALU_DEP_1) | instskip(SKIP_1) | instid1(VALU_DEP_2)
	v_fmamk_f32 v0, v1, 0xcf800000, v0
	v_cvt_u32_f32_e32 v1, v1
	v_cvt_u32_f32_e32 v0, v0
	s_delay_alu instid0(VALU_DEP_2) | instskip(NEXT) | instid1(VALU_DEP_2)
	v_mul_lo_u32 v4, s2, v1
	v_mul_hi_u32 v5, s2, v0
	v_mul_lo_u32 v6, s7, v0
	s_delay_alu instid0(VALU_DEP_2) | instskip(SKIP_1) | instid1(VALU_DEP_2)
	v_add_nc_u32_e32 v4, v5, v4
	v_mul_lo_u32 v5, s2, v0
	v_add_nc_u32_e32 v4, v4, v6
	s_delay_alu instid0(VALU_DEP_2) | instskip(NEXT) | instid1(VALU_DEP_2)
	v_mul_hi_u32 v6, v0, v5
	v_mul_lo_u32 v7, v0, v4
	v_mul_hi_u32 v8, v0, v4
	v_mul_hi_u32 v9, v1, v5
	v_mul_lo_u32 v5, v1, v5
	v_mul_hi_u32 v10, v1, v4
	v_mul_lo_u32 v4, v1, v4
	v_add_co_u32 v6, vcc_lo, v6, v7
	v_add_co_ci_u32_e32 v7, vcc_lo, 0, v8, vcc_lo
	s_delay_alu instid0(VALU_DEP_2) | instskip(NEXT) | instid1(VALU_DEP_2)
	v_add_co_u32 v5, vcc_lo, v6, v5
	v_add_co_ci_u32_e32 v5, vcc_lo, v7, v9, vcc_lo
	v_add_co_ci_u32_e32 v6, vcc_lo, 0, v10, vcc_lo
	v_ashrrev_i32_e32 v9, 31, v3
	s_delay_alu instid0(VALU_DEP_3) | instskip(NEXT) | instid1(VALU_DEP_3)
	v_add_co_u32 v4, vcc_lo, v5, v4
	v_add_co_ci_u32_e32 v5, vcc_lo, 0, v6, vcc_lo
	s_delay_alu instid0(VALU_DEP_2) | instskip(NEXT) | instid1(VALU_DEP_2)
	v_add_co_u32 v0, vcc_lo, v0, v4
	v_add_co_ci_u32_e32 v1, vcc_lo, v1, v5, vcc_lo
	s_delay_alu instid0(VALU_DEP_2) | instskip(SKIP_1) | instid1(VALU_DEP_3)
	v_mul_hi_u32 v4, s2, v0
	v_mul_lo_u32 v6, s7, v0
	v_mul_lo_u32 v5, s2, v1
	s_delay_alu instid0(VALU_DEP_1) | instskip(SKIP_1) | instid1(VALU_DEP_2)
	v_add_nc_u32_e32 v4, v4, v5
	v_mul_lo_u32 v5, s2, v0
	v_add_nc_u32_e32 v4, v4, v6
	s_delay_alu instid0(VALU_DEP_2) | instskip(NEXT) | instid1(VALU_DEP_2)
	v_mul_hi_u32 v6, v0, v5
	v_mul_lo_u32 v7, v0, v4
	v_mul_hi_u32 v8, v0, v4
	v_mul_hi_u32 v10, v1, v5
	v_mul_lo_u32 v5, v1, v5
	v_mul_hi_u32 v11, v1, v4
	v_mul_lo_u32 v4, v1, v4
	v_add_co_u32 v6, vcc_lo, v6, v7
	v_add_co_ci_u32_e32 v7, vcc_lo, 0, v8, vcc_lo
	s_delay_alu instid0(VALU_DEP_2) | instskip(NEXT) | instid1(VALU_DEP_2)
	v_add_co_u32 v5, vcc_lo, v6, v5
	v_add_co_ci_u32_e32 v5, vcc_lo, v7, v10, vcc_lo
	v_add_co_ci_u32_e32 v6, vcc_lo, 0, v11, vcc_lo
	v_add_co_u32 v7, vcc_lo, v2, v9
	v_add_co_ci_u32_e32 v3, vcc_lo, v3, v9, vcc_lo
	s_delay_alu instid0(VALU_DEP_4) | instskip(NEXT) | instid1(VALU_DEP_4)
	v_add_co_u32 v4, vcc_lo, v5, v4
	v_add_co_ci_u32_e32 v5, vcc_lo, 0, v6, vcc_lo
	s_delay_alu instid0(VALU_DEP_4) | instskip(NEXT) | instid1(VALU_DEP_3)
	v_xor_b32_e32 v7, v7, v9
	v_add_co_u32 v6, vcc_lo, v0, v4
	s_delay_alu instid0(VALU_DEP_3) | instskip(SKIP_1) | instid1(VALU_DEP_3)
	v_add_co_ci_u32_e32 v8, vcc_lo, v1, v5, vcc_lo
	v_xor_b32_e32 v10, v3, v9
	v_mul_hi_u32 v11, v7, v6
	s_delay_alu instid0(VALU_DEP_3) | instskip(NEXT) | instid1(VALU_DEP_3)
	v_mad_u64_u32 v[0:1], null, v7, v8, 0
	v_mad_u64_u32 v[3:4], null, v10, v6, 0
	;; [unrolled: 1-line block ×3, first 2 shown]
	s_delay_alu instid0(VALU_DEP_3) | instskip(NEXT) | instid1(VALU_DEP_4)
	v_add_co_u32 v0, vcc_lo, v11, v0
	v_add_co_ci_u32_e32 v1, vcc_lo, 0, v1, vcc_lo
	s_delay_alu instid0(VALU_DEP_2) | instskip(NEXT) | instid1(VALU_DEP_2)
	v_add_co_u32 v0, vcc_lo, v0, v3
	v_add_co_ci_u32_e32 v0, vcc_lo, v1, v4, vcc_lo
	v_add_co_ci_u32_e32 v1, vcc_lo, 0, v6, vcc_lo
	s_delay_alu instid0(VALU_DEP_2) | instskip(NEXT) | instid1(VALU_DEP_2)
	v_add_co_u32 v3, vcc_lo, v0, v5
	v_add_co_ci_u32_e32 v4, vcc_lo, 0, v1, vcc_lo
	s_delay_alu instid0(VALU_DEP_2) | instskip(SKIP_1) | instid1(VALU_DEP_3)
	v_mul_lo_u32 v5, s11, v3
	v_mad_u64_u32 v[0:1], null, s10, v3, 0
	v_mul_lo_u32 v6, s10, v4
	s_delay_alu instid0(VALU_DEP_2) | instskip(NEXT) | instid1(VALU_DEP_2)
	v_sub_co_u32 v0, vcc_lo, v7, v0
	v_add3_u32 v1, v1, v6, v5
	s_delay_alu instid0(VALU_DEP_1) | instskip(NEXT) | instid1(VALU_DEP_1)
	v_sub_nc_u32_e32 v5, v10, v1
	v_subrev_co_ci_u32_e64 v5, s2, s11, v5, vcc_lo
	v_add_co_u32 v6, s2, v3, 2
	s_delay_alu instid0(VALU_DEP_1) | instskip(SKIP_3) | instid1(VALU_DEP_3)
	v_add_co_ci_u32_e64 v7, s2, 0, v4, s2
	v_sub_co_u32 v8, s2, v0, s10
	v_sub_co_ci_u32_e32 v1, vcc_lo, v10, v1, vcc_lo
	v_subrev_co_ci_u32_e64 v5, s2, 0, v5, s2
	v_cmp_le_u32_e32 vcc_lo, s10, v8
	s_delay_alu instid0(VALU_DEP_3) | instskip(SKIP_1) | instid1(VALU_DEP_4)
	v_cmp_eq_u32_e64 s2, s11, v1
	v_cndmask_b32_e64 v8, 0, -1, vcc_lo
	v_cmp_le_u32_e32 vcc_lo, s11, v5
	v_cndmask_b32_e64 v10, 0, -1, vcc_lo
	v_cmp_le_u32_e32 vcc_lo, s10, v0
	;; [unrolled: 2-line block ×3, first 2 shown]
	v_cndmask_b32_e64 v11, 0, -1, vcc_lo
	v_cmp_eq_u32_e32 vcc_lo, s11, v5
	s_delay_alu instid0(VALU_DEP_2) | instskip(SKIP_3) | instid1(VALU_DEP_3)
	v_cndmask_b32_e64 v0, v11, v0, s2
	v_cndmask_b32_e32 v5, v10, v8, vcc_lo
	v_add_co_u32 v8, vcc_lo, v3, 1
	v_add_co_ci_u32_e32 v10, vcc_lo, 0, v4, vcc_lo
	v_cmp_ne_u32_e32 vcc_lo, 0, v5
	s_delay_alu instid0(VALU_DEP_2) | instskip(NEXT) | instid1(VALU_DEP_4)
	v_cndmask_b32_e32 v1, v10, v7, vcc_lo
	v_cndmask_b32_e32 v5, v8, v6, vcc_lo
	v_cmp_ne_u32_e32 vcc_lo, 0, v0
	v_xor_b32_e32 v0, s8, v9
	s_delay_alu instid0(VALU_DEP_3) | instskip(SKIP_2) | instid1(VALU_DEP_3)
	v_cndmask_b32_e32 v3, v3, v5, vcc_lo
	v_cndmask_b32_e32 v1, v4, v1, vcc_lo
	v_xor_b32_e32 v4, s9, v9
	v_xor_b32_e32 v3, v3, v0
	s_delay_alu instid0(VALU_DEP_2) | instskip(NEXT) | instid1(VALU_DEP_2)
	v_xor_b32_e32 v1, v1, v4
	v_sub_co_u32 v0, vcc_lo, v3, v0
	s_delay_alu instid0(VALU_DEP_2)
	v_sub_co_ci_u32_e32 v1, vcc_lo, v1, v4, vcc_lo
.LBB7_2:
	s_and_not1_saveexec_b32 s2, s3
	s_cbranch_execz .LBB7_4
; %bb.3:
	v_cvt_f32_u32_e32 v0, s6
	s_sub_i32 s3, 0, s6
	s_delay_alu instid0(VALU_DEP_1) | instskip(SKIP_2) | instid1(VALU_DEP_1)
	v_rcp_iflag_f32_e32 v0, v0
	s_waitcnt_depctr 0xfff
	v_mul_f32_e32 v0, 0x4f7ffffe, v0
	v_cvt_u32_f32_e32 v0, v0
	s_delay_alu instid0(VALU_DEP_1) | instskip(NEXT) | instid1(VALU_DEP_1)
	v_mul_lo_u32 v1, s3, v0
	v_mul_hi_u32 v1, v0, v1
	s_delay_alu instid0(VALU_DEP_1) | instskip(NEXT) | instid1(VALU_DEP_1)
	v_add_nc_u32_e32 v0, v0, v1
	v_mul_hi_u32 v0, v2, v0
	s_delay_alu instid0(VALU_DEP_1) | instskip(SKIP_1) | instid1(VALU_DEP_2)
	v_mul_lo_u32 v1, v0, s6
	v_add_nc_u32_e32 v3, 1, v0
	v_sub_nc_u32_e32 v1, v2, v1
	s_delay_alu instid0(VALU_DEP_1) | instskip(SKIP_1) | instid1(VALU_DEP_2)
	v_subrev_nc_u32_e32 v4, s6, v1
	v_cmp_le_u32_e32 vcc_lo, s6, v1
	v_dual_cndmask_b32 v1, v1, v4 :: v_dual_cndmask_b32 v0, v0, v3
	s_delay_alu instid0(VALU_DEP_1) | instskip(NEXT) | instid1(VALU_DEP_2)
	v_cmp_le_u32_e32 vcc_lo, s6, v1
	v_add_nc_u32_e32 v3, 1, v0
	s_delay_alu instid0(VALU_DEP_1)
	v_dual_mov_b32 v1, 0 :: v_dual_cndmask_b32 v0, v0, v3
.LBB7_4:
	s_or_b32 exec_lo, exec_lo, s2
	s_load_b64 s[2:3], s[0:1], 0x18
	s_delay_alu instid0(VALU_DEP_1) | instskip(NEXT) | instid1(VALU_DEP_1)
	v_mad_u64_u32 v[3:4], null, v0, s6, 0
	v_sub_co_u32 v2, null, v2, v3
	s_waitcnt lgkmcnt(0)
	v_cmp_gt_i64_e32 vcc_lo, s[2:3], v[0:1]
	s_delay_alu instid0(VALU_DEP_2) | instskip(NEXT) | instid1(VALU_DEP_1)
	v_cmp_gt_i32_e64 s2, s5, v2
	s_and_b32 s2, vcc_lo, s2
	s_delay_alu instid0(SALU_CYCLE_1)
	s_and_saveexec_b32 s3, s2
	s_cbranch_execz .LBB7_390
; %bb.5:
	s_ashr_i32 s5, s4, 31
	s_load_b64 s[2:3], s[0:1], 0x0
	v_mul_lo_u32 v5, v1, s4
	v_mad_u64_u32 v[3:4], null, v0, s4, 0
	v_mul_lo_u32 v6, v0, s5
	s_delay_alu instid0(VALU_DEP_1) | instskip(SKIP_1) | instid1(VALU_DEP_2)
	v_add3_u32 v4, v4, v6, v5
	v_dual_mov_b32 v6, 0 :: v_dual_lshlrev_b32 v5, 5, v2
	v_lshlrev_b64 v[3:4], 1, v[3:4]
	s_delay_alu instid0(VALU_DEP_2) | instskip(SKIP_1) | instid1(VALU_DEP_2)
	v_lshlrev_b64 v[5:6], 1, v[5:6]
	s_waitcnt lgkmcnt(0)
	v_add_co_u32 v3, vcc_lo, s2, v3
	s_delay_alu instid0(VALU_DEP_3) | instskip(SKIP_1) | instid1(VALU_DEP_2)
	v_add_co_ci_u32_e32 v4, vcc_lo, s3, v4, vcc_lo
	s_mov_b32 s2, exec_lo
	v_add_co_u32 v7, vcc_lo, v3, v5
	s_delay_alu instid0(VALU_DEP_2)
	v_add_co_ci_u32_e32 v8, vcc_lo, v4, v6, vcc_lo
	s_clause 0x3
	global_load_b128 v[3:6], v[7:8], off
	global_load_b128 v[10:13], v[7:8], off offset:16
	global_load_b128 v[52:55], v[7:8], off offset:32
	global_load_b128 v[56:59], v[7:8], off offset:48
	s_waitcnt vmcnt(3)
	v_lshrrev_b32_e32 v7, 16, v3
	v_cvt_f32_f16_e32 v17, v3
	v_lshrrev_b32_e32 v3, 16, v4
	v_cvt_f32_f16_e32 v9, v4
	;; [unrolled: 2-line block ×3, first 2 shown]
	v_cvt_f32_f16_e32 v16, v5
	v_cvt_f32_f16_e32 v14, v3
	v_lshrrev_b32_e32 v5, 16, v6
	v_cvt_f32_f16_e32 v20, v4
	v_max3_f32 v3, |v17|, 0, |v7|
	v_cvt_f32_f16_e32 v22, v6
	s_waitcnt vmcnt(2)
	v_lshrrev_b32_e32 v4, 16, v10
	v_cvt_f32_f16_e32 v26, v5
	v_cvt_f32_f16_e32 v28, v10
	v_max3_f32 v3, v3, |v9|, |v14|
	v_lshrrev_b32_e32 v5, 16, v11
	v_cvt_f32_f16_e32 v32, v4
	v_cvt_f32_f16_e32 v34, v11
	v_lshrrev_b32_e32 v4, 16, v12
	v_max3_f32 v3, v3, |v16|, |v20|
	v_cvt_f32_f16_e32 v37, v5
	v_cvt_f32_f16_e32 v40, v12
	v_lshrrev_b32_e32 v5, 16, v13
	v_cvt_f32_f16_e32 v42, v4
	v_max3_f32 v3, v3, |v22|, |v26|
	v_cvt_f32_f16_e32 v46, v13
	s_waitcnt vmcnt(1)
	v_lshrrev_b32_e32 v4, 16, v52
	v_cvt_f32_f16_e32 v47, v5
	v_cvt_f32_f16_e32 v51, v52
	v_max3_f32 v3, v3, |v28|, |v32|
	v_lshrrev_b32_e32 v5, 16, v53
	v_cvt_f32_f16_e32 v52, v4
	v_cvt_f32_f16_e32 v48, v53
	v_lshrrev_b32_e32 v4, 16, v54
	v_max3_f32 v3, v3, |v34|, |v37|
	v_cvt_f32_f16_e32 v45, v5
	v_cvt_f32_f16_e32 v41, v54
	v_lshrrev_b32_e32 v5, 16, v55
	v_cvt_f32_f16_e32 v39, v4
	v_max3_f32 v3, v3, |v40|, |v42|
	;; [unrolled: 16-line block ×3, first 2 shown]
	v_cvt_f32_f16_e32 v13, v59
	s_delay_alu instid0(VALU_DEP_4) | instskip(NEXT) | instid1(VALU_DEP_3)
	v_cvt_f32_f16_e32 v8, v5
	v_max3_f32 v3, v3, |v41|, |v39|
	s_delay_alu instid0(VALU_DEP_1) | instskip(NEXT) | instid1(VALU_DEP_1)
	v_max3_f32 v3, v3, |v35|, |v33|
	v_max3_f32 v3, v3, |v31|, |v27|
	s_delay_alu instid0(VALU_DEP_1) | instskip(NEXT) | instid1(VALU_DEP_1)
	v_max3_f32 v3, v3, |v25|, |v21|
	;; [unrolled: 3-line block ×3, first 2 shown]
	v_mul_f32_e32 v3, 0x3e2aaaab, v3
	s_delay_alu instid0(VALU_DEP_1) | instskip(SKIP_1) | instid1(VALU_DEP_2)
	v_and_b32_e32 v4, 0x7fffff, v3
	v_bfe_u32 v3, v3, 23, 8
	v_cmp_ne_u32_e32 vcc_lo, 0, v4
	s_delay_alu instid0(VALU_DEP_2) | instskip(SKIP_1) | instid1(VALU_DEP_2)
	v_add_co_ci_u32_e32 v4, vcc_lo, 0, v3, vcc_lo
	v_cmp_ne_u32_e32 vcc_lo, 0xff, v3
	v_lshlrev_b32_e32 v4, 23, v4
	s_delay_alu instid0(VALU_DEP_1) | instskip(NEXT) | instid1(VALU_DEP_1)
	v_cndmask_b32_e32 v3, 0x7f800000, v4, vcc_lo
	v_div_scale_f32 v4, null, v3, v3, 1.0
	v_div_scale_f32 v10, vcc_lo, 1.0, v3, 1.0
	s_delay_alu instid0(VALU_DEP_2) | instskip(SKIP_2) | instid1(VALU_DEP_1)
	v_rcp_f32_e32 v5, v4
	s_waitcnt_depctr 0xfff
	v_fma_f32 v6, -v4, v5, 1.0
	v_fmac_f32_e32 v5, v6, v5
	s_delay_alu instid0(VALU_DEP_1) | instskip(NEXT) | instid1(VALU_DEP_1)
	v_mul_f32_e32 v6, v10, v5
	v_fma_f32 v11, -v4, v6, v10
	s_delay_alu instid0(VALU_DEP_1) | instskip(NEXT) | instid1(VALU_DEP_1)
	v_fmac_f32_e32 v6, v11, v5
	v_fma_f32 v4, -v4, v6, v10
	s_delay_alu instid0(VALU_DEP_1) | instskip(SKIP_3) | instid1(VALU_DEP_4)
	v_div_fmas_f32 v4, v4, v5, v6
	v_mov_b32_e32 v5, 7
	v_cmp_neq_f32_e32 vcc_lo, 0, v3
	v_mov_b32_e32 v6, 7
	v_div_fixup_f32 v4, v4, v3, 1.0
	s_delay_alu instid0(VALU_DEP_1) | instskip(NEXT) | instid1(VALU_DEP_1)
	v_cndmask_b32_e32 v12, 0, v4, vcc_lo
	v_mul_f32_e32 v4, v12, v17
	s_delay_alu instid0(VALU_DEP_1)
	v_cmpx_nle_f32_e64 0x40a00000, |v4|
	s_cbranch_execz .LBB7_17
; %bb.6:
	v_mov_b32_e32 v5, 6
	s_mov_b32 s3, exec_lo
	v_cmpx_nle_f32_e64 0x40600000, |v4|
	s_cbranch_execz .LBB7_16
; %bb.7:
	v_mov_b32_e32 v5, 5
	s_mov_b32 s5, exec_lo
	;; [unrolled: 5-line block ×5, first 2 shown]
	v_cmpx_nle_f32_e64 0x3f400000, |v4|
; %bb.11:
	v_cmp_le_f32_e64 s10, 0x3e800000, |v4|
	s_delay_alu instid0(VALU_DEP_1)
	v_cndmask_b32_e64 v5, 0, 1, s10
; %bb.12:
	s_or_b32 exec_lo, exec_lo, s9
.LBB7_13:
	s_delay_alu instid0(SALU_CYCLE_1)
	s_or_b32 exec_lo, exec_lo, s8
.LBB7_14:
	s_delay_alu instid0(SALU_CYCLE_1)
	s_or_b32 exec_lo, exec_lo, s7
.LBB7_15:
	s_delay_alu instid0(SALU_CYCLE_1)
	s_or_b32 exec_lo, exec_lo, s5
.LBB7_16:
	s_delay_alu instid0(SALU_CYCLE_1)
	s_or_b32 exec_lo, exec_lo, s3
.LBB7_17:
	s_delay_alu instid0(SALU_CYCLE_1) | instskip(SKIP_2) | instid1(VALU_DEP_1)
	s_or_b32 exec_lo, exec_lo, s2
	v_mul_f32_e32 v7, v12, v7
	s_mov_b32 s2, exec_lo
	v_cmpx_nle_f32_e64 0x40a00000, |v7|
	s_cbranch_execz .LBB7_29
; %bb.18:
	v_mov_b32_e32 v6, 6
	s_mov_b32 s3, exec_lo
	v_cmpx_nle_f32_e64 0x40600000, |v7|
	s_cbranch_execz .LBB7_28
; %bb.19:
	v_mov_b32_e32 v6, 5
	;; [unrolled: 5-line block ×5, first 2 shown]
	s_mov_b32 s9, exec_lo
	v_cmpx_nle_f32_e64 0x3f400000, |v7|
; %bb.23:
	v_cmp_le_f32_e64 s10, 0x3e800000, |v7|
	s_delay_alu instid0(VALU_DEP_1)
	v_cndmask_b32_e64 v6, 0, 1, s10
; %bb.24:
	s_or_b32 exec_lo, exec_lo, s9
.LBB7_25:
	s_delay_alu instid0(SALU_CYCLE_1)
	s_or_b32 exec_lo, exec_lo, s8
.LBB7_26:
	s_delay_alu instid0(SALU_CYCLE_1)
	s_or_b32 exec_lo, exec_lo, s7
.LBB7_27:
	s_delay_alu instid0(SALU_CYCLE_1)
	s_or_b32 exec_lo, exec_lo, s5
.LBB7_28:
	s_delay_alu instid0(SALU_CYCLE_1)
	s_or_b32 exec_lo, exec_lo, s3
.LBB7_29:
	s_delay_alu instid0(SALU_CYCLE_1) | instskip(SKIP_3) | instid1(VALU_DEP_2)
	s_or_b32 exec_lo, exec_lo, s2
	v_dual_mul_f32 v10, v12, v9 :: v_dual_mov_b32 v9, 7
	v_mov_b32_e32 v11, 7
	s_mov_b32 s2, exec_lo
	v_cmpx_nle_f32_e64 0x40a00000, |v10|
	s_cbranch_execz .LBB7_41
; %bb.30:
	v_mov_b32_e32 v11, 6
	s_mov_b32 s3, exec_lo
	v_cmpx_nle_f32_e64 0x40600000, |v10|
	s_cbranch_execz .LBB7_40
; %bb.31:
	;; [unrolled: 5-line block ×5, first 2 shown]
	v_mov_b32_e32 v11, 2
	s_mov_b32 s9, exec_lo
	v_cmpx_nle_f32_e64 0x3f400000, |v10|
; %bb.35:
	v_cmp_le_f32_e64 s10, 0x3e800000, |v10|
	s_delay_alu instid0(VALU_DEP_1)
	v_cndmask_b32_e64 v11, 0, 1, s10
; %bb.36:
	s_or_b32 exec_lo, exec_lo, s9
.LBB7_37:
	s_delay_alu instid0(SALU_CYCLE_1)
	s_or_b32 exec_lo, exec_lo, s8
.LBB7_38:
	s_delay_alu instid0(SALU_CYCLE_1)
	s_or_b32 exec_lo, exec_lo, s7
.LBB7_39:
	s_delay_alu instid0(SALU_CYCLE_1)
	s_or_b32 exec_lo, exec_lo, s5
.LBB7_40:
	s_delay_alu instid0(SALU_CYCLE_1)
	s_or_b32 exec_lo, exec_lo, s3
.LBB7_41:
	s_delay_alu instid0(SALU_CYCLE_1) | instskip(SKIP_2) | instid1(VALU_DEP_1)
	s_or_b32 exec_lo, exec_lo, s2
	v_mul_f32_e32 v14, v12, v14
	s_mov_b32 s2, exec_lo
	v_cmpx_nle_f32_e64 0x40a00000, |v14|
	s_cbranch_execz .LBB7_53
; %bb.42:
	v_mov_b32_e32 v9, 6
	s_mov_b32 s3, exec_lo
	v_cmpx_nle_f32_e64 0x40600000, |v14|
	s_cbranch_execz .LBB7_52
; %bb.43:
	v_mov_b32_e32 v9, 5
	;; [unrolled: 5-line block ×5, first 2 shown]
	s_mov_b32 s9, exec_lo
	v_cmpx_nle_f32_e64 0x3f400000, |v14|
; %bb.47:
	v_cmp_le_f32_e64 s10, 0x3e800000, |v14|
	s_delay_alu instid0(VALU_DEP_1)
	v_cndmask_b32_e64 v9, 0, 1, s10
; %bb.48:
	s_or_b32 exec_lo, exec_lo, s9
.LBB7_49:
	s_delay_alu instid0(SALU_CYCLE_1)
	s_or_b32 exec_lo, exec_lo, s8
.LBB7_50:
	s_delay_alu instid0(SALU_CYCLE_1)
	s_or_b32 exec_lo, exec_lo, s7
.LBB7_51:
	s_delay_alu instid0(SALU_CYCLE_1)
	s_or_b32 exec_lo, exec_lo, s5
.LBB7_52:
	s_delay_alu instid0(SALU_CYCLE_1)
	s_or_b32 exec_lo, exec_lo, s3
.LBB7_53:
	s_delay_alu instid0(SALU_CYCLE_1) | instskip(SKIP_3) | instid1(VALU_DEP_2)
	s_or_b32 exec_lo, exec_lo, s2
	v_dual_mul_f32 v18, v12, v16 :: v_dual_mov_b32 v17, 7
	v_mov_b32_e32 v16, 7
	s_mov_b32 s2, exec_lo
	v_cmpx_nle_f32_e64 0x40a00000, |v18|
	s_cbranch_execz .LBB7_65
; %bb.54:
	v_mov_b32_e32 v17, 6
	s_mov_b32 s3, exec_lo
	v_cmpx_nle_f32_e64 0x40600000, |v18|
	s_cbranch_execz .LBB7_64
; %bb.55:
	;; [unrolled: 5-line block ×5, first 2 shown]
	v_mov_b32_e32 v17, 2
	s_mov_b32 s9, exec_lo
	v_cmpx_nle_f32_e64 0x3f400000, |v18|
; %bb.59:
	v_cmp_le_f32_e64 s10, 0x3e800000, |v18|
	s_delay_alu instid0(VALU_DEP_1)
	v_cndmask_b32_e64 v17, 0, 1, s10
; %bb.60:
	s_or_b32 exec_lo, exec_lo, s9
.LBB7_61:
	s_delay_alu instid0(SALU_CYCLE_1)
	s_or_b32 exec_lo, exec_lo, s8
.LBB7_62:
	s_delay_alu instid0(SALU_CYCLE_1)
	s_or_b32 exec_lo, exec_lo, s7
.LBB7_63:
	s_delay_alu instid0(SALU_CYCLE_1)
	s_or_b32 exec_lo, exec_lo, s5
.LBB7_64:
	s_delay_alu instid0(SALU_CYCLE_1)
	s_or_b32 exec_lo, exec_lo, s3
.LBB7_65:
	s_delay_alu instid0(SALU_CYCLE_1) | instskip(SKIP_2) | instid1(VALU_DEP_1)
	s_or_b32 exec_lo, exec_lo, s2
	v_mul_f32_e32 v20, v12, v20
	s_mov_b32 s2, exec_lo
	v_cmpx_nle_f32_e64 0x40a00000, |v20|
	s_cbranch_execz .LBB7_77
; %bb.66:
	v_mov_b32_e32 v16, 6
	s_mov_b32 s3, exec_lo
	v_cmpx_nle_f32_e64 0x40600000, |v20|
	s_cbranch_execz .LBB7_76
; %bb.67:
	v_mov_b32_e32 v16, 5
	;; [unrolled: 5-line block ×5, first 2 shown]
	s_mov_b32 s9, exec_lo
	v_cmpx_nle_f32_e64 0x3f400000, |v20|
; %bb.71:
	v_cmp_le_f32_e64 s10, 0x3e800000, |v20|
	s_delay_alu instid0(VALU_DEP_1)
	v_cndmask_b32_e64 v16, 0, 1, s10
; %bb.72:
	s_or_b32 exec_lo, exec_lo, s9
.LBB7_73:
	s_delay_alu instid0(SALU_CYCLE_1)
	s_or_b32 exec_lo, exec_lo, s8
.LBB7_74:
	s_delay_alu instid0(SALU_CYCLE_1)
	s_or_b32 exec_lo, exec_lo, s7
.LBB7_75:
	s_delay_alu instid0(SALU_CYCLE_1)
	s_or_b32 exec_lo, exec_lo, s5
.LBB7_76:
	s_delay_alu instid0(SALU_CYCLE_1)
	s_or_b32 exec_lo, exec_lo, s3
.LBB7_77:
	s_delay_alu instid0(SALU_CYCLE_1) | instskip(SKIP_3) | instid1(VALU_DEP_2)
	s_or_b32 exec_lo, exec_lo, s2
	v_dual_mul_f32 v24, v12, v22 :: v_dual_mov_b32 v23, 7
	v_mov_b32_e32 v22, 7
	s_mov_b32 s2, exec_lo
	v_cmpx_nle_f32_e64 0x40a00000, |v24|
	s_cbranch_execz .LBB7_89
; %bb.78:
	v_mov_b32_e32 v23, 6
	s_mov_b32 s3, exec_lo
	v_cmpx_nle_f32_e64 0x40600000, |v24|
	s_cbranch_execz .LBB7_88
; %bb.79:
	;; [unrolled: 5-line block ×5, first 2 shown]
	v_mov_b32_e32 v23, 2
	s_mov_b32 s9, exec_lo
	v_cmpx_nle_f32_e64 0x3f400000, |v24|
; %bb.83:
	v_cmp_le_f32_e64 s10, 0x3e800000, |v24|
	s_delay_alu instid0(VALU_DEP_1)
	v_cndmask_b32_e64 v23, 0, 1, s10
; %bb.84:
	s_or_b32 exec_lo, exec_lo, s9
.LBB7_85:
	s_delay_alu instid0(SALU_CYCLE_1)
	s_or_b32 exec_lo, exec_lo, s8
.LBB7_86:
	s_delay_alu instid0(SALU_CYCLE_1)
	s_or_b32 exec_lo, exec_lo, s7
.LBB7_87:
	s_delay_alu instid0(SALU_CYCLE_1)
	s_or_b32 exec_lo, exec_lo, s5
.LBB7_88:
	s_delay_alu instid0(SALU_CYCLE_1)
	s_or_b32 exec_lo, exec_lo, s3
.LBB7_89:
	s_delay_alu instid0(SALU_CYCLE_1) | instskip(SKIP_2) | instid1(VALU_DEP_1)
	s_or_b32 exec_lo, exec_lo, s2
	v_mul_f32_e32 v26, v12, v26
	s_mov_b32 s2, exec_lo
	v_cmpx_nle_f32_e64 0x40a00000, |v26|
	s_cbranch_execz .LBB7_101
; %bb.90:
	v_mov_b32_e32 v22, 6
	s_mov_b32 s3, exec_lo
	v_cmpx_nle_f32_e64 0x40600000, |v26|
	s_cbranch_execz .LBB7_100
; %bb.91:
	v_mov_b32_e32 v22, 5
	;; [unrolled: 5-line block ×5, first 2 shown]
	s_mov_b32 s9, exec_lo
	v_cmpx_nle_f32_e64 0x3f400000, |v26|
; %bb.95:
	v_cmp_le_f32_e64 s10, 0x3e800000, |v26|
	s_delay_alu instid0(VALU_DEP_1)
	v_cndmask_b32_e64 v22, 0, 1, s10
; %bb.96:
	s_or_b32 exec_lo, exec_lo, s9
.LBB7_97:
	s_delay_alu instid0(SALU_CYCLE_1)
	s_or_b32 exec_lo, exec_lo, s8
.LBB7_98:
	s_delay_alu instid0(SALU_CYCLE_1)
	s_or_b32 exec_lo, exec_lo, s7
.LBB7_99:
	s_delay_alu instid0(SALU_CYCLE_1)
	s_or_b32 exec_lo, exec_lo, s5
.LBB7_100:
	s_delay_alu instid0(SALU_CYCLE_1)
	s_or_b32 exec_lo, exec_lo, s3
.LBB7_101:
	s_delay_alu instid0(SALU_CYCLE_1) | instskip(SKIP_3) | instid1(VALU_DEP_2)
	s_or_b32 exec_lo, exec_lo, s2
	v_dual_mul_f32 v29, v12, v28 :: v_dual_mov_b32 v28, 7
	v_mov_b32_e32 v30, 7
	s_mov_b32 s2, exec_lo
	v_cmpx_nle_f32_e64 0x40a00000, |v29|
	s_cbranch_execz .LBB7_113
; %bb.102:
	v_mov_b32_e32 v30, 6
	s_mov_b32 s3, exec_lo
	v_cmpx_nle_f32_e64 0x40600000, |v29|
	s_cbranch_execz .LBB7_112
; %bb.103:
	v_mov_b32_e32 v30, 5
	s_mov_b32 s5, exec_lo
	v_cmpx_nle_f32_e64 0x40200000, |v29|
	s_cbranch_execz .LBB7_111
; %bb.104:
	v_mov_b32_e32 v30, 4
	s_mov_b32 s7, exec_lo
	v_cmpx_nle_f32_e64 0x3fe00000, |v29|
	s_cbranch_execz .LBB7_110
; %bb.105:
	v_mov_b32_e32 v30, 3
	s_mov_b32 s8, exec_lo
	v_cmpx_nle_f32_e64 0x3fa00000, |v29|
	s_cbranch_execz .LBB7_109
; %bb.106:
	v_mov_b32_e32 v30, 2
	s_mov_b32 s9, exec_lo
	v_cmpx_nle_f32_e64 0x3f400000, |v29|
; %bb.107:
	v_cmp_le_f32_e64 s10, 0x3e800000, |v29|
	s_delay_alu instid0(VALU_DEP_1)
	v_cndmask_b32_e64 v30, 0, 1, s10
; %bb.108:
	s_or_b32 exec_lo, exec_lo, s9
.LBB7_109:
	s_delay_alu instid0(SALU_CYCLE_1)
	s_or_b32 exec_lo, exec_lo, s8
.LBB7_110:
	s_delay_alu instid0(SALU_CYCLE_1)
	s_or_b32 exec_lo, exec_lo, s7
.LBB7_111:
	s_delay_alu instid0(SALU_CYCLE_1)
	s_or_b32 exec_lo, exec_lo, s5
.LBB7_112:
	s_delay_alu instid0(SALU_CYCLE_1)
	s_or_b32 exec_lo, exec_lo, s3
.LBB7_113:
	s_delay_alu instid0(SALU_CYCLE_1) | instskip(SKIP_2) | instid1(VALU_DEP_1)
	s_or_b32 exec_lo, exec_lo, s2
	v_mul_f32_e32 v32, v12, v32
	s_mov_b32 s2, exec_lo
	v_cmpx_nle_f32_e64 0x40a00000, |v32|
	s_cbranch_execz .LBB7_125
; %bb.114:
	v_mov_b32_e32 v28, 6
	s_mov_b32 s3, exec_lo
	v_cmpx_nle_f32_e64 0x40600000, |v32|
	s_cbranch_execz .LBB7_124
; %bb.115:
	v_mov_b32_e32 v28, 5
	;; [unrolled: 5-line block ×5, first 2 shown]
	s_mov_b32 s9, exec_lo
	v_cmpx_nle_f32_e64 0x3f400000, |v32|
; %bb.119:
	v_cmp_le_f32_e64 s10, 0x3e800000, |v32|
	s_delay_alu instid0(VALU_DEP_1)
	v_cndmask_b32_e64 v28, 0, 1, s10
; %bb.120:
	s_or_b32 exec_lo, exec_lo, s9
.LBB7_121:
	s_delay_alu instid0(SALU_CYCLE_1)
	s_or_b32 exec_lo, exec_lo, s8
.LBB7_122:
	s_delay_alu instid0(SALU_CYCLE_1)
	s_or_b32 exec_lo, exec_lo, s7
.LBB7_123:
	s_delay_alu instid0(SALU_CYCLE_1)
	s_or_b32 exec_lo, exec_lo, s5
.LBB7_124:
	s_delay_alu instid0(SALU_CYCLE_1)
	s_or_b32 exec_lo, exec_lo, s3
.LBB7_125:
	s_delay_alu instid0(SALU_CYCLE_1) | instskip(SKIP_4) | instid1(VALU_DEP_3)
	s_or_b32 exec_lo, exec_lo, s2
	v_mul_f32_e32 v36, v12, v34
	v_mov_b32_e32 v34, 7
	v_mov_b32_e32 v38, 7
	s_mov_b32 s2, exec_lo
	v_cmpx_nle_f32_e64 0x40a00000, |v36|
	s_cbranch_execz .LBB7_137
; %bb.126:
	v_mov_b32_e32 v38, 6
	s_mov_b32 s3, exec_lo
	v_cmpx_nle_f32_e64 0x40600000, |v36|
	s_cbranch_execz .LBB7_136
; %bb.127:
	;; [unrolled: 5-line block ×5, first 2 shown]
	v_mov_b32_e32 v38, 2
	s_mov_b32 s9, exec_lo
	v_cmpx_nle_f32_e64 0x3f400000, |v36|
; %bb.131:
	v_cmp_le_f32_e64 s10, 0x3e800000, |v36|
	s_delay_alu instid0(VALU_DEP_1)
	v_cndmask_b32_e64 v38, 0, 1, s10
; %bb.132:
	s_or_b32 exec_lo, exec_lo, s9
.LBB7_133:
	s_delay_alu instid0(SALU_CYCLE_1)
	s_or_b32 exec_lo, exec_lo, s8
.LBB7_134:
	s_delay_alu instid0(SALU_CYCLE_1)
	s_or_b32 exec_lo, exec_lo, s7
.LBB7_135:
	s_delay_alu instid0(SALU_CYCLE_1)
	s_or_b32 exec_lo, exec_lo, s5
.LBB7_136:
	s_delay_alu instid0(SALU_CYCLE_1)
	s_or_b32 exec_lo, exec_lo, s3
.LBB7_137:
	s_delay_alu instid0(SALU_CYCLE_1) | instskip(SKIP_2) | instid1(VALU_DEP_1)
	s_or_b32 exec_lo, exec_lo, s2
	v_mul_f32_e32 v37, v12, v37
	s_mov_b32 s2, exec_lo
	v_cmpx_nle_f32_e64 0x40a00000, |v37|
	s_cbranch_execz .LBB7_149
; %bb.138:
	v_mov_b32_e32 v34, 6
	s_mov_b32 s3, exec_lo
	v_cmpx_nle_f32_e64 0x40600000, |v37|
	s_cbranch_execz .LBB7_148
; %bb.139:
	v_mov_b32_e32 v34, 5
	;; [unrolled: 5-line block ×5, first 2 shown]
	s_mov_b32 s9, exec_lo
	v_cmpx_nle_f32_e64 0x3f400000, |v37|
; %bb.143:
	v_cmp_le_f32_e64 s10, 0x3e800000, |v37|
	s_delay_alu instid0(VALU_DEP_1)
	v_cndmask_b32_e64 v34, 0, 1, s10
; %bb.144:
	s_or_b32 exec_lo, exec_lo, s9
.LBB7_145:
	s_delay_alu instid0(SALU_CYCLE_1)
	s_or_b32 exec_lo, exec_lo, s8
.LBB7_146:
	s_delay_alu instid0(SALU_CYCLE_1)
	s_or_b32 exec_lo, exec_lo, s7
.LBB7_147:
	s_delay_alu instid0(SALU_CYCLE_1)
	s_or_b32 exec_lo, exec_lo, s5
.LBB7_148:
	s_delay_alu instid0(SALU_CYCLE_1)
	s_or_b32 exec_lo, exec_lo, s3
.LBB7_149:
	s_delay_alu instid0(SALU_CYCLE_1) | instskip(SKIP_3) | instid1(VALU_DEP_2)
	s_or_b32 exec_lo, exec_lo, s2
	v_dual_mul_f32 v44, v12, v40 :: v_dual_mov_b32 v43, 7
	v_mov_b32_e32 v40, 7
	s_mov_b32 s2, exec_lo
	v_cmpx_nle_f32_e64 0x40a00000, |v44|
	s_cbranch_execz .LBB7_161
; %bb.150:
	v_mov_b32_e32 v43, 6
	s_mov_b32 s3, exec_lo
	v_cmpx_nle_f32_e64 0x40600000, |v44|
	s_cbranch_execz .LBB7_160
; %bb.151:
	;; [unrolled: 5-line block ×5, first 2 shown]
	v_mov_b32_e32 v43, 2
	s_mov_b32 s9, exec_lo
	v_cmpx_nle_f32_e64 0x3f400000, |v44|
; %bb.155:
	v_cmp_le_f32_e64 s10, 0x3e800000, |v44|
	s_delay_alu instid0(VALU_DEP_1)
	v_cndmask_b32_e64 v43, 0, 1, s10
; %bb.156:
	s_or_b32 exec_lo, exec_lo, s9
.LBB7_157:
	s_delay_alu instid0(SALU_CYCLE_1)
	s_or_b32 exec_lo, exec_lo, s8
.LBB7_158:
	s_delay_alu instid0(SALU_CYCLE_1)
	s_or_b32 exec_lo, exec_lo, s7
.LBB7_159:
	s_delay_alu instid0(SALU_CYCLE_1)
	s_or_b32 exec_lo, exec_lo, s5
.LBB7_160:
	s_delay_alu instid0(SALU_CYCLE_1)
	s_or_b32 exec_lo, exec_lo, s3
.LBB7_161:
	s_delay_alu instid0(SALU_CYCLE_1) | instskip(SKIP_2) | instid1(VALU_DEP_1)
	s_or_b32 exec_lo, exec_lo, s2
	v_mul_f32_e32 v42, v12, v42
	s_mov_b32 s2, exec_lo
	v_cmpx_nle_f32_e64 0x40a00000, |v42|
	s_cbranch_execz .LBB7_173
; %bb.162:
	v_mov_b32_e32 v40, 6
	s_mov_b32 s3, exec_lo
	v_cmpx_nle_f32_e64 0x40600000, |v42|
	s_cbranch_execz .LBB7_172
; %bb.163:
	v_mov_b32_e32 v40, 5
	;; [unrolled: 5-line block ×5, first 2 shown]
	s_mov_b32 s9, exec_lo
	v_cmpx_nle_f32_e64 0x3f400000, |v42|
; %bb.167:
	v_cmp_le_f32_e64 s10, 0x3e800000, |v42|
	s_delay_alu instid0(VALU_DEP_1)
	v_cndmask_b32_e64 v40, 0, 1, s10
; %bb.168:
	s_or_b32 exec_lo, exec_lo, s9
.LBB7_169:
	s_delay_alu instid0(SALU_CYCLE_1)
	s_or_b32 exec_lo, exec_lo, s8
.LBB7_170:
	s_delay_alu instid0(SALU_CYCLE_1)
	s_or_b32 exec_lo, exec_lo, s7
.LBB7_171:
	s_delay_alu instid0(SALU_CYCLE_1)
	s_or_b32 exec_lo, exec_lo, s5
.LBB7_172:
	s_delay_alu instid0(SALU_CYCLE_1)
	s_or_b32 exec_lo, exec_lo, s3
.LBB7_173:
	s_delay_alu instid0(SALU_CYCLE_1) | instskip(SKIP_3) | instid1(VALU_DEP_2)
	s_or_b32 exec_lo, exec_lo, s2
	v_dual_mul_f32 v50, v12, v46 :: v_dual_mov_b32 v49, 7
	v_mov_b32_e32 v46, 7
	s_mov_b32 s2, exec_lo
	v_cmpx_nle_f32_e64 0x40a00000, |v50|
	s_cbranch_execz .LBB7_185
; %bb.174:
	v_mov_b32_e32 v49, 6
	s_mov_b32 s3, exec_lo
	v_cmpx_nle_f32_e64 0x40600000, |v50|
	s_cbranch_execz .LBB7_184
; %bb.175:
	;; [unrolled: 5-line block ×5, first 2 shown]
	v_mov_b32_e32 v49, 2
	s_mov_b32 s9, exec_lo
	v_cmpx_nle_f32_e64 0x3f400000, |v50|
; %bb.179:
	v_cmp_le_f32_e64 s10, 0x3e800000, |v50|
	s_delay_alu instid0(VALU_DEP_1)
	v_cndmask_b32_e64 v49, 0, 1, s10
; %bb.180:
	s_or_b32 exec_lo, exec_lo, s9
.LBB7_181:
	s_delay_alu instid0(SALU_CYCLE_1)
	s_or_b32 exec_lo, exec_lo, s8
.LBB7_182:
	s_delay_alu instid0(SALU_CYCLE_1)
	s_or_b32 exec_lo, exec_lo, s7
.LBB7_183:
	s_delay_alu instid0(SALU_CYCLE_1)
	s_or_b32 exec_lo, exec_lo, s5
.LBB7_184:
	s_delay_alu instid0(SALU_CYCLE_1)
	s_or_b32 exec_lo, exec_lo, s3
.LBB7_185:
	s_delay_alu instid0(SALU_CYCLE_1) | instskip(SKIP_2) | instid1(VALU_DEP_1)
	s_or_b32 exec_lo, exec_lo, s2
	v_mul_f32_e32 v47, v12, v47
	s_mov_b32 s2, exec_lo
	v_cmpx_nle_f32_e64 0x40a00000, |v47|
	s_cbranch_execz .LBB7_197
; %bb.186:
	v_mov_b32_e32 v46, 6
	s_mov_b32 s3, exec_lo
	v_cmpx_nle_f32_e64 0x40600000, |v47|
	s_cbranch_execz .LBB7_196
; %bb.187:
	v_mov_b32_e32 v46, 5
	s_mov_b32 s5, exec_lo
	v_cmpx_nle_f32_e64 0x40200000, |v47|
	s_cbranch_execz .LBB7_195
; %bb.188:
	v_mov_b32_e32 v46, 4
	s_mov_b32 s7, exec_lo
	v_cmpx_nle_f32_e64 0x3fe00000, |v47|
	s_cbranch_execz .LBB7_194
; %bb.189:
	v_mov_b32_e32 v46, 3
	s_mov_b32 s8, exec_lo
	v_cmpx_nle_f32_e64 0x3fa00000, |v47|
	s_cbranch_execz .LBB7_193
; %bb.190:
	v_mov_b32_e32 v46, 2
	s_mov_b32 s9, exec_lo
	v_cmpx_nle_f32_e64 0x3f400000, |v47|
; %bb.191:
	v_cmp_le_f32_e64 s10, 0x3e800000, |v47|
	s_delay_alu instid0(VALU_DEP_1)
	v_cndmask_b32_e64 v46, 0, 1, s10
; %bb.192:
	s_or_b32 exec_lo, exec_lo, s9
.LBB7_193:
	s_delay_alu instid0(SALU_CYCLE_1)
	s_or_b32 exec_lo, exec_lo, s8
.LBB7_194:
	s_delay_alu instid0(SALU_CYCLE_1)
	s_or_b32 exec_lo, exec_lo, s7
.LBB7_195:
	s_delay_alu instid0(SALU_CYCLE_1)
	s_or_b32 exec_lo, exec_lo, s5
.LBB7_196:
	s_delay_alu instid0(SALU_CYCLE_1)
	s_or_b32 exec_lo, exec_lo, s3
.LBB7_197:
	s_delay_alu instid0(SALU_CYCLE_1) | instskip(SKIP_3) | instid1(VALU_DEP_2)
	s_or_b32 exec_lo, exec_lo, s2
	v_dual_mul_f32 v54, v12, v51 :: v_dual_mov_b32 v51, 7
	v_mov_b32_e32 v53, 7
	s_mov_b32 s2, exec_lo
	v_cmpx_nle_f32_e64 0x40a00000, |v54|
	s_cbranch_execz .LBB7_209
; %bb.198:
	v_mov_b32_e32 v53, 6
	s_mov_b32 s3, exec_lo
	v_cmpx_nle_f32_e64 0x40600000, |v54|
	s_cbranch_execz .LBB7_208
; %bb.199:
	;; [unrolled: 5-line block ×5, first 2 shown]
	v_mov_b32_e32 v53, 2
	s_mov_b32 s9, exec_lo
	v_cmpx_nle_f32_e64 0x3f400000, |v54|
; %bb.203:
	v_cmp_le_f32_e64 s10, 0x3e800000, |v54|
	s_delay_alu instid0(VALU_DEP_1)
	v_cndmask_b32_e64 v53, 0, 1, s10
; %bb.204:
	s_or_b32 exec_lo, exec_lo, s9
.LBB7_205:
	s_delay_alu instid0(SALU_CYCLE_1)
	s_or_b32 exec_lo, exec_lo, s8
.LBB7_206:
	s_delay_alu instid0(SALU_CYCLE_1)
	s_or_b32 exec_lo, exec_lo, s7
.LBB7_207:
	s_delay_alu instid0(SALU_CYCLE_1)
	s_or_b32 exec_lo, exec_lo, s5
.LBB7_208:
	s_delay_alu instid0(SALU_CYCLE_1)
	s_or_b32 exec_lo, exec_lo, s3
.LBB7_209:
	s_delay_alu instid0(SALU_CYCLE_1) | instskip(SKIP_2) | instid1(VALU_DEP_1)
	s_or_b32 exec_lo, exec_lo, s2
	v_mul_f32_e32 v52, v12, v52
	s_mov_b32 s2, exec_lo
	v_cmpx_nle_f32_e64 0x40a00000, |v52|
	s_cbranch_execz .LBB7_221
; %bb.210:
	v_mov_b32_e32 v51, 6
	s_mov_b32 s3, exec_lo
	v_cmpx_nle_f32_e64 0x40600000, |v52|
	s_cbranch_execz .LBB7_220
; %bb.211:
	v_mov_b32_e32 v51, 5
	;; [unrolled: 5-line block ×5, first 2 shown]
	s_mov_b32 s9, exec_lo
	v_cmpx_nle_f32_e64 0x3f400000, |v52|
; %bb.215:
	v_cmp_le_f32_e64 s10, 0x3e800000, |v52|
	s_delay_alu instid0(VALU_DEP_1)
	v_cndmask_b32_e64 v51, 0, 1, s10
; %bb.216:
	s_or_b32 exec_lo, exec_lo, s9
.LBB7_217:
	s_delay_alu instid0(SALU_CYCLE_1)
	s_or_b32 exec_lo, exec_lo, s8
.LBB7_218:
	s_delay_alu instid0(SALU_CYCLE_1)
	s_or_b32 exec_lo, exec_lo, s7
.LBB7_219:
	s_delay_alu instid0(SALU_CYCLE_1)
	s_or_b32 exec_lo, exec_lo, s5
.LBB7_220:
	s_delay_alu instid0(SALU_CYCLE_1)
	s_or_b32 exec_lo, exec_lo, s3
.LBB7_221:
	s_delay_alu instid0(SALU_CYCLE_1) | instskip(SKIP_3) | instid1(VALU_DEP_2)
	s_or_b32 exec_lo, exec_lo, s2
	v_dual_mul_f32 v55, v12, v48 :: v_dual_mov_b32 v48, 7
	v_mov_b32_e32 v56, 7
	s_mov_b32 s2, exec_lo
	v_cmpx_nle_f32_e64 0x40a00000, |v55|
	s_cbranch_execz .LBB7_233
; %bb.222:
	v_mov_b32_e32 v56, 6
	s_mov_b32 s3, exec_lo
	v_cmpx_nle_f32_e64 0x40600000, |v55|
	s_cbranch_execz .LBB7_232
; %bb.223:
	;; [unrolled: 5-line block ×5, first 2 shown]
	v_mov_b32_e32 v56, 2
	s_mov_b32 s9, exec_lo
	v_cmpx_nle_f32_e64 0x3f400000, |v55|
; %bb.227:
	v_cmp_le_f32_e64 s10, 0x3e800000, |v55|
	s_delay_alu instid0(VALU_DEP_1)
	v_cndmask_b32_e64 v56, 0, 1, s10
; %bb.228:
	s_or_b32 exec_lo, exec_lo, s9
.LBB7_229:
	s_delay_alu instid0(SALU_CYCLE_1)
	s_or_b32 exec_lo, exec_lo, s8
.LBB7_230:
	s_delay_alu instid0(SALU_CYCLE_1)
	s_or_b32 exec_lo, exec_lo, s7
.LBB7_231:
	s_delay_alu instid0(SALU_CYCLE_1)
	s_or_b32 exec_lo, exec_lo, s5
.LBB7_232:
	s_delay_alu instid0(SALU_CYCLE_1)
	s_or_b32 exec_lo, exec_lo, s3
.LBB7_233:
	s_delay_alu instid0(SALU_CYCLE_1) | instskip(SKIP_2) | instid1(VALU_DEP_1)
	s_or_b32 exec_lo, exec_lo, s2
	v_mul_f32_e32 v45, v12, v45
	s_mov_b32 s2, exec_lo
	v_cmpx_nle_f32_e64 0x40a00000, |v45|
	s_cbranch_execz .LBB7_245
; %bb.234:
	v_mov_b32_e32 v48, 6
	s_mov_b32 s3, exec_lo
	v_cmpx_nle_f32_e64 0x40600000, |v45|
	s_cbranch_execz .LBB7_244
; %bb.235:
	v_mov_b32_e32 v48, 5
	s_mov_b32 s5, exec_lo
	v_cmpx_nle_f32_e64 0x40200000, |v45|
	s_cbranch_execz .LBB7_243
; %bb.236:
	v_mov_b32_e32 v48, 4
	s_mov_b32 s7, exec_lo
	v_cmpx_nle_f32_e64 0x3fe00000, |v45|
	s_cbranch_execz .LBB7_242
; %bb.237:
	v_mov_b32_e32 v48, 3
	s_mov_b32 s8, exec_lo
	v_cmpx_nle_f32_e64 0x3fa00000, |v45|
	s_cbranch_execz .LBB7_241
; %bb.238:
	v_mov_b32_e32 v48, 2
	s_mov_b32 s9, exec_lo
	v_cmpx_nle_f32_e64 0x3f400000, |v45|
; %bb.239:
	v_cmp_le_f32_e64 s10, 0x3e800000, |v45|
	s_delay_alu instid0(VALU_DEP_1)
	v_cndmask_b32_e64 v48, 0, 1, s10
; %bb.240:
	s_or_b32 exec_lo, exec_lo, s9
.LBB7_241:
	s_delay_alu instid0(SALU_CYCLE_1)
	s_or_b32 exec_lo, exec_lo, s8
.LBB7_242:
	s_delay_alu instid0(SALU_CYCLE_1)
	s_or_b32 exec_lo, exec_lo, s7
.LBB7_243:
	s_delay_alu instid0(SALU_CYCLE_1)
	s_or_b32 exec_lo, exec_lo, s5
.LBB7_244:
	s_delay_alu instid0(SALU_CYCLE_1)
	s_or_b32 exec_lo, exec_lo, s3
.LBB7_245:
	s_delay_alu instid0(SALU_CYCLE_1) | instskip(SKIP_3) | instid1(VALU_DEP_2)
	s_or_b32 exec_lo, exec_lo, s2
	v_dual_mul_f32 v57, v12, v41 :: v_dual_mov_b32 v58, 7
	v_mov_b32_e32 v41, 7
	s_mov_b32 s2, exec_lo
	v_cmpx_nle_f32_e64 0x40a00000, |v57|
	s_cbranch_execz .LBB7_257
; %bb.246:
	v_mov_b32_e32 v58, 6
	s_mov_b32 s3, exec_lo
	v_cmpx_nle_f32_e64 0x40600000, |v57|
	s_cbranch_execz .LBB7_256
; %bb.247:
	;; [unrolled: 5-line block ×5, first 2 shown]
	v_mov_b32_e32 v58, 2
	s_mov_b32 s9, exec_lo
	v_cmpx_nle_f32_e64 0x3f400000, |v57|
; %bb.251:
	v_cmp_le_f32_e64 s10, 0x3e800000, |v57|
	s_delay_alu instid0(VALU_DEP_1)
	v_cndmask_b32_e64 v58, 0, 1, s10
; %bb.252:
	s_or_b32 exec_lo, exec_lo, s9
.LBB7_253:
	s_delay_alu instid0(SALU_CYCLE_1)
	s_or_b32 exec_lo, exec_lo, s8
.LBB7_254:
	s_delay_alu instid0(SALU_CYCLE_1)
	s_or_b32 exec_lo, exec_lo, s7
.LBB7_255:
	s_delay_alu instid0(SALU_CYCLE_1)
	s_or_b32 exec_lo, exec_lo, s5
.LBB7_256:
	s_delay_alu instid0(SALU_CYCLE_1)
	s_or_b32 exec_lo, exec_lo, s3
.LBB7_257:
	s_delay_alu instid0(SALU_CYCLE_1) | instskip(SKIP_2) | instid1(VALU_DEP_1)
	s_or_b32 exec_lo, exec_lo, s2
	v_mul_f32_e32 v39, v12, v39
	s_mov_b32 s2, exec_lo
	v_cmpx_nle_f32_e64 0x40a00000, |v39|
	s_cbranch_execz .LBB7_269
; %bb.258:
	v_mov_b32_e32 v41, 6
	s_mov_b32 s3, exec_lo
	v_cmpx_nle_f32_e64 0x40600000, |v39|
	s_cbranch_execz .LBB7_268
; %bb.259:
	v_mov_b32_e32 v41, 5
	;; [unrolled: 5-line block ×5, first 2 shown]
	s_mov_b32 s9, exec_lo
	v_cmpx_nle_f32_e64 0x3f400000, |v39|
; %bb.263:
	v_cmp_le_f32_e64 s10, 0x3e800000, |v39|
	s_delay_alu instid0(VALU_DEP_1)
	v_cndmask_b32_e64 v41, 0, 1, s10
; %bb.264:
	s_or_b32 exec_lo, exec_lo, s9
.LBB7_265:
	s_delay_alu instid0(SALU_CYCLE_1)
	s_or_b32 exec_lo, exec_lo, s8
.LBB7_266:
	s_delay_alu instid0(SALU_CYCLE_1)
	s_or_b32 exec_lo, exec_lo, s7
.LBB7_267:
	s_delay_alu instid0(SALU_CYCLE_1)
	s_or_b32 exec_lo, exec_lo, s5
.LBB7_268:
	s_delay_alu instid0(SALU_CYCLE_1)
	s_or_b32 exec_lo, exec_lo, s3
.LBB7_269:
	s_delay_alu instid0(SALU_CYCLE_1) | instskip(SKIP_3) | instid1(VALU_DEP_2)
	s_or_b32 exec_lo, exec_lo, s2
	v_dual_mul_f32 v60, v12, v35 :: v_dual_mov_b32 v35, 7
	v_mov_b32_e32 v59, 7
	s_mov_b32 s2, exec_lo
	v_cmpx_nle_f32_e64 0x40a00000, |v60|
	s_cbranch_execz .LBB7_281
; %bb.270:
	v_mov_b32_e32 v59, 6
	s_mov_b32 s3, exec_lo
	v_cmpx_nle_f32_e64 0x40600000, |v60|
	s_cbranch_execz .LBB7_280
; %bb.271:
	;; [unrolled: 5-line block ×5, first 2 shown]
	v_mov_b32_e32 v59, 2
	s_mov_b32 s9, exec_lo
	v_cmpx_nle_f32_e64 0x3f400000, |v60|
; %bb.275:
	v_cmp_le_f32_e64 s10, 0x3e800000, |v60|
	s_delay_alu instid0(VALU_DEP_1)
	v_cndmask_b32_e64 v59, 0, 1, s10
; %bb.276:
	s_or_b32 exec_lo, exec_lo, s9
.LBB7_277:
	s_delay_alu instid0(SALU_CYCLE_1)
	s_or_b32 exec_lo, exec_lo, s8
.LBB7_278:
	s_delay_alu instid0(SALU_CYCLE_1)
	s_or_b32 exec_lo, exec_lo, s7
.LBB7_279:
	s_delay_alu instid0(SALU_CYCLE_1)
	s_or_b32 exec_lo, exec_lo, s5
.LBB7_280:
	s_delay_alu instid0(SALU_CYCLE_1)
	s_or_b32 exec_lo, exec_lo, s3
.LBB7_281:
	s_delay_alu instid0(SALU_CYCLE_1) | instskip(SKIP_2) | instid1(VALU_DEP_1)
	s_or_b32 exec_lo, exec_lo, s2
	v_mul_f32_e32 v33, v12, v33
	s_mov_b32 s2, exec_lo
	v_cmpx_nle_f32_e64 0x40a00000, |v33|
	s_cbranch_execz .LBB7_293
; %bb.282:
	v_mov_b32_e32 v35, 6
	s_mov_b32 s3, exec_lo
	v_cmpx_nle_f32_e64 0x40600000, |v33|
	s_cbranch_execz .LBB7_292
; %bb.283:
	v_mov_b32_e32 v35, 5
	;; [unrolled: 5-line block ×5, first 2 shown]
	s_mov_b32 s9, exec_lo
	v_cmpx_nle_f32_e64 0x3f400000, |v33|
; %bb.287:
	v_cmp_le_f32_e64 s10, 0x3e800000, |v33|
	s_delay_alu instid0(VALU_DEP_1)
	v_cndmask_b32_e64 v35, 0, 1, s10
; %bb.288:
	s_or_b32 exec_lo, exec_lo, s9
.LBB7_289:
	s_delay_alu instid0(SALU_CYCLE_1)
	s_or_b32 exec_lo, exec_lo, s8
.LBB7_290:
	s_delay_alu instid0(SALU_CYCLE_1)
	s_or_b32 exec_lo, exec_lo, s7
.LBB7_291:
	s_delay_alu instid0(SALU_CYCLE_1)
	s_or_b32 exec_lo, exec_lo, s5
.LBB7_292:
	s_delay_alu instid0(SALU_CYCLE_1)
	s_or_b32 exec_lo, exec_lo, s3
.LBB7_293:
	s_delay_alu instid0(SALU_CYCLE_1) | instskip(SKIP_3) | instid1(VALU_DEP_2)
	s_or_b32 exec_lo, exec_lo, s2
	v_dual_mul_f32 v62, v12, v31 :: v_dual_mov_b32 v31, 7
	v_mov_b32_e32 v61, 7
	s_mov_b32 s2, exec_lo
	v_cmpx_nle_f32_e64 0x40a00000, |v62|
	s_cbranch_execz .LBB7_305
; %bb.294:
	v_mov_b32_e32 v61, 6
	s_mov_b32 s3, exec_lo
	v_cmpx_nle_f32_e64 0x40600000, |v62|
	s_cbranch_execz .LBB7_304
; %bb.295:
	;; [unrolled: 5-line block ×5, first 2 shown]
	v_mov_b32_e32 v61, 2
	s_mov_b32 s9, exec_lo
	v_cmpx_nle_f32_e64 0x3f400000, |v62|
; %bb.299:
	v_cmp_le_f32_e64 s10, 0x3e800000, |v62|
	s_delay_alu instid0(VALU_DEP_1)
	v_cndmask_b32_e64 v61, 0, 1, s10
; %bb.300:
	s_or_b32 exec_lo, exec_lo, s9
.LBB7_301:
	s_delay_alu instid0(SALU_CYCLE_1)
	s_or_b32 exec_lo, exec_lo, s8
.LBB7_302:
	s_delay_alu instid0(SALU_CYCLE_1)
	s_or_b32 exec_lo, exec_lo, s7
.LBB7_303:
	s_delay_alu instid0(SALU_CYCLE_1)
	s_or_b32 exec_lo, exec_lo, s5
.LBB7_304:
	s_delay_alu instid0(SALU_CYCLE_1)
	s_or_b32 exec_lo, exec_lo, s3
.LBB7_305:
	s_delay_alu instid0(SALU_CYCLE_1) | instskip(SKIP_2) | instid1(VALU_DEP_1)
	s_or_b32 exec_lo, exec_lo, s2
	v_mul_f32_e32 v27, v12, v27
	s_mov_b32 s2, exec_lo
	v_cmpx_nle_f32_e64 0x40a00000, |v27|
	s_cbranch_execz .LBB7_317
; %bb.306:
	v_mov_b32_e32 v31, 6
	s_mov_b32 s3, exec_lo
	v_cmpx_nle_f32_e64 0x40600000, |v27|
	s_cbranch_execz .LBB7_316
; %bb.307:
	v_mov_b32_e32 v31, 5
	;; [unrolled: 5-line block ×5, first 2 shown]
	s_mov_b32 s9, exec_lo
	v_cmpx_nle_f32_e64 0x3f400000, |v27|
; %bb.311:
	v_cmp_le_f32_e64 s10, 0x3e800000, |v27|
	s_delay_alu instid0(VALU_DEP_1)
	v_cndmask_b32_e64 v31, 0, 1, s10
; %bb.312:
	s_or_b32 exec_lo, exec_lo, s9
.LBB7_313:
	s_delay_alu instid0(SALU_CYCLE_1)
	s_or_b32 exec_lo, exec_lo, s8
.LBB7_314:
	s_delay_alu instid0(SALU_CYCLE_1)
	s_or_b32 exec_lo, exec_lo, s7
.LBB7_315:
	s_delay_alu instid0(SALU_CYCLE_1)
	s_or_b32 exec_lo, exec_lo, s5
.LBB7_316:
	s_delay_alu instid0(SALU_CYCLE_1)
	s_or_b32 exec_lo, exec_lo, s3
.LBB7_317:
	s_delay_alu instid0(SALU_CYCLE_1) | instskip(SKIP_3) | instid1(VALU_DEP_2)
	s_or_b32 exec_lo, exec_lo, s2
	v_dual_mul_f32 v64, v12, v25 :: v_dual_mov_b32 v25, 7
	v_mov_b32_e32 v63, 7
	s_mov_b32 s2, exec_lo
	v_cmpx_nle_f32_e64 0x40a00000, |v64|
	s_cbranch_execz .LBB7_329
; %bb.318:
	v_mov_b32_e32 v63, 6
	s_mov_b32 s3, exec_lo
	v_cmpx_nle_f32_e64 0x40600000, |v64|
	s_cbranch_execz .LBB7_328
; %bb.319:
	;; [unrolled: 5-line block ×5, first 2 shown]
	v_mov_b32_e32 v63, 2
	s_mov_b32 s9, exec_lo
	v_cmpx_nle_f32_e64 0x3f400000, |v64|
; %bb.323:
	v_cmp_le_f32_e64 s10, 0x3e800000, |v64|
	s_delay_alu instid0(VALU_DEP_1)
	v_cndmask_b32_e64 v63, 0, 1, s10
; %bb.324:
	s_or_b32 exec_lo, exec_lo, s9
.LBB7_325:
	s_delay_alu instid0(SALU_CYCLE_1)
	s_or_b32 exec_lo, exec_lo, s8
.LBB7_326:
	s_delay_alu instid0(SALU_CYCLE_1)
	s_or_b32 exec_lo, exec_lo, s7
.LBB7_327:
	s_delay_alu instid0(SALU_CYCLE_1)
	s_or_b32 exec_lo, exec_lo, s5
.LBB7_328:
	s_delay_alu instid0(SALU_CYCLE_1)
	s_or_b32 exec_lo, exec_lo, s3
.LBB7_329:
	s_delay_alu instid0(SALU_CYCLE_1) | instskip(SKIP_2) | instid1(VALU_DEP_1)
	s_or_b32 exec_lo, exec_lo, s2
	v_mul_f32_e32 v21, v12, v21
	s_mov_b32 s2, exec_lo
	v_cmpx_nle_f32_e64 0x40a00000, |v21|
	s_cbranch_execz .LBB7_341
; %bb.330:
	v_mov_b32_e32 v25, 6
	s_mov_b32 s3, exec_lo
	v_cmpx_nle_f32_e64 0x40600000, |v21|
	s_cbranch_execz .LBB7_340
; %bb.331:
	v_mov_b32_e32 v25, 5
	;; [unrolled: 5-line block ×5, first 2 shown]
	s_mov_b32 s9, exec_lo
	v_cmpx_nle_f32_e64 0x3f400000, |v21|
; %bb.335:
	v_cmp_le_f32_e64 s10, 0x3e800000, |v21|
	s_delay_alu instid0(VALU_DEP_1)
	v_cndmask_b32_e64 v25, 0, 1, s10
; %bb.336:
	s_or_b32 exec_lo, exec_lo, s9
.LBB7_337:
	s_delay_alu instid0(SALU_CYCLE_1)
	s_or_b32 exec_lo, exec_lo, s8
.LBB7_338:
	s_delay_alu instid0(SALU_CYCLE_1)
	s_or_b32 exec_lo, exec_lo, s7
.LBB7_339:
	s_delay_alu instid0(SALU_CYCLE_1)
	s_or_b32 exec_lo, exec_lo, s5
.LBB7_340:
	s_delay_alu instid0(SALU_CYCLE_1)
	s_or_b32 exec_lo, exec_lo, s3
.LBB7_341:
	s_delay_alu instid0(SALU_CYCLE_1) | instskip(SKIP_3) | instid1(VALU_DEP_2)
	s_or_b32 exec_lo, exec_lo, s2
	v_dual_mul_f32 v65, v12, v19 :: v_dual_mov_b32 v66, 7
	v_mov_b32_e32 v19, 7
	s_mov_b32 s2, exec_lo
	v_cmpx_nle_f32_e64 0x40a00000, |v65|
	s_cbranch_execz .LBB7_353
; %bb.342:
	v_mov_b32_e32 v66, 6
	s_mov_b32 s3, exec_lo
	v_cmpx_nle_f32_e64 0x40600000, |v65|
	s_cbranch_execz .LBB7_352
; %bb.343:
	;; [unrolled: 5-line block ×5, first 2 shown]
	v_mov_b32_e32 v66, 2
	s_mov_b32 s9, exec_lo
	v_cmpx_nle_f32_e64 0x3f400000, |v65|
; %bb.347:
	v_cmp_le_f32_e64 s10, 0x3e800000, |v65|
	s_delay_alu instid0(VALU_DEP_1)
	v_cndmask_b32_e64 v66, 0, 1, s10
; %bb.348:
	s_or_b32 exec_lo, exec_lo, s9
.LBB7_349:
	s_delay_alu instid0(SALU_CYCLE_1)
	s_or_b32 exec_lo, exec_lo, s8
.LBB7_350:
	s_delay_alu instid0(SALU_CYCLE_1)
	s_or_b32 exec_lo, exec_lo, s7
.LBB7_351:
	s_delay_alu instid0(SALU_CYCLE_1)
	s_or_b32 exec_lo, exec_lo, s5
.LBB7_352:
	s_delay_alu instid0(SALU_CYCLE_1)
	s_or_b32 exec_lo, exec_lo, s3
.LBB7_353:
	s_delay_alu instid0(SALU_CYCLE_1) | instskip(SKIP_2) | instid1(VALU_DEP_1)
	s_or_b32 exec_lo, exec_lo, s2
	v_mul_f32_e32 v15, v12, v15
	s_mov_b32 s2, exec_lo
	v_cmpx_nle_f32_e64 0x40a00000, |v15|
	s_cbranch_execz .LBB7_365
; %bb.354:
	v_mov_b32_e32 v19, 6
	s_mov_b32 s3, exec_lo
	v_cmpx_nle_f32_e64 0x40600000, |v15|
	s_cbranch_execz .LBB7_364
; %bb.355:
	v_mov_b32_e32 v19, 5
	;; [unrolled: 5-line block ×5, first 2 shown]
	s_mov_b32 s9, exec_lo
	v_cmpx_nle_f32_e64 0x3f400000, |v15|
; %bb.359:
	v_cmp_le_f32_e64 s10, 0x3e800000, |v15|
	s_delay_alu instid0(VALU_DEP_1)
	v_cndmask_b32_e64 v19, 0, 1, s10
; %bb.360:
	s_or_b32 exec_lo, exec_lo, s9
.LBB7_361:
	s_delay_alu instid0(SALU_CYCLE_1)
	s_or_b32 exec_lo, exec_lo, s8
.LBB7_362:
	s_delay_alu instid0(SALU_CYCLE_1)
	s_or_b32 exec_lo, exec_lo, s7
.LBB7_363:
	s_delay_alu instid0(SALU_CYCLE_1)
	s_or_b32 exec_lo, exec_lo, s5
.LBB7_364:
	s_delay_alu instid0(SALU_CYCLE_1)
	s_or_b32 exec_lo, exec_lo, s3
.LBB7_365:
	s_delay_alu instid0(SALU_CYCLE_1) | instskip(SKIP_4) | instid1(VALU_DEP_2)
	s_or_b32 exec_lo, exec_lo, s2
	s_load_b64 s[2:3], s[0:1], 0x10
	v_dual_mul_f32 v67, v12, v13 :: v_dual_mov_b32 v68, 7
	v_mov_b32_e32 v13, 7
	s_mov_b32 s5, exec_lo
	v_cmpx_nle_f32_e64 0x40a00000, |v67|
	s_cbranch_execz .LBB7_377
; %bb.366:
	v_mov_b32_e32 v68, 6
	s_mov_b32 s7, exec_lo
	v_cmpx_nle_f32_e64 0x40600000, |v67|
	s_cbranch_execz .LBB7_376
; %bb.367:
	;; [unrolled: 5-line block ×5, first 2 shown]
	v_mov_b32_e32 v68, 2
	s_mov_b32 s11, exec_lo
	v_cmpx_nle_f32_e64 0x3f400000, |v67|
; %bb.371:
	v_cmp_le_f32_e64 s12, 0x3e800000, |v67|
	s_delay_alu instid0(VALU_DEP_1)
	v_cndmask_b32_e64 v68, 0, 1, s12
; %bb.372:
	s_or_b32 exec_lo, exec_lo, s11
.LBB7_373:
	s_delay_alu instid0(SALU_CYCLE_1)
	s_or_b32 exec_lo, exec_lo, s10
.LBB7_374:
	s_delay_alu instid0(SALU_CYCLE_1)
	s_or_b32 exec_lo, exec_lo, s9
.LBB7_375:
	s_delay_alu instid0(SALU_CYCLE_1)
	s_or_b32 exec_lo, exec_lo, s8
.LBB7_376:
	s_delay_alu instid0(SALU_CYCLE_1)
	s_or_b32 exec_lo, exec_lo, s7
.LBB7_377:
	s_delay_alu instid0(SALU_CYCLE_1) | instskip(SKIP_3) | instid1(VALU_DEP_1)
	s_or_b32 exec_lo, exec_lo, s5
	s_load_b64 s[0:1], s[0:1], 0x8
	v_mul_f32_e32 v8, v12, v8
	s_mov_b32 s5, exec_lo
	v_cmpx_nle_f32_e64 0x40a00000, |v8|
	s_cbranch_execz .LBB7_389
; %bb.378:
	v_mov_b32_e32 v13, 6
	s_mov_b32 s7, exec_lo
	v_cmpx_nle_f32_e64 0x40600000, |v8|
	s_cbranch_execz .LBB7_388
; %bb.379:
	v_mov_b32_e32 v13, 5
	;; [unrolled: 5-line block ×5, first 2 shown]
	s_mov_b32 s11, exec_lo
	v_cmpx_nle_f32_e64 0x3f400000, |v8|
; %bb.383:
	v_cmp_le_f32_e64 s12, 0x3e800000, |v8|
	s_delay_alu instid0(VALU_DEP_1)
	v_cndmask_b32_e64 v13, 0, 1, s12
; %bb.384:
	s_or_b32 exec_lo, exec_lo, s11
.LBB7_385:
	s_delay_alu instid0(SALU_CYCLE_1)
	s_or_b32 exec_lo, exec_lo, s10
.LBB7_386:
	s_delay_alu instid0(SALU_CYCLE_1)
	s_or_b32 exec_lo, exec_lo, s9
.LBB7_387:
	s_delay_alu instid0(SALU_CYCLE_1)
	s_or_b32 exec_lo, exec_lo, s8
.LBB7_388:
	s_delay_alu instid0(SALU_CYCLE_1)
	s_or_b32 exec_lo, exec_lo, s7
.LBB7_389:
	s_delay_alu instid0(SALU_CYCLE_1)
	s_or_b32 exec_lo, exec_lo, s5
	v_cmp_gt_f32_e32 vcc_lo, 0, v67
	v_lshlrev_b16 v6, 4, v6
	v_lshlrev_b16 v25, 4, v25
	;; [unrolled: 1-line block ×4, first 2 shown]
	v_cndmask_b32_e64 v12, 0, 1, vcc_lo
	v_cmp_gt_f32_e32 vcc_lo, 0, v65
	s_lshr_b32 s5, s4, 31
	s_delay_alu instid0(SALU_CYCLE_1) | instskip(NEXT) | instid1(VALU_DEP_2)
	s_add_i32 s4, s4, s5
	v_lshlrev_b16 v12, 3, v12
	v_cndmask_b32_e64 v65, 0, 1, vcc_lo
	v_cmp_gt_f32_e32 vcc_lo, 0, v64
	s_ashr_i32 s4, s4, 1
	s_delay_alu instid0(SALU_CYCLE_1) | instskip(NEXT) | instid1(VALU_DEP_2)
	s_ashr_i32 s5, s4, 31
	v_lshlrev_b16 v65, 3, v65
	v_cndmask_b32_e64 v64, 0, 1, vcc_lo
	v_cmp_gt_f32_e32 vcc_lo, 0, v62
	v_or_b32_e32 v12, v12, v68
	v_mul_lo_u32 v1, v1, s4
	v_or_b32_e32 v65, v65, v66
	v_lshlrev_b16 v64, 3, v64
	v_cndmask_b32_e64 v62, 0, 1, vcc_lo
	v_cmp_gt_f32_e32 vcc_lo, 0, v60
	s_delay_alu instid0(VALU_DEP_3) | instskip(NEXT) | instid1(VALU_DEP_3)
	v_or_b32_e32 v63, v64, v63
	v_lshlrev_b16 v62, 3, v62
	v_cndmask_b32_e64 v60, 0, 1, vcc_lo
	v_cmp_gt_f32_e32 vcc_lo, 0, v57
	s_delay_alu instid0(VALU_DEP_3) | instskip(NEXT) | instid1(VALU_DEP_3)
	;; [unrolled: 5-line block ×11, first 2 shown]
	v_or_b32_e32 v23, v24, v23
	v_lshlrev_b16 v18, 3, v18
	v_cndmask_b32_e64 v4, 0, 1, vcc_lo
	v_cmp_gt_f32_e32 vcc_lo, 0, v7
	s_delay_alu instid0(VALU_DEP_2) | instskip(SKIP_2) | instid1(VALU_DEP_3)
	v_lshlrev_b16 v4, 3, v4
	v_cndmask_b32_e64 v7, 0, 1, vcc_lo
	v_cmp_gt_f32_e32 vcc_lo, 0, v10
	v_or_b32_e32 v4, v4, v5
	s_delay_alu instid0(VALU_DEP_3)
	v_lshlrev_b16 v7, 7, v7
	v_cndmask_b32_e64 v10, 0, 1, vcc_lo
	v_cmp_gt_f32_e32 vcc_lo, 0, v14
	v_lshlrev_b16 v14, 4, v22
	v_lshlrev_b16 v22, 4, v48
	v_or_b32_e32 v5, v7, v6
	v_lshlrev_b16 v10, 3, v10
	v_cndmask_b32_e64 v6, 0, 1, vcc_lo
	v_cmp_gt_f32_e32 vcc_lo, 0, v20
	v_or_b32_e32 v7, v18, v17
	v_or_b32_e32 v4, v5, v4
	v_lshlrev_b16 v5, 4, v9
	v_or_b32_e32 v10, v10, v11
	v_cndmask_b32_e64 v9, 0, 1, vcc_lo
	v_cmp_gt_f32_e32 vcc_lo, 0, v26
	v_lshlrev_b16 v6, 7, v6
	v_lshlrev_b16 v17, 4, v40
	;; [unrolled: 1-line block ×4, first 2 shown]
	v_cndmask_b32_e64 v11, 0, 1, vcc_lo
	v_cmp_gt_f32_e32 vcc_lo, 0, v32
	v_or_b32_e32 v5, v6, v5
	v_lshlrev_b16 v6, 4, v16
	s_delay_alu instid0(VALU_DEP_4)
	v_lshlrev_b16 v11, 7, v11
	v_cndmask_b32_e64 v16, 0, 1, vcc_lo
	v_cmp_gt_f32_e32 vcc_lo, 0, v37
	v_or_b32_e32 v10, v5, v10
	v_or_b32_e32 v5, v9, v6
	;; [unrolled: 1-line block ×3, first 2 shown]
	v_lshlrev_b16 v9, 4, v28
	v_cndmask_b32_e64 v14, 0, 1, vcc_lo
	v_cmp_gt_f32_e32 vcc_lo, 0, v42
	v_lshlrev_b16 v11, 7, v16
	v_or_b32_e32 v7, v5, v7
	v_or_b32_e32 v6, v6, v23
	v_lshlrev_b16 v14, 7, v14
	v_cndmask_b32_e64 v16, 0, 1, vcc_lo
	v_or_b32_e32 v9, v11, v9
	v_lshlrev_b16 v11, 4, v34
	v_cmp_gt_f32_e32 vcc_lo, 0, v47
	v_lshlrev_b16 v10, 8, v10
	v_lshlrev_b16 v16, 7, v16
	v_or_b32_e32 v9, v9, v29
	v_or_b32_e32 v5, v14, v11
	v_lshlrev_b16 v14, 4, v46
	v_lshlrev_b16 v6, 8, v6
	v_or_b32_e32 v11, v16, v17
	v_cndmask_b32_e64 v16, 0, 1, vcc_lo
	v_cmp_gt_f32_e32 vcc_lo, 0, v52
	v_or_b32_e32 v23, v5, v36
	v_or_b32_e32 v4, v4, v10
	;; [unrolled: 1-line block ×3, first 2 shown]
	v_lshlrev_b16 v16, 7, v16
	v_cndmask_b32_e64 v17, 0, 1, vcc_lo
	v_cmp_gt_f32_e32 vcc_lo, 0, v45
	v_or_b32_e32 v10, v7, v6
	s_delay_alu instid0(VALU_DEP_4) | instskip(NEXT) | instid1(VALU_DEP_4)
	v_or_b32_e32 v5, v16, v14
	v_lshlrev_b16 v17, 7, v17
	v_cndmask_b32_e64 v18, 0, 1, vcc_lo
	v_cmp_gt_f32_e32 vcc_lo, 0, v39
	v_lshlrev_b32_e32 v10, 16, v10
	s_delay_alu instid0(VALU_DEP_4) | instskip(NEXT) | instid1(VALU_DEP_4)
	v_or_b32_e32 v14, v17, v20
	v_lshlrev_b16 v18, 7, v18
	v_cndmask_b32_e64 v17, 0, 1, vcc_lo
	v_cmp_gt_f32_e32 vcc_lo, 0, v21
	v_lshlrev_b16 v20, 4, v35
	v_or_b32_e32 v14, v14, v53
	v_or_b32_e32 v16, v18, v22
	v_lshlrev_b16 v22, 4, v31
	v_cndmask_b32_e64 v21, 0, 1, vcc_lo
	v_cmp_gt_f32_e32 vcc_lo, 0, v27
	v_or_b32_e32 v18, v5, v49
	v_or_b32_e32 v5, v16, v55
	v_lshlrev_b16 v16, 4, v41
	v_lshlrev_b16 v21, 7, v21
	v_cndmask_b32_e64 v24, 0, 1, vcc_lo
	v_cmp_gt_f32_e32 vcc_lo, 0, v8
	v_lshlrev_b16 v17, 7, v17
	s_delay_alu instid0(VALU_DEP_4) | instskip(NEXT) | instid1(VALU_DEP_4)
	v_or_b32_e32 v21, v21, v25
	v_lshlrev_b16 v24, 7, v24
	v_cndmask_b32_e64 v8, 0, 1, vcc_lo
	v_cmp_gt_f32_e32 vcc_lo, 0, v15
	v_or_b32_e32 v16, v17, v16
	v_lshrrev_b32_e32 v17, 23, v3
	v_or_b32_e32 v22, v24, v22
	v_lshlrev_b16 v8, 7, v8
	v_cndmask_b32_e64 v15, 0, 1, vcc_lo
	v_cmp_gt_f32_e32 vcc_lo, 0, v33
	v_lshlrev_b16 v3, 8, v5
	v_or_b32_e32 v16, v16, v57
	v_or_b32_e32 v8, v8, v13
	v_lshlrev_b16 v15, 7, v15
	v_cndmask_b32_e64 v13, 0, 1, vcc_lo
	v_or_b32_e32 v3, v14, v3
	v_lshlrev_b16 v14, 8, v18
	v_or_b32_e32 v8, v8, v12
	v_or_b32_e32 v15, v15, v19
	;; [unrolled: 1-line block ×3, first 2 shown]
	v_lshlrev_b16 v12, 7, v13
	v_or_b32_e32 v13, v22, v61
	v_lshlrev_b16 v8, 8, v8
	v_or_b32_e32 v15, v15, v65
	v_lshlrev_b16 v19, 8, v19
	v_ashrrev_i32_e32 v21, 31, v0
	v_or_b32_e32 v11, v11, v14
	v_or_b32_e32 v12, v12, v20
	;; [unrolled: 1-line block ×4, first 2 shown]
	v_lshrrev_b32_e32 v15, 27, v21
	v_lshrrev_b32_e32 v14, 28, v21
	v_or_b32_e32 v12, v12, v59
	v_lshlrev_b32_e32 v8, 16, v8
	v_and_b32_e32 v13, 0xffff, v13
	v_add_nc_u32_e32 v15, v0, v15
	v_add_nc_u32_e32 v7, v0, v14
	v_lshlrev_b32_e32 v14, 6, v2
	v_lshlrev_b16 v12, 8, v12
	v_or_b32_e32 v5, v13, v8
	v_and_b32_e32 v8, 0xffe0, v15
	v_lshlrev_b16 v13, 8, v23
	v_and_b32_e32 v7, 0x3ffffff0, v7
	v_or_b32_e32 v12, v16, v12
	v_and_b32_e32 v3, 0xffff, v3
	v_sub_nc_u32_e32 v8, v0, v8
	v_or_b32_e32 v9, v9, v13
	v_sub_nc_u32_e32 v7, v0, v7
	v_lshlrev_b32_e32 v12, 16, v12
	v_lshlrev_b32_e32 v11, 16, v11
	v_bfe_i32 v13, v8, 0, 8
	v_and_b32_e32 v9, 0xffff, v9
	s_delay_alu instid0(VALU_DEP_2) | instskip(NEXT) | instid1(VALU_DEP_1)
	v_lshrrev_b16 v13, 11, v13
	v_and_b32_e32 v6, 15, v13
	v_lshrrev_b32_e32 v13, 5, v15
	v_lshrrev_b32_e32 v15, 1, v2
	s_delay_alu instid0(VALU_DEP_3) | instskip(NEXT) | instid1(VALU_DEP_3)
	v_add_nc_u16 v6, v8, v6
	v_mul_lo_u32 v8, v13, s6
	v_and_b32_e32 v13, 0xc0, v14
	v_and_b32_e32 v14, 0x3fffff8, v2
	s_delay_alu instid0(VALU_DEP_4) | instskip(NEXT) | instid1(VALU_DEP_3)
	v_bfe_i32 v6, v6, 0, 8
	v_lshl_add_u32 v7, v7, 2, v13
	v_mul_lo_u32 v13, v0, s5
	s_delay_alu instid0(VALU_DEP_4) | instskip(NEXT) | instid1(VALU_DEP_4)
	v_add_lshl_u32 v8, v8, v14, 5
	v_ashrrev_i16 v6, 4, v6
	s_delay_alu instid0(VALU_DEP_4) | instskip(NEXT) | instid1(VALU_DEP_2)
	v_and_or_b32 v15, v15, 2, v7
	v_bfe_i32 v14, v6, 0, 16
	s_waitcnt lgkmcnt(0)
	v_mad_u64_u32 v[6:7], null, v0, s4, s[0:1]
	v_and_b32_e32 v0, 0xffff, v4
	v_or_b32_e32 v4, v3, v12
	v_add3_u32 v8, v15, v8, v14
	v_or_b32_e32 v3, v9, v11
	v_lshlrev_b32_e32 v9, 4, v2
	v_or_b32_e32 v2, v0, v10
	v_add3_u32 v1, v1, v7, v13
	v_ashrrev_i32_e32 v7, 31, v8
	s_delay_alu instid0(VALU_DEP_4) | instskip(NEXT) | instid1(VALU_DEP_3)
	v_add_co_u32 v0, vcc_lo, v6, v9
	v_add_co_ci_u32_e32 v1, vcc_lo, 0, v1, vcc_lo
	v_add_co_u32 v6, vcc_lo, s2, v8
	s_delay_alu instid0(VALU_DEP_4)
	v_add_co_ci_u32_e32 v7, vcc_lo, s3, v7, vcc_lo
	global_store_b128 v[0:1], v[2:5], off
	global_store_b8 v[6:7], v17, off
.LBB7_390:
	s_nop 0
	s_sendmsg sendmsg(MSG_DEALLOC_VGPRS)
	s_endpgm
	.section	.rodata,"a",@progbits
	.p2align	6, 0x0
	.amdhsa_kernel _ZN5aiter18quant_mxfp4_kernelI6__halfLNS_16MxScaleRoundModeE1ELb1ELb0ELb0EEEvPKT_PhPfliiib
		.amdhsa_group_segment_fixed_size 0
		.amdhsa_private_segment_fixed_size 0
		.amdhsa_kernarg_size 304
		.amdhsa_user_sgpr_count 15
		.amdhsa_user_sgpr_dispatch_ptr 0
		.amdhsa_user_sgpr_queue_ptr 0
		.amdhsa_user_sgpr_kernarg_segment_ptr 1
		.amdhsa_user_sgpr_dispatch_id 0
		.amdhsa_user_sgpr_private_segment_size 0
		.amdhsa_wavefront_size32 1
		.amdhsa_uses_dynamic_stack 0
		.amdhsa_enable_private_segment 0
		.amdhsa_system_sgpr_workgroup_id_x 1
		.amdhsa_system_sgpr_workgroup_id_y 0
		.amdhsa_system_sgpr_workgroup_id_z 0
		.amdhsa_system_sgpr_workgroup_info 0
		.amdhsa_system_vgpr_workitem_id 0
		.amdhsa_next_free_vgpr 69
		.amdhsa_next_free_sgpr 16
		.amdhsa_reserve_vcc 1
		.amdhsa_float_round_mode_32 0
		.amdhsa_float_round_mode_16_64 0
		.amdhsa_float_denorm_mode_32 3
		.amdhsa_float_denorm_mode_16_64 3
		.amdhsa_dx10_clamp 1
		.amdhsa_ieee_mode 1
		.amdhsa_fp16_overflow 0
		.amdhsa_workgroup_processor_mode 1
		.amdhsa_memory_ordered 1
		.amdhsa_forward_progress 0
		.amdhsa_shared_vgpr_count 0
		.amdhsa_exception_fp_ieee_invalid_op 0
		.amdhsa_exception_fp_denorm_src 0
		.amdhsa_exception_fp_ieee_div_zero 0
		.amdhsa_exception_fp_ieee_overflow 0
		.amdhsa_exception_fp_ieee_underflow 0
		.amdhsa_exception_fp_ieee_inexact 0
		.amdhsa_exception_int_div_zero 0
	.end_amdhsa_kernel
	.section	.text._ZN5aiter18quant_mxfp4_kernelI6__halfLNS_16MxScaleRoundModeE1ELb1ELb0ELb0EEEvPKT_PhPfliiib,"axG",@progbits,_ZN5aiter18quant_mxfp4_kernelI6__halfLNS_16MxScaleRoundModeE1ELb1ELb0ELb0EEEvPKT_PhPfliiib,comdat
.Lfunc_end7:
	.size	_ZN5aiter18quant_mxfp4_kernelI6__halfLNS_16MxScaleRoundModeE1ELb1ELb0ELb0EEEvPKT_PhPfliiib, .Lfunc_end7-_ZN5aiter18quant_mxfp4_kernelI6__halfLNS_16MxScaleRoundModeE1ELb1ELb0ELb0EEEvPKT_PhPfliiib
                                        ; -- End function
	.section	.AMDGPU.csdata,"",@progbits
; Kernel info:
; codeLenInByte = 10096
; NumSgprs: 18
; NumVgprs: 69
; ScratchSize: 0
; MemoryBound: 0
; FloatMode: 240
; IeeeMode: 1
; LDSByteSize: 0 bytes/workgroup (compile time only)
; SGPRBlocks: 2
; VGPRBlocks: 8
; NumSGPRsForWavesPerEU: 18
; NumVGPRsForWavesPerEU: 69
; Occupancy: 16
; WaveLimiterHint : 0
; COMPUTE_PGM_RSRC2:SCRATCH_EN: 0
; COMPUTE_PGM_RSRC2:USER_SGPR: 15
; COMPUTE_PGM_RSRC2:TRAP_HANDLER: 0
; COMPUTE_PGM_RSRC2:TGID_X_EN: 1
; COMPUTE_PGM_RSRC2:TGID_Y_EN: 0
; COMPUTE_PGM_RSRC2:TGID_Z_EN: 0
; COMPUTE_PGM_RSRC2:TIDIG_COMP_CNT: 0
	.section	.text._ZN5aiter18quant_mxfp4_kernelI6__halfLNS_16MxScaleRoundModeE1ELb0ELb1ELb1EEEvPKT_PhPfliiib,"axG",@progbits,_ZN5aiter18quant_mxfp4_kernelI6__halfLNS_16MxScaleRoundModeE1ELb0ELb1ELb1EEEvPKT_PhPfliiib,comdat
	.protected	_ZN5aiter18quant_mxfp4_kernelI6__halfLNS_16MxScaleRoundModeE1ELb0ELb1ELb1EEEvPKT_PhPfliiib ; -- Begin function _ZN5aiter18quant_mxfp4_kernelI6__halfLNS_16MxScaleRoundModeE1ELb0ELb1ELb1EEEvPKT_PhPfliiib
	.globl	_ZN5aiter18quant_mxfp4_kernelI6__halfLNS_16MxScaleRoundModeE1ELb0ELb1ELb1EEEvPKT_PhPfliiib
	.p2align	8
	.type	_ZN5aiter18quant_mxfp4_kernelI6__halfLNS_16MxScaleRoundModeE1ELb0ELb1ELb1EEEvPKT_PhPfliiib,@function
_ZN5aiter18quant_mxfp4_kernelI6__halfLNS_16MxScaleRoundModeE1ELb0ELb1ELb1EEEvPKT_PhPfliiib: ; @_ZN5aiter18quant_mxfp4_kernelI6__halfLNS_16MxScaleRoundModeE1ELb0ELb1ELb1EEEvPKT_PhPfliiib
; %bb.0:
	s_clause 0x1
	s_load_b32 s2, s[0:1], 0x3c
	s_load_b128 s[4:7], s[0:1], 0x20
	v_mov_b32_e32 v1, 0
	s_delay_alu instid0(VALU_DEP_1)
	v_mov_b32_e32 v4, v1
	s_waitcnt lgkmcnt(0)
	s_and_b32 s2, s2, 0xffff
	s_mov_b32 s3, s6
	v_mad_u64_u32 v[2:3], null, s2, s15, v[0:1]
	s_ashr_i32 s2, s6, 31
	s_mov_b32 s6, exec_lo
                                        ; implicit-def: $vgpr0_vgpr1
	s_delay_alu instid0(VALU_DEP_1) | instskip(NEXT) | instid1(VALU_DEP_1)
	v_or_b32_e32 v5, s2, v3
	v_cmpx_ne_u64_e32 0, v[4:5]
	s_xor_b32 s6, exec_lo, s6
	s_cbranch_execz .LBB8_2
; %bb.1:
	s_add_u32 s10, s3, s2
	s_mov_b32 s8, s2
	s_mov_b32 s9, s2
	s_addc_u32 s11, s2, s2
	s_delay_alu instid0(SALU_CYCLE_1) | instskip(NEXT) | instid1(SALU_CYCLE_1)
	s_xor_b64 s[10:11], s[10:11], s[8:9]
	v_cvt_f32_u32_e32 v0, s10
	v_cvt_f32_u32_e32 v1, s11
	s_sub_u32 s2, 0, s10
	s_subb_u32 s12, 0, s11
	s_delay_alu instid0(VALU_DEP_1) | instskip(NEXT) | instid1(VALU_DEP_1)
	v_fmamk_f32 v0, v1, 0x4f800000, v0
	v_rcp_f32_e32 v0, v0
	s_waitcnt_depctr 0xfff
	v_mul_f32_e32 v0, 0x5f7ffffc, v0
	s_delay_alu instid0(VALU_DEP_1) | instskip(NEXT) | instid1(VALU_DEP_1)
	v_mul_f32_e32 v1, 0x2f800000, v0
	v_trunc_f32_e32 v1, v1
	s_delay_alu instid0(VALU_DEP_1) | instskip(SKIP_1) | instid1(VALU_DEP_2)
	v_fmamk_f32 v0, v1, 0xcf800000, v0
	v_cvt_u32_f32_e32 v1, v1
	v_cvt_u32_f32_e32 v0, v0
	s_delay_alu instid0(VALU_DEP_2) | instskip(NEXT) | instid1(VALU_DEP_2)
	v_mul_lo_u32 v4, s2, v1
	v_mul_hi_u32 v5, s2, v0
	v_mul_lo_u32 v6, s12, v0
	s_delay_alu instid0(VALU_DEP_2) | instskip(SKIP_1) | instid1(VALU_DEP_2)
	v_add_nc_u32_e32 v4, v5, v4
	v_mul_lo_u32 v5, s2, v0
	v_add_nc_u32_e32 v4, v4, v6
	s_delay_alu instid0(VALU_DEP_2) | instskip(NEXT) | instid1(VALU_DEP_2)
	v_mul_hi_u32 v6, v0, v5
	v_mul_lo_u32 v7, v0, v4
	v_mul_hi_u32 v8, v0, v4
	v_mul_hi_u32 v9, v1, v5
	v_mul_lo_u32 v5, v1, v5
	v_mul_hi_u32 v10, v1, v4
	v_mul_lo_u32 v4, v1, v4
	v_add_co_u32 v6, vcc_lo, v6, v7
	v_add_co_ci_u32_e32 v7, vcc_lo, 0, v8, vcc_lo
	s_delay_alu instid0(VALU_DEP_2) | instskip(NEXT) | instid1(VALU_DEP_2)
	v_add_co_u32 v5, vcc_lo, v6, v5
	v_add_co_ci_u32_e32 v5, vcc_lo, v7, v9, vcc_lo
	v_add_co_ci_u32_e32 v6, vcc_lo, 0, v10, vcc_lo
	v_ashrrev_i32_e32 v9, 31, v3
	s_delay_alu instid0(VALU_DEP_3) | instskip(NEXT) | instid1(VALU_DEP_3)
	v_add_co_u32 v4, vcc_lo, v5, v4
	v_add_co_ci_u32_e32 v5, vcc_lo, 0, v6, vcc_lo
	s_delay_alu instid0(VALU_DEP_2) | instskip(NEXT) | instid1(VALU_DEP_2)
	v_add_co_u32 v0, vcc_lo, v0, v4
	v_add_co_ci_u32_e32 v1, vcc_lo, v1, v5, vcc_lo
	s_delay_alu instid0(VALU_DEP_2) | instskip(SKIP_1) | instid1(VALU_DEP_3)
	v_mul_hi_u32 v4, s2, v0
	v_mul_lo_u32 v6, s12, v0
	v_mul_lo_u32 v5, s2, v1
	s_delay_alu instid0(VALU_DEP_1) | instskip(SKIP_1) | instid1(VALU_DEP_2)
	v_add_nc_u32_e32 v4, v4, v5
	v_mul_lo_u32 v5, s2, v0
	v_add_nc_u32_e32 v4, v4, v6
	s_delay_alu instid0(VALU_DEP_2) | instskip(NEXT) | instid1(VALU_DEP_2)
	v_mul_hi_u32 v6, v0, v5
	v_mul_lo_u32 v7, v0, v4
	v_mul_hi_u32 v8, v0, v4
	v_mul_hi_u32 v10, v1, v5
	v_mul_lo_u32 v5, v1, v5
	v_mul_hi_u32 v11, v1, v4
	v_mul_lo_u32 v4, v1, v4
	v_add_co_u32 v6, vcc_lo, v6, v7
	v_add_co_ci_u32_e32 v7, vcc_lo, 0, v8, vcc_lo
	s_delay_alu instid0(VALU_DEP_2) | instskip(NEXT) | instid1(VALU_DEP_2)
	v_add_co_u32 v5, vcc_lo, v6, v5
	v_add_co_ci_u32_e32 v5, vcc_lo, v7, v10, vcc_lo
	v_add_co_ci_u32_e32 v6, vcc_lo, 0, v11, vcc_lo
	v_add_co_u32 v7, vcc_lo, v2, v9
	v_add_co_ci_u32_e32 v3, vcc_lo, v3, v9, vcc_lo
	s_delay_alu instid0(VALU_DEP_4) | instskip(NEXT) | instid1(VALU_DEP_4)
	v_add_co_u32 v4, vcc_lo, v5, v4
	v_add_co_ci_u32_e32 v5, vcc_lo, 0, v6, vcc_lo
	s_delay_alu instid0(VALU_DEP_4) | instskip(NEXT) | instid1(VALU_DEP_3)
	v_xor_b32_e32 v7, v7, v9
	v_add_co_u32 v6, vcc_lo, v0, v4
	s_delay_alu instid0(VALU_DEP_3) | instskip(SKIP_1) | instid1(VALU_DEP_3)
	v_add_co_ci_u32_e32 v8, vcc_lo, v1, v5, vcc_lo
	v_xor_b32_e32 v10, v3, v9
	v_mul_hi_u32 v11, v7, v6
	s_delay_alu instid0(VALU_DEP_3) | instskip(NEXT) | instid1(VALU_DEP_3)
	v_mad_u64_u32 v[0:1], null, v7, v8, 0
	v_mad_u64_u32 v[3:4], null, v10, v6, 0
	;; [unrolled: 1-line block ×3, first 2 shown]
	s_delay_alu instid0(VALU_DEP_3) | instskip(NEXT) | instid1(VALU_DEP_4)
	v_add_co_u32 v0, vcc_lo, v11, v0
	v_add_co_ci_u32_e32 v1, vcc_lo, 0, v1, vcc_lo
	s_delay_alu instid0(VALU_DEP_2) | instskip(NEXT) | instid1(VALU_DEP_2)
	v_add_co_u32 v0, vcc_lo, v0, v3
	v_add_co_ci_u32_e32 v0, vcc_lo, v1, v4, vcc_lo
	v_add_co_ci_u32_e32 v1, vcc_lo, 0, v6, vcc_lo
	s_delay_alu instid0(VALU_DEP_2) | instskip(NEXT) | instid1(VALU_DEP_2)
	v_add_co_u32 v3, vcc_lo, v0, v5
	v_add_co_ci_u32_e32 v4, vcc_lo, 0, v1, vcc_lo
	s_delay_alu instid0(VALU_DEP_2) | instskip(SKIP_1) | instid1(VALU_DEP_3)
	v_mul_lo_u32 v5, s11, v3
	v_mad_u64_u32 v[0:1], null, s10, v3, 0
	v_mul_lo_u32 v6, s10, v4
	s_delay_alu instid0(VALU_DEP_2) | instskip(NEXT) | instid1(VALU_DEP_2)
	v_sub_co_u32 v0, vcc_lo, v7, v0
	v_add3_u32 v1, v1, v6, v5
	s_delay_alu instid0(VALU_DEP_1) | instskip(NEXT) | instid1(VALU_DEP_1)
	v_sub_nc_u32_e32 v5, v10, v1
	v_subrev_co_ci_u32_e64 v5, s2, s11, v5, vcc_lo
	v_add_co_u32 v6, s2, v3, 2
	s_delay_alu instid0(VALU_DEP_1) | instskip(SKIP_3) | instid1(VALU_DEP_3)
	v_add_co_ci_u32_e64 v7, s2, 0, v4, s2
	v_sub_co_u32 v8, s2, v0, s10
	v_sub_co_ci_u32_e32 v1, vcc_lo, v10, v1, vcc_lo
	v_subrev_co_ci_u32_e64 v5, s2, 0, v5, s2
	v_cmp_le_u32_e32 vcc_lo, s10, v8
	s_delay_alu instid0(VALU_DEP_3) | instskip(SKIP_1) | instid1(VALU_DEP_4)
	v_cmp_eq_u32_e64 s2, s11, v1
	v_cndmask_b32_e64 v8, 0, -1, vcc_lo
	v_cmp_le_u32_e32 vcc_lo, s11, v5
	v_cndmask_b32_e64 v10, 0, -1, vcc_lo
	v_cmp_le_u32_e32 vcc_lo, s10, v0
	;; [unrolled: 2-line block ×3, first 2 shown]
	v_cndmask_b32_e64 v11, 0, -1, vcc_lo
	v_cmp_eq_u32_e32 vcc_lo, s11, v5
	s_delay_alu instid0(VALU_DEP_2) | instskip(SKIP_3) | instid1(VALU_DEP_3)
	v_cndmask_b32_e64 v0, v11, v0, s2
	v_cndmask_b32_e32 v5, v10, v8, vcc_lo
	v_add_co_u32 v8, vcc_lo, v3, 1
	v_add_co_ci_u32_e32 v10, vcc_lo, 0, v4, vcc_lo
	v_cmp_ne_u32_e32 vcc_lo, 0, v5
	s_delay_alu instid0(VALU_DEP_2) | instskip(NEXT) | instid1(VALU_DEP_4)
	v_cndmask_b32_e32 v1, v10, v7, vcc_lo
	v_cndmask_b32_e32 v5, v8, v6, vcc_lo
	v_cmp_ne_u32_e32 vcc_lo, 0, v0
	v_xor_b32_e32 v0, s8, v9
	s_delay_alu instid0(VALU_DEP_3) | instskip(SKIP_2) | instid1(VALU_DEP_3)
	v_cndmask_b32_e32 v3, v3, v5, vcc_lo
	v_cndmask_b32_e32 v1, v4, v1, vcc_lo
	v_xor_b32_e32 v4, s9, v9
	v_xor_b32_e32 v3, v3, v0
	s_delay_alu instid0(VALU_DEP_2) | instskip(NEXT) | instid1(VALU_DEP_2)
	v_xor_b32_e32 v1, v1, v4
	v_sub_co_u32 v0, vcc_lo, v3, v0
	s_delay_alu instid0(VALU_DEP_2)
	v_sub_co_ci_u32_e32 v1, vcc_lo, v1, v4, vcc_lo
.LBB8_2:
	s_and_not1_saveexec_b32 s2, s6
	s_cbranch_execz .LBB8_4
; %bb.3:
	v_cvt_f32_u32_e32 v0, s3
	s_sub_i32 s6, 0, s3
	s_delay_alu instid0(VALU_DEP_1) | instskip(SKIP_2) | instid1(VALU_DEP_1)
	v_rcp_iflag_f32_e32 v0, v0
	s_waitcnt_depctr 0xfff
	v_mul_f32_e32 v0, 0x4f7ffffe, v0
	v_cvt_u32_f32_e32 v0, v0
	s_delay_alu instid0(VALU_DEP_1) | instskip(NEXT) | instid1(VALU_DEP_1)
	v_mul_lo_u32 v1, s6, v0
	v_mul_hi_u32 v1, v0, v1
	s_delay_alu instid0(VALU_DEP_1) | instskip(NEXT) | instid1(VALU_DEP_1)
	v_add_nc_u32_e32 v0, v0, v1
	v_mul_hi_u32 v0, v2, v0
	s_delay_alu instid0(VALU_DEP_1) | instskip(SKIP_1) | instid1(VALU_DEP_2)
	v_mul_lo_u32 v1, v0, s3
	v_add_nc_u32_e32 v3, 1, v0
	v_sub_nc_u32_e32 v1, v2, v1
	s_delay_alu instid0(VALU_DEP_1) | instskip(SKIP_1) | instid1(VALU_DEP_2)
	v_subrev_nc_u32_e32 v4, s3, v1
	v_cmp_le_u32_e32 vcc_lo, s3, v1
	v_dual_cndmask_b32 v1, v1, v4 :: v_dual_cndmask_b32 v0, v0, v3
	s_delay_alu instid0(VALU_DEP_1) | instskip(NEXT) | instid1(VALU_DEP_2)
	v_cmp_le_u32_e32 vcc_lo, s3, v1
	v_add_nc_u32_e32 v3, 1, v0
	s_delay_alu instid0(VALU_DEP_1)
	v_dual_mov_b32 v1, 0 :: v_dual_cndmask_b32 v0, v0, v3
.LBB8_4:
	s_or_b32 exec_lo, exec_lo, s2
	s_load_b64 s[8:9], s[0:1], 0x18
	s_delay_alu instid0(VALU_DEP_1) | instskip(NEXT) | instid1(VALU_DEP_1)
	v_mad_u64_u32 v[3:4], null, v0, s3, 0
	v_sub_co_u32 v5, null, v2, v3
	s_delay_alu instid0(VALU_DEP_1) | instskip(SKIP_2) | instid1(VALU_DEP_2)
	v_cmp_gt_i32_e64 s2, s5, v5
	s_waitcnt lgkmcnt(0)
	v_cmp_gt_i64_e32 vcc_lo, s[8:9], v[0:1]
	s_and_b32 s2, vcc_lo, s2
	s_delay_alu instid0(SALU_CYCLE_1)
	s_and_saveexec_b32 s3, s2
	s_cbranch_execz .LBB8_398
; %bb.5:
	s_ashr_i32 s6, s4, 31
	s_load_b64 s[2:3], s[0:1], 0x0
	v_mul_lo_u32 v2, v1, s4
	v_mad_u64_u32 v[6:7], null, v0, s4, 0
	v_mul_lo_u32 v3, v0, s6
	s_delay_alu instid0(VALU_DEP_1) | instskip(SKIP_1) | instid1(VALU_DEP_2)
	v_add3_u32 v7, v7, v3, v2
	v_dual_mov_b32 v3, 0 :: v_dual_lshlrev_b32 v2, 5, v5
	v_lshlrev_b64 v[6:7], 1, v[6:7]
	s_delay_alu instid0(VALU_DEP_2) | instskip(SKIP_1) | instid1(VALU_DEP_2)
	v_lshlrev_b64 v[3:4], 1, v[2:3]
	s_waitcnt lgkmcnt(0)
	v_add_co_u32 v6, vcc_lo, s2, v6
	s_delay_alu instid0(VALU_DEP_3) | instskip(SKIP_1) | instid1(VALU_DEP_2)
	v_add_co_ci_u32_e32 v7, vcc_lo, s3, v7, vcc_lo
	s_mov_b32 s2, exec_lo
	v_add_co_u32 v3, vcc_lo, v6, v3
	s_delay_alu instid0(VALU_DEP_2)
	v_add_co_ci_u32_e32 v4, vcc_lo, v7, v4, vcc_lo
	s_clause 0x3
	global_load_b128 v[6:9], v[3:4], off
	global_load_b128 v[27:30], v[3:4], off offset:16
	global_load_b128 v[53:56], v[3:4], off offset:32
	global_load_b128 v[57:60], v[3:4], off offset:48
	s_waitcnt vmcnt(3)
	v_lshrrev_b32_e32 v3, 16, v6
	v_cvt_f32_f16_e32 v12, v6
	v_lshrrev_b32_e32 v4, 16, v7
	v_cvt_f32_f16_e32 v11, v7
	v_cvt_f32_f16_e32 v15, v8
	;; [unrolled: 1-line block ×3, first 2 shown]
	v_lshrrev_b32_e32 v3, 16, v8
	v_cvt_f32_f16_e32 v14, v4
	v_lshrrev_b32_e32 v6, 16, v9
	v_cvt_f32_f16_e32 v21, v9
	v_max3_f32 v4, |v12|, 0, |v10|
	v_cvt_f32_f16_e32 v19, v3
	s_waitcnt vmcnt(2)
	v_cvt_f32_f16_e32 v33, v28
	v_cvt_f32_f16_e32 v25, v6
	v_lshrrev_b32_e32 v6, 16, v28
	v_max3_f32 v3, v4, |v11|, |v14|
	v_lshrrev_b32_e32 v4, 16, v27
	v_cvt_f32_f16_e32 v27, v27
	v_cvt_f32_f16_e32 v39, v29
	;; [unrolled: 1-line block ×3, first 2 shown]
	v_max3_f32 v3, v3, |v15|, |v19|
	v_cvt_f32_f16_e32 v31, v4
	v_lshrrev_b32_e32 v4, 16, v29
	v_lshrrev_b32_e32 v6, 16, v30
	v_cvt_f32_f16_e32 v45, v30
	v_max3_f32 v3, v3, |v21|, |v25|
	s_waitcnt vmcnt(1)
	v_cvt_f32_f16_e32 v51, v53
	v_cvt_f32_f16_e32 v41, v4
	v_lshrrev_b32_e32 v4, 16, v53
	v_cvt_f32_f16_e32 v47, v6
	v_max3_f32 v3, v3, |v27|, |v31|
	v_lshrrev_b32_e32 v6, 16, v54
	v_cvt_f32_f16_e32 v52, v54
	v_cvt_f32_f16_e32 v53, v4
	v_lshrrev_b32_e32 v4, 16, v55
	v_max3_f32 v3, v3, |v33|, |v36|
	v_cvt_f32_f16_e32 v50, v6
	v_cvt_f32_f16_e32 v46, v55
	v_lshrrev_b32_e32 v6, 16, v56
	v_cvt_f32_f16_e32 v44, v4
	v_max3_f32 v3, v3, |v39|, |v41|
	v_cvt_f32_f16_e32 v40, v56
	s_waitcnt vmcnt(0)
	v_lshrrev_b32_e32 v4, 16, v57
	v_cvt_f32_f16_e32 v38, v6
	v_cvt_f32_f16_e32 v34, v57
	v_max3_f32 v3, v3, |v45|, |v47|
	v_lshrrev_b32_e32 v6, 16, v58
	v_cvt_f32_f16_e32 v32, v4
	v_cvt_f32_f16_e32 v28, v58
	v_lshrrev_b32_e32 v4, 16, v59
	v_max3_f32 v3, v3, |v51|, |v53|
	v_cvt_f32_f16_e32 v26, v6
	v_cvt_f32_f16_e32 v23, v59
	v_lshrrev_b32_e32 v6, 16, v60
	v_cvt_f32_f16_e32 v20, v4
	v_max3_f32 v3, v3, |v52|, |v50|
	v_cvt_f32_f16_e32 v18, v60
	s_delay_alu instid0(VALU_DEP_2) | instskip(NEXT) | instid1(VALU_DEP_1)
	v_max3_f32 v3, v3, |v46|, |v44|
	v_max3_f32 v3, v3, |v40|, |v38|
	s_delay_alu instid0(VALU_DEP_1) | instskip(NEXT) | instid1(VALU_DEP_1)
	v_max3_f32 v3, v3, |v34|, |v32|
	v_max3_f32 v4, v3, |v28|, |v26|
	v_cvt_f32_f16_e32 v3, v6
	s_delay_alu instid0(VALU_DEP_2) | instskip(NEXT) | instid1(VALU_DEP_1)
	v_max3_f32 v4, v4, |v23|, |v20|
	v_max3_f32 v4, v4, |v18|, |v3|
	s_delay_alu instid0(VALU_DEP_1) | instskip(NEXT) | instid1(VALU_DEP_1)
	v_mul_f32_e32 v4, 0x3e2aaaab, v4
	v_and_b32_e32 v6, 0x7fffff, v4
	v_bfe_u32 v4, v4, 23, 8
	s_delay_alu instid0(VALU_DEP_2) | instskip(NEXT) | instid1(VALU_DEP_2)
	v_cmp_ne_u32_e32 vcc_lo, 0, v6
	v_add_co_ci_u32_e32 v6, vcc_lo, 0, v4, vcc_lo
	v_cmp_ne_u32_e32 vcc_lo, 0xff, v4
	s_delay_alu instid0(VALU_DEP_2) | instskip(NEXT) | instid1(VALU_DEP_1)
	v_lshlrev_b32_e32 v6, 23, v6
	v_cndmask_b32_e32 v6, 0x7f800000, v6, vcc_lo
	s_delay_alu instid0(VALU_DEP_1) | instskip(SKIP_1) | instid1(VALU_DEP_2)
	v_div_scale_f32 v4, null, v6, v6, 1.0
	v_div_scale_f32 v9, vcc_lo, 1.0, v6, 1.0
	v_rcp_f32_e32 v7, v4
	s_waitcnt_depctr 0xfff
	v_fma_f32 v8, -v4, v7, 1.0
	s_delay_alu instid0(VALU_DEP_1) | instskip(NEXT) | instid1(VALU_DEP_1)
	v_fmac_f32_e32 v7, v8, v7
	v_mul_f32_e32 v8, v9, v7
	s_delay_alu instid0(VALU_DEP_1) | instskip(NEXT) | instid1(VALU_DEP_1)
	v_fma_f32 v13, -v4, v8, v9
	v_fmac_f32_e32 v8, v13, v7
	s_delay_alu instid0(VALU_DEP_1) | instskip(SKIP_1) | instid1(VALU_DEP_2)
	v_fma_f32 v4, -v4, v8, v9
	v_mov_b32_e32 v9, 7
	v_div_fmas_f32 v4, v4, v7, v8
	v_cmp_neq_f32_e32 vcc_lo, 0, v6
	v_mov_b32_e32 v8, 7
	s_delay_alu instid0(VALU_DEP_3) | instskip(NEXT) | instid1(VALU_DEP_1)
	v_div_fixup_f32 v4, v4, v6, 1.0
	v_cndmask_b32_e32 v4, 0, v4, vcc_lo
	s_delay_alu instid0(VALU_DEP_1) | instskip(NEXT) | instid1(VALU_DEP_1)
	v_mul_f32_e32 v7, v4, v12
	v_cmpx_nle_f32_e64 0x40a00000, |v7|
	s_cbranch_execz .LBB8_17
; %bb.6:
	v_mov_b32_e32 v8, 6
	s_mov_b32 s3, exec_lo
	v_cmpx_nle_f32_e64 0x40600000, |v7|
	s_cbranch_execz .LBB8_16
; %bb.7:
	v_mov_b32_e32 v8, 5
	s_mov_b32 s6, exec_lo
	v_cmpx_nle_f32_e64 0x40200000, |v7|
	s_cbranch_execz .LBB8_15
; %bb.8:
	v_mov_b32_e32 v8, 4
	s_mov_b32 s9, exec_lo
	v_cmpx_nle_f32_e64 0x3fe00000, |v7|
	s_cbranch_execz .LBB8_14
; %bb.9:
	v_mov_b32_e32 v8, 3
	s_mov_b32 s10, exec_lo
	v_cmpx_nle_f32_e64 0x3fa00000, |v7|
	s_cbranch_execz .LBB8_13
; %bb.10:
	v_mov_b32_e32 v8, 2
	s_mov_b32 s11, exec_lo
	v_cmpx_nle_f32_e64 0x3f400000, |v7|
; %bb.11:
	v_cmp_le_f32_e64 s12, 0x3e800000, |v7|
	s_delay_alu instid0(VALU_DEP_1)
	v_cndmask_b32_e64 v8, 0, 1, s12
; %bb.12:
	s_or_b32 exec_lo, exec_lo, s11
.LBB8_13:
	s_delay_alu instid0(SALU_CYCLE_1)
	s_or_b32 exec_lo, exec_lo, s10
.LBB8_14:
	s_delay_alu instid0(SALU_CYCLE_1)
	s_or_b32 exec_lo, exec_lo, s9
.LBB8_15:
	s_delay_alu instid0(SALU_CYCLE_1)
	s_or_b32 exec_lo, exec_lo, s6
.LBB8_16:
	s_delay_alu instid0(SALU_CYCLE_1)
	s_or_b32 exec_lo, exec_lo, s3
.LBB8_17:
	s_delay_alu instid0(SALU_CYCLE_1) | instskip(SKIP_2) | instid1(VALU_DEP_1)
	s_or_b32 exec_lo, exec_lo, s2
	v_mul_f32_e32 v10, v4, v10
	s_mov_b32 s2, exec_lo
	v_cmpx_nle_f32_e64 0x40a00000, |v10|
	s_cbranch_execz .LBB8_29
; %bb.18:
	v_mov_b32_e32 v9, 6
	s_mov_b32 s3, exec_lo
	v_cmpx_nle_f32_e64 0x40600000, |v10|
	s_cbranch_execz .LBB8_28
; %bb.19:
	v_mov_b32_e32 v9, 5
	;; [unrolled: 5-line block ×5, first 2 shown]
	s_mov_b32 s11, exec_lo
	v_cmpx_nle_f32_e64 0x3f400000, |v10|
; %bb.23:
	v_cmp_le_f32_e64 s12, 0x3e800000, |v10|
	s_delay_alu instid0(VALU_DEP_1)
	v_cndmask_b32_e64 v9, 0, 1, s12
; %bb.24:
	s_or_b32 exec_lo, exec_lo, s11
.LBB8_25:
	s_delay_alu instid0(SALU_CYCLE_1)
	s_or_b32 exec_lo, exec_lo, s10
.LBB8_26:
	s_delay_alu instid0(SALU_CYCLE_1)
	s_or_b32 exec_lo, exec_lo, s9
.LBB8_27:
	s_delay_alu instid0(SALU_CYCLE_1)
	s_or_b32 exec_lo, exec_lo, s6
.LBB8_28:
	s_delay_alu instid0(SALU_CYCLE_1)
	s_or_b32 exec_lo, exec_lo, s3
.LBB8_29:
	s_delay_alu instid0(SALU_CYCLE_1) | instskip(SKIP_3) | instid1(VALU_DEP_2)
	s_or_b32 exec_lo, exec_lo, s2
	v_dual_mul_f32 v12, v4, v11 :: v_dual_mov_b32 v11, 7
	v_mov_b32_e32 v13, 7
	s_mov_b32 s2, exec_lo
	v_cmpx_nle_f32_e64 0x40a00000, |v12|
	s_cbranch_execz .LBB8_41
; %bb.30:
	v_mov_b32_e32 v13, 6
	s_mov_b32 s3, exec_lo
	v_cmpx_nle_f32_e64 0x40600000, |v12|
	s_cbranch_execz .LBB8_40
; %bb.31:
	;; [unrolled: 5-line block ×5, first 2 shown]
	v_mov_b32_e32 v13, 2
	s_mov_b32 s11, exec_lo
	v_cmpx_nle_f32_e64 0x3f400000, |v12|
; %bb.35:
	v_cmp_le_f32_e64 s12, 0x3e800000, |v12|
	s_delay_alu instid0(VALU_DEP_1)
	v_cndmask_b32_e64 v13, 0, 1, s12
; %bb.36:
	s_or_b32 exec_lo, exec_lo, s11
.LBB8_37:
	s_delay_alu instid0(SALU_CYCLE_1)
	s_or_b32 exec_lo, exec_lo, s10
.LBB8_38:
	s_delay_alu instid0(SALU_CYCLE_1)
	s_or_b32 exec_lo, exec_lo, s9
.LBB8_39:
	s_delay_alu instid0(SALU_CYCLE_1)
	s_or_b32 exec_lo, exec_lo, s6
.LBB8_40:
	s_delay_alu instid0(SALU_CYCLE_1)
	s_or_b32 exec_lo, exec_lo, s3
.LBB8_41:
	s_delay_alu instid0(SALU_CYCLE_1) | instskip(SKIP_2) | instid1(VALU_DEP_1)
	s_or_b32 exec_lo, exec_lo, s2
	v_mul_f32_e32 v14, v4, v14
	s_mov_b32 s2, exec_lo
	v_cmpx_nle_f32_e64 0x40a00000, |v14|
	s_cbranch_execz .LBB8_53
; %bb.42:
	v_mov_b32_e32 v11, 6
	s_mov_b32 s3, exec_lo
	v_cmpx_nle_f32_e64 0x40600000, |v14|
	s_cbranch_execz .LBB8_52
; %bb.43:
	v_mov_b32_e32 v11, 5
	;; [unrolled: 5-line block ×5, first 2 shown]
	s_mov_b32 s11, exec_lo
	v_cmpx_nle_f32_e64 0x3f400000, |v14|
; %bb.47:
	v_cmp_le_f32_e64 s12, 0x3e800000, |v14|
	s_delay_alu instid0(VALU_DEP_1)
	v_cndmask_b32_e64 v11, 0, 1, s12
; %bb.48:
	s_or_b32 exec_lo, exec_lo, s11
.LBB8_49:
	s_delay_alu instid0(SALU_CYCLE_1)
	s_or_b32 exec_lo, exec_lo, s10
.LBB8_50:
	s_delay_alu instid0(SALU_CYCLE_1)
	s_or_b32 exec_lo, exec_lo, s9
.LBB8_51:
	s_delay_alu instid0(SALU_CYCLE_1)
	s_or_b32 exec_lo, exec_lo, s6
.LBB8_52:
	s_delay_alu instid0(SALU_CYCLE_1)
	s_or_b32 exec_lo, exec_lo, s3
.LBB8_53:
	s_delay_alu instid0(SALU_CYCLE_1) | instskip(SKIP_3) | instid1(VALU_DEP_2)
	s_or_b32 exec_lo, exec_lo, s2
	v_dual_mul_f32 v17, v4, v15 :: v_dual_mov_b32 v16, 7
	v_mov_b32_e32 v15, 7
	s_mov_b32 s2, exec_lo
	v_cmpx_nle_f32_e64 0x40a00000, |v17|
	s_cbranch_execz .LBB8_65
; %bb.54:
	v_mov_b32_e32 v16, 6
	s_mov_b32 s3, exec_lo
	v_cmpx_nle_f32_e64 0x40600000, |v17|
	s_cbranch_execz .LBB8_64
; %bb.55:
	;; [unrolled: 5-line block ×5, first 2 shown]
	v_mov_b32_e32 v16, 2
	s_mov_b32 s11, exec_lo
	v_cmpx_nle_f32_e64 0x3f400000, |v17|
; %bb.59:
	v_cmp_le_f32_e64 s12, 0x3e800000, |v17|
	s_delay_alu instid0(VALU_DEP_1)
	v_cndmask_b32_e64 v16, 0, 1, s12
; %bb.60:
	s_or_b32 exec_lo, exec_lo, s11
.LBB8_61:
	s_delay_alu instid0(SALU_CYCLE_1)
	s_or_b32 exec_lo, exec_lo, s10
.LBB8_62:
	s_delay_alu instid0(SALU_CYCLE_1)
	s_or_b32 exec_lo, exec_lo, s9
.LBB8_63:
	s_delay_alu instid0(SALU_CYCLE_1)
	s_or_b32 exec_lo, exec_lo, s6
.LBB8_64:
	s_delay_alu instid0(SALU_CYCLE_1)
	s_or_b32 exec_lo, exec_lo, s3
.LBB8_65:
	s_delay_alu instid0(SALU_CYCLE_1) | instskip(SKIP_2) | instid1(VALU_DEP_1)
	s_or_b32 exec_lo, exec_lo, s2
	v_mul_f32_e32 v19, v4, v19
	s_mov_b32 s2, exec_lo
	v_cmpx_nle_f32_e64 0x40a00000, |v19|
	s_cbranch_execz .LBB8_77
; %bb.66:
	v_mov_b32_e32 v15, 6
	s_mov_b32 s3, exec_lo
	v_cmpx_nle_f32_e64 0x40600000, |v19|
	s_cbranch_execz .LBB8_76
; %bb.67:
	v_mov_b32_e32 v15, 5
	;; [unrolled: 5-line block ×5, first 2 shown]
	s_mov_b32 s11, exec_lo
	v_cmpx_nle_f32_e64 0x3f400000, |v19|
; %bb.71:
	v_cmp_le_f32_e64 s12, 0x3e800000, |v19|
	s_delay_alu instid0(VALU_DEP_1)
	v_cndmask_b32_e64 v15, 0, 1, s12
; %bb.72:
	s_or_b32 exec_lo, exec_lo, s11
.LBB8_73:
	s_delay_alu instid0(SALU_CYCLE_1)
	s_or_b32 exec_lo, exec_lo, s10
.LBB8_74:
	s_delay_alu instid0(SALU_CYCLE_1)
	s_or_b32 exec_lo, exec_lo, s9
.LBB8_75:
	s_delay_alu instid0(SALU_CYCLE_1)
	s_or_b32 exec_lo, exec_lo, s6
.LBB8_76:
	s_delay_alu instid0(SALU_CYCLE_1)
	s_or_b32 exec_lo, exec_lo, s3
.LBB8_77:
	s_delay_alu instid0(SALU_CYCLE_1) | instskip(SKIP_3) | instid1(VALU_DEP_2)
	s_or_b32 exec_lo, exec_lo, s2
	v_dual_mul_f32 v24, v4, v21 :: v_dual_mov_b32 v21, 7
	v_mov_b32_e32 v22, 7
	s_mov_b32 s2, exec_lo
	v_cmpx_nle_f32_e64 0x40a00000, |v24|
	s_cbranch_execz .LBB8_89
; %bb.78:
	v_mov_b32_e32 v22, 6
	s_mov_b32 s3, exec_lo
	v_cmpx_nle_f32_e64 0x40600000, |v24|
	s_cbranch_execz .LBB8_88
; %bb.79:
	;; [unrolled: 5-line block ×5, first 2 shown]
	v_mov_b32_e32 v22, 2
	s_mov_b32 s11, exec_lo
	v_cmpx_nle_f32_e64 0x3f400000, |v24|
; %bb.83:
	v_cmp_le_f32_e64 s12, 0x3e800000, |v24|
	s_delay_alu instid0(VALU_DEP_1)
	v_cndmask_b32_e64 v22, 0, 1, s12
; %bb.84:
	s_or_b32 exec_lo, exec_lo, s11
.LBB8_85:
	s_delay_alu instid0(SALU_CYCLE_1)
	s_or_b32 exec_lo, exec_lo, s10
.LBB8_86:
	s_delay_alu instid0(SALU_CYCLE_1)
	s_or_b32 exec_lo, exec_lo, s9
.LBB8_87:
	s_delay_alu instid0(SALU_CYCLE_1)
	s_or_b32 exec_lo, exec_lo, s6
.LBB8_88:
	s_delay_alu instid0(SALU_CYCLE_1)
	s_or_b32 exec_lo, exec_lo, s3
.LBB8_89:
	s_delay_alu instid0(SALU_CYCLE_1) | instskip(SKIP_2) | instid1(VALU_DEP_1)
	s_or_b32 exec_lo, exec_lo, s2
	v_mul_f32_e32 v25, v4, v25
	s_mov_b32 s2, exec_lo
	v_cmpx_nle_f32_e64 0x40a00000, |v25|
	s_cbranch_execz .LBB8_101
; %bb.90:
	v_mov_b32_e32 v21, 6
	s_mov_b32 s3, exec_lo
	v_cmpx_nle_f32_e64 0x40600000, |v25|
	s_cbranch_execz .LBB8_100
; %bb.91:
	v_mov_b32_e32 v21, 5
	;; [unrolled: 5-line block ×5, first 2 shown]
	s_mov_b32 s11, exec_lo
	v_cmpx_nle_f32_e64 0x3f400000, |v25|
; %bb.95:
	v_cmp_le_f32_e64 s12, 0x3e800000, |v25|
	s_delay_alu instid0(VALU_DEP_1)
	v_cndmask_b32_e64 v21, 0, 1, s12
; %bb.96:
	s_or_b32 exec_lo, exec_lo, s11
.LBB8_97:
	s_delay_alu instid0(SALU_CYCLE_1)
	s_or_b32 exec_lo, exec_lo, s10
.LBB8_98:
	s_delay_alu instid0(SALU_CYCLE_1)
	s_or_b32 exec_lo, exec_lo, s9
.LBB8_99:
	s_delay_alu instid0(SALU_CYCLE_1)
	s_or_b32 exec_lo, exec_lo, s6
.LBB8_100:
	s_delay_alu instid0(SALU_CYCLE_1)
	s_or_b32 exec_lo, exec_lo, s3
.LBB8_101:
	s_delay_alu instid0(SALU_CYCLE_1) | instskip(SKIP_3) | instid1(VALU_DEP_2)
	s_or_b32 exec_lo, exec_lo, s2
	v_dual_mul_f32 v29, v4, v27 :: v_dual_mov_b32 v30, 7
	v_mov_b32_e32 v27, 7
	s_mov_b32 s2, exec_lo
	v_cmpx_nle_f32_e64 0x40a00000, |v29|
	s_cbranch_execz .LBB8_113
; %bb.102:
	v_mov_b32_e32 v30, 6
	s_mov_b32 s3, exec_lo
	v_cmpx_nle_f32_e64 0x40600000, |v29|
	s_cbranch_execz .LBB8_112
; %bb.103:
	;; [unrolled: 5-line block ×5, first 2 shown]
	v_mov_b32_e32 v30, 2
	s_mov_b32 s11, exec_lo
	v_cmpx_nle_f32_e64 0x3f400000, |v29|
; %bb.107:
	v_cmp_le_f32_e64 s12, 0x3e800000, |v29|
	s_delay_alu instid0(VALU_DEP_1)
	v_cndmask_b32_e64 v30, 0, 1, s12
; %bb.108:
	s_or_b32 exec_lo, exec_lo, s11
.LBB8_109:
	s_delay_alu instid0(SALU_CYCLE_1)
	s_or_b32 exec_lo, exec_lo, s10
.LBB8_110:
	s_delay_alu instid0(SALU_CYCLE_1)
	s_or_b32 exec_lo, exec_lo, s9
.LBB8_111:
	s_delay_alu instid0(SALU_CYCLE_1)
	s_or_b32 exec_lo, exec_lo, s6
.LBB8_112:
	s_delay_alu instid0(SALU_CYCLE_1)
	s_or_b32 exec_lo, exec_lo, s3
.LBB8_113:
	s_delay_alu instid0(SALU_CYCLE_1) | instskip(SKIP_2) | instid1(VALU_DEP_1)
	s_or_b32 exec_lo, exec_lo, s2
	v_mul_f32_e32 v31, v4, v31
	s_mov_b32 s2, exec_lo
	v_cmpx_nle_f32_e64 0x40a00000, |v31|
	s_cbranch_execz .LBB8_125
; %bb.114:
	v_mov_b32_e32 v27, 6
	s_mov_b32 s3, exec_lo
	v_cmpx_nle_f32_e64 0x40600000, |v31|
	s_cbranch_execz .LBB8_124
; %bb.115:
	v_mov_b32_e32 v27, 5
	;; [unrolled: 5-line block ×5, first 2 shown]
	s_mov_b32 s11, exec_lo
	v_cmpx_nle_f32_e64 0x3f400000, |v31|
; %bb.119:
	v_cmp_le_f32_e64 s12, 0x3e800000, |v31|
	s_delay_alu instid0(VALU_DEP_1)
	v_cndmask_b32_e64 v27, 0, 1, s12
; %bb.120:
	s_or_b32 exec_lo, exec_lo, s11
.LBB8_121:
	s_delay_alu instid0(SALU_CYCLE_1)
	s_or_b32 exec_lo, exec_lo, s10
.LBB8_122:
	s_delay_alu instid0(SALU_CYCLE_1)
	s_or_b32 exec_lo, exec_lo, s9
.LBB8_123:
	s_delay_alu instid0(SALU_CYCLE_1)
	s_or_b32 exec_lo, exec_lo, s6
.LBB8_124:
	s_delay_alu instid0(SALU_CYCLE_1)
	s_or_b32 exec_lo, exec_lo, s3
.LBB8_125:
	s_delay_alu instid0(SALU_CYCLE_1) | instskip(SKIP_4) | instid1(VALU_DEP_3)
	s_or_b32 exec_lo, exec_lo, s2
	v_mul_f32_e32 v35, v4, v33
	v_mov_b32_e32 v33, 7
	v_mov_b32_e32 v37, 7
	s_mov_b32 s2, exec_lo
	v_cmpx_nle_f32_e64 0x40a00000, |v35|
	s_cbranch_execz .LBB8_137
; %bb.126:
	v_mov_b32_e32 v37, 6
	s_mov_b32 s3, exec_lo
	v_cmpx_nle_f32_e64 0x40600000, |v35|
	s_cbranch_execz .LBB8_136
; %bb.127:
	;; [unrolled: 5-line block ×5, first 2 shown]
	v_mov_b32_e32 v37, 2
	s_mov_b32 s11, exec_lo
	v_cmpx_nle_f32_e64 0x3f400000, |v35|
; %bb.131:
	v_cmp_le_f32_e64 s12, 0x3e800000, |v35|
	s_delay_alu instid0(VALU_DEP_1)
	v_cndmask_b32_e64 v37, 0, 1, s12
; %bb.132:
	s_or_b32 exec_lo, exec_lo, s11
.LBB8_133:
	s_delay_alu instid0(SALU_CYCLE_1)
	s_or_b32 exec_lo, exec_lo, s10
.LBB8_134:
	s_delay_alu instid0(SALU_CYCLE_1)
	s_or_b32 exec_lo, exec_lo, s9
.LBB8_135:
	s_delay_alu instid0(SALU_CYCLE_1)
	s_or_b32 exec_lo, exec_lo, s6
.LBB8_136:
	s_delay_alu instid0(SALU_CYCLE_1)
	s_or_b32 exec_lo, exec_lo, s3
.LBB8_137:
	s_delay_alu instid0(SALU_CYCLE_1) | instskip(SKIP_2) | instid1(VALU_DEP_1)
	s_or_b32 exec_lo, exec_lo, s2
	v_mul_f32_e32 v36, v4, v36
	s_mov_b32 s2, exec_lo
	v_cmpx_nle_f32_e64 0x40a00000, |v36|
	s_cbranch_execz .LBB8_149
; %bb.138:
	v_mov_b32_e32 v33, 6
	s_mov_b32 s3, exec_lo
	v_cmpx_nle_f32_e64 0x40600000, |v36|
	s_cbranch_execz .LBB8_148
; %bb.139:
	v_mov_b32_e32 v33, 5
	;; [unrolled: 5-line block ×5, first 2 shown]
	s_mov_b32 s11, exec_lo
	v_cmpx_nle_f32_e64 0x3f400000, |v36|
; %bb.143:
	v_cmp_le_f32_e64 s12, 0x3e800000, |v36|
	s_delay_alu instid0(VALU_DEP_1)
	v_cndmask_b32_e64 v33, 0, 1, s12
; %bb.144:
	s_or_b32 exec_lo, exec_lo, s11
.LBB8_145:
	s_delay_alu instid0(SALU_CYCLE_1)
	s_or_b32 exec_lo, exec_lo, s10
.LBB8_146:
	s_delay_alu instid0(SALU_CYCLE_1)
	s_or_b32 exec_lo, exec_lo, s9
.LBB8_147:
	s_delay_alu instid0(SALU_CYCLE_1)
	s_or_b32 exec_lo, exec_lo, s6
.LBB8_148:
	s_delay_alu instid0(SALU_CYCLE_1)
	s_or_b32 exec_lo, exec_lo, s3
.LBB8_149:
	s_delay_alu instid0(SALU_CYCLE_1) | instskip(SKIP_3) | instid1(VALU_DEP_2)
	s_or_b32 exec_lo, exec_lo, s2
	v_dual_mul_f32 v43, v4, v39 :: v_dual_mov_b32 v42, 7
	v_mov_b32_e32 v39, 7
	s_mov_b32 s2, exec_lo
	v_cmpx_nle_f32_e64 0x40a00000, |v43|
	s_cbranch_execz .LBB8_161
; %bb.150:
	v_mov_b32_e32 v42, 6
	s_mov_b32 s3, exec_lo
	v_cmpx_nle_f32_e64 0x40600000, |v43|
	s_cbranch_execz .LBB8_160
; %bb.151:
	;; [unrolled: 5-line block ×5, first 2 shown]
	v_mov_b32_e32 v42, 2
	s_mov_b32 s11, exec_lo
	v_cmpx_nle_f32_e64 0x3f400000, |v43|
; %bb.155:
	v_cmp_le_f32_e64 s12, 0x3e800000, |v43|
	s_delay_alu instid0(VALU_DEP_1)
	v_cndmask_b32_e64 v42, 0, 1, s12
; %bb.156:
	s_or_b32 exec_lo, exec_lo, s11
.LBB8_157:
	s_delay_alu instid0(SALU_CYCLE_1)
	s_or_b32 exec_lo, exec_lo, s10
.LBB8_158:
	s_delay_alu instid0(SALU_CYCLE_1)
	s_or_b32 exec_lo, exec_lo, s9
.LBB8_159:
	s_delay_alu instid0(SALU_CYCLE_1)
	s_or_b32 exec_lo, exec_lo, s6
.LBB8_160:
	s_delay_alu instid0(SALU_CYCLE_1)
	s_or_b32 exec_lo, exec_lo, s3
.LBB8_161:
	s_delay_alu instid0(SALU_CYCLE_1) | instskip(SKIP_2) | instid1(VALU_DEP_1)
	s_or_b32 exec_lo, exec_lo, s2
	v_mul_f32_e32 v41, v4, v41
	s_mov_b32 s2, exec_lo
	v_cmpx_nle_f32_e64 0x40a00000, |v41|
	s_cbranch_execz .LBB8_173
; %bb.162:
	v_mov_b32_e32 v39, 6
	s_mov_b32 s3, exec_lo
	v_cmpx_nle_f32_e64 0x40600000, |v41|
	s_cbranch_execz .LBB8_172
; %bb.163:
	v_mov_b32_e32 v39, 5
	;; [unrolled: 5-line block ×5, first 2 shown]
	s_mov_b32 s11, exec_lo
	v_cmpx_nle_f32_e64 0x3f400000, |v41|
; %bb.167:
	v_cmp_le_f32_e64 s12, 0x3e800000, |v41|
	s_delay_alu instid0(VALU_DEP_1)
	v_cndmask_b32_e64 v39, 0, 1, s12
; %bb.168:
	s_or_b32 exec_lo, exec_lo, s11
.LBB8_169:
	s_delay_alu instid0(SALU_CYCLE_1)
	s_or_b32 exec_lo, exec_lo, s10
.LBB8_170:
	s_delay_alu instid0(SALU_CYCLE_1)
	s_or_b32 exec_lo, exec_lo, s9
.LBB8_171:
	s_delay_alu instid0(SALU_CYCLE_1)
	s_or_b32 exec_lo, exec_lo, s6
.LBB8_172:
	s_delay_alu instid0(SALU_CYCLE_1)
	s_or_b32 exec_lo, exec_lo, s3
.LBB8_173:
	s_delay_alu instid0(SALU_CYCLE_1) | instskip(SKIP_3) | instid1(VALU_DEP_2)
	s_or_b32 exec_lo, exec_lo, s2
	v_dual_mul_f32 v49, v4, v45 :: v_dual_mov_b32 v48, 7
	v_mov_b32_e32 v45, 7
	s_mov_b32 s2, exec_lo
	v_cmpx_nle_f32_e64 0x40a00000, |v49|
	s_cbranch_execz .LBB8_185
; %bb.174:
	v_mov_b32_e32 v48, 6
	s_mov_b32 s3, exec_lo
	v_cmpx_nle_f32_e64 0x40600000, |v49|
	s_cbranch_execz .LBB8_184
; %bb.175:
	;; [unrolled: 5-line block ×5, first 2 shown]
	v_mov_b32_e32 v48, 2
	s_mov_b32 s11, exec_lo
	v_cmpx_nle_f32_e64 0x3f400000, |v49|
; %bb.179:
	v_cmp_le_f32_e64 s12, 0x3e800000, |v49|
	s_delay_alu instid0(VALU_DEP_1)
	v_cndmask_b32_e64 v48, 0, 1, s12
; %bb.180:
	s_or_b32 exec_lo, exec_lo, s11
.LBB8_181:
	s_delay_alu instid0(SALU_CYCLE_1)
	s_or_b32 exec_lo, exec_lo, s10
.LBB8_182:
	s_delay_alu instid0(SALU_CYCLE_1)
	s_or_b32 exec_lo, exec_lo, s9
.LBB8_183:
	s_delay_alu instid0(SALU_CYCLE_1)
	s_or_b32 exec_lo, exec_lo, s6
.LBB8_184:
	s_delay_alu instid0(SALU_CYCLE_1)
	s_or_b32 exec_lo, exec_lo, s3
.LBB8_185:
	s_delay_alu instid0(SALU_CYCLE_1) | instskip(SKIP_2) | instid1(VALU_DEP_1)
	s_or_b32 exec_lo, exec_lo, s2
	v_mul_f32_e32 v47, v4, v47
	s_mov_b32 s2, exec_lo
	v_cmpx_nle_f32_e64 0x40a00000, |v47|
	s_cbranch_execz .LBB8_197
; %bb.186:
	v_mov_b32_e32 v45, 6
	s_mov_b32 s3, exec_lo
	v_cmpx_nle_f32_e64 0x40600000, |v47|
	s_cbranch_execz .LBB8_196
; %bb.187:
	v_mov_b32_e32 v45, 5
	;; [unrolled: 5-line block ×5, first 2 shown]
	s_mov_b32 s11, exec_lo
	v_cmpx_nle_f32_e64 0x3f400000, |v47|
; %bb.191:
	v_cmp_le_f32_e64 s12, 0x3e800000, |v47|
	s_delay_alu instid0(VALU_DEP_1)
	v_cndmask_b32_e64 v45, 0, 1, s12
; %bb.192:
	s_or_b32 exec_lo, exec_lo, s11
.LBB8_193:
	s_delay_alu instid0(SALU_CYCLE_1)
	s_or_b32 exec_lo, exec_lo, s10
.LBB8_194:
	s_delay_alu instid0(SALU_CYCLE_1)
	s_or_b32 exec_lo, exec_lo, s9
.LBB8_195:
	s_delay_alu instid0(SALU_CYCLE_1)
	s_or_b32 exec_lo, exec_lo, s6
.LBB8_196:
	s_delay_alu instid0(SALU_CYCLE_1)
	s_or_b32 exec_lo, exec_lo, s3
.LBB8_197:
	s_delay_alu instid0(SALU_CYCLE_1) | instskip(SKIP_3) | instid1(VALU_DEP_2)
	s_or_b32 exec_lo, exec_lo, s2
	v_dual_mul_f32 v55, v4, v51 :: v_dual_mov_b32 v54, 7
	v_mov_b32_e32 v51, 7
	s_mov_b32 s2, exec_lo
	v_cmpx_nle_f32_e64 0x40a00000, |v55|
	s_cbranch_execz .LBB8_209
; %bb.198:
	v_mov_b32_e32 v54, 6
	s_mov_b32 s3, exec_lo
	v_cmpx_nle_f32_e64 0x40600000, |v55|
	s_cbranch_execz .LBB8_208
; %bb.199:
	;; [unrolled: 5-line block ×5, first 2 shown]
	v_mov_b32_e32 v54, 2
	s_mov_b32 s11, exec_lo
	v_cmpx_nle_f32_e64 0x3f400000, |v55|
; %bb.203:
	v_cmp_le_f32_e64 s12, 0x3e800000, |v55|
	s_delay_alu instid0(VALU_DEP_1)
	v_cndmask_b32_e64 v54, 0, 1, s12
; %bb.204:
	s_or_b32 exec_lo, exec_lo, s11
.LBB8_205:
	s_delay_alu instid0(SALU_CYCLE_1)
	s_or_b32 exec_lo, exec_lo, s10
.LBB8_206:
	s_delay_alu instid0(SALU_CYCLE_1)
	s_or_b32 exec_lo, exec_lo, s9
.LBB8_207:
	s_delay_alu instid0(SALU_CYCLE_1)
	s_or_b32 exec_lo, exec_lo, s6
.LBB8_208:
	s_delay_alu instid0(SALU_CYCLE_1)
	s_or_b32 exec_lo, exec_lo, s3
.LBB8_209:
	s_delay_alu instid0(SALU_CYCLE_1) | instskip(SKIP_2) | instid1(VALU_DEP_1)
	s_or_b32 exec_lo, exec_lo, s2
	v_mul_f32_e32 v53, v4, v53
	s_mov_b32 s2, exec_lo
	v_cmpx_nle_f32_e64 0x40a00000, |v53|
	s_cbranch_execz .LBB8_221
; %bb.210:
	v_mov_b32_e32 v51, 6
	s_mov_b32 s3, exec_lo
	v_cmpx_nle_f32_e64 0x40600000, |v53|
	s_cbranch_execz .LBB8_220
; %bb.211:
	v_mov_b32_e32 v51, 5
	;; [unrolled: 5-line block ×5, first 2 shown]
	s_mov_b32 s11, exec_lo
	v_cmpx_nle_f32_e64 0x3f400000, |v53|
; %bb.215:
	v_cmp_le_f32_e64 s12, 0x3e800000, |v53|
	s_delay_alu instid0(VALU_DEP_1)
	v_cndmask_b32_e64 v51, 0, 1, s12
; %bb.216:
	s_or_b32 exec_lo, exec_lo, s11
.LBB8_217:
	s_delay_alu instid0(SALU_CYCLE_1)
	s_or_b32 exec_lo, exec_lo, s10
.LBB8_218:
	s_delay_alu instid0(SALU_CYCLE_1)
	s_or_b32 exec_lo, exec_lo, s9
.LBB8_219:
	s_delay_alu instid0(SALU_CYCLE_1)
	s_or_b32 exec_lo, exec_lo, s6
.LBB8_220:
	s_delay_alu instid0(SALU_CYCLE_1)
	s_or_b32 exec_lo, exec_lo, s3
.LBB8_221:
	s_delay_alu instid0(SALU_CYCLE_1) | instskip(SKIP_3) | instid1(VALU_DEP_2)
	s_or_b32 exec_lo, exec_lo, s2
	v_dual_mul_f32 v56, v4, v52 :: v_dual_mov_b32 v57, 7
	v_mov_b32_e32 v52, 7
	s_mov_b32 s2, exec_lo
	v_cmpx_nle_f32_e64 0x40a00000, |v56|
	s_cbranch_execz .LBB8_233
; %bb.222:
	v_mov_b32_e32 v57, 6
	s_mov_b32 s3, exec_lo
	v_cmpx_nle_f32_e64 0x40600000, |v56|
	s_cbranch_execz .LBB8_232
; %bb.223:
	;; [unrolled: 5-line block ×5, first 2 shown]
	v_mov_b32_e32 v57, 2
	s_mov_b32 s11, exec_lo
	v_cmpx_nle_f32_e64 0x3f400000, |v56|
; %bb.227:
	v_cmp_le_f32_e64 s12, 0x3e800000, |v56|
	s_delay_alu instid0(VALU_DEP_1)
	v_cndmask_b32_e64 v57, 0, 1, s12
; %bb.228:
	s_or_b32 exec_lo, exec_lo, s11
.LBB8_229:
	s_delay_alu instid0(SALU_CYCLE_1)
	s_or_b32 exec_lo, exec_lo, s10
.LBB8_230:
	s_delay_alu instid0(SALU_CYCLE_1)
	s_or_b32 exec_lo, exec_lo, s9
.LBB8_231:
	s_delay_alu instid0(SALU_CYCLE_1)
	s_or_b32 exec_lo, exec_lo, s6
.LBB8_232:
	s_delay_alu instid0(SALU_CYCLE_1)
	s_or_b32 exec_lo, exec_lo, s3
.LBB8_233:
	s_delay_alu instid0(SALU_CYCLE_1) | instskip(SKIP_2) | instid1(VALU_DEP_1)
	s_or_b32 exec_lo, exec_lo, s2
	v_mul_f32_e32 v50, v4, v50
	s_mov_b32 s2, exec_lo
	v_cmpx_nle_f32_e64 0x40a00000, |v50|
	s_cbranch_execz .LBB8_245
; %bb.234:
	v_mov_b32_e32 v52, 6
	s_mov_b32 s3, exec_lo
	v_cmpx_nle_f32_e64 0x40600000, |v50|
	s_cbranch_execz .LBB8_244
; %bb.235:
	v_mov_b32_e32 v52, 5
	;; [unrolled: 5-line block ×5, first 2 shown]
	s_mov_b32 s11, exec_lo
	v_cmpx_nle_f32_e64 0x3f400000, |v50|
; %bb.239:
	v_cmp_le_f32_e64 s12, 0x3e800000, |v50|
	s_delay_alu instid0(VALU_DEP_1)
	v_cndmask_b32_e64 v52, 0, 1, s12
; %bb.240:
	s_or_b32 exec_lo, exec_lo, s11
.LBB8_241:
	s_delay_alu instid0(SALU_CYCLE_1)
	s_or_b32 exec_lo, exec_lo, s10
.LBB8_242:
	s_delay_alu instid0(SALU_CYCLE_1)
	s_or_b32 exec_lo, exec_lo, s9
.LBB8_243:
	s_delay_alu instid0(SALU_CYCLE_1)
	s_or_b32 exec_lo, exec_lo, s6
.LBB8_244:
	s_delay_alu instid0(SALU_CYCLE_1)
	s_or_b32 exec_lo, exec_lo, s3
.LBB8_245:
	s_delay_alu instid0(SALU_CYCLE_1) | instskip(SKIP_3) | instid1(VALU_DEP_2)
	s_or_b32 exec_lo, exec_lo, s2
	v_dual_mul_f32 v58, v4, v46 :: v_dual_mov_b32 v59, 7
	v_mov_b32_e32 v46, 7
	s_mov_b32 s2, exec_lo
	v_cmpx_nle_f32_e64 0x40a00000, |v58|
	s_cbranch_execz .LBB8_257
; %bb.246:
	v_mov_b32_e32 v59, 6
	s_mov_b32 s3, exec_lo
	v_cmpx_nle_f32_e64 0x40600000, |v58|
	s_cbranch_execz .LBB8_256
; %bb.247:
	;; [unrolled: 5-line block ×5, first 2 shown]
	v_mov_b32_e32 v59, 2
	s_mov_b32 s11, exec_lo
	v_cmpx_nle_f32_e64 0x3f400000, |v58|
; %bb.251:
	v_cmp_le_f32_e64 s12, 0x3e800000, |v58|
	s_delay_alu instid0(VALU_DEP_1)
	v_cndmask_b32_e64 v59, 0, 1, s12
; %bb.252:
	s_or_b32 exec_lo, exec_lo, s11
.LBB8_253:
	s_delay_alu instid0(SALU_CYCLE_1)
	s_or_b32 exec_lo, exec_lo, s10
.LBB8_254:
	s_delay_alu instid0(SALU_CYCLE_1)
	s_or_b32 exec_lo, exec_lo, s9
.LBB8_255:
	s_delay_alu instid0(SALU_CYCLE_1)
	s_or_b32 exec_lo, exec_lo, s6
.LBB8_256:
	s_delay_alu instid0(SALU_CYCLE_1)
	s_or_b32 exec_lo, exec_lo, s3
.LBB8_257:
	s_delay_alu instid0(SALU_CYCLE_1) | instskip(SKIP_2) | instid1(VALU_DEP_1)
	s_or_b32 exec_lo, exec_lo, s2
	v_mul_f32_e32 v44, v4, v44
	s_mov_b32 s2, exec_lo
	v_cmpx_nle_f32_e64 0x40a00000, |v44|
	s_cbranch_execz .LBB8_269
; %bb.258:
	v_mov_b32_e32 v46, 6
	s_mov_b32 s3, exec_lo
	v_cmpx_nle_f32_e64 0x40600000, |v44|
	s_cbranch_execz .LBB8_268
; %bb.259:
	v_mov_b32_e32 v46, 5
	;; [unrolled: 5-line block ×5, first 2 shown]
	s_mov_b32 s11, exec_lo
	v_cmpx_nle_f32_e64 0x3f400000, |v44|
; %bb.263:
	v_cmp_le_f32_e64 s12, 0x3e800000, |v44|
	s_delay_alu instid0(VALU_DEP_1)
	v_cndmask_b32_e64 v46, 0, 1, s12
; %bb.264:
	s_or_b32 exec_lo, exec_lo, s11
.LBB8_265:
	s_delay_alu instid0(SALU_CYCLE_1)
	s_or_b32 exec_lo, exec_lo, s10
.LBB8_266:
	s_delay_alu instid0(SALU_CYCLE_1)
	s_or_b32 exec_lo, exec_lo, s9
.LBB8_267:
	s_delay_alu instid0(SALU_CYCLE_1)
	s_or_b32 exec_lo, exec_lo, s6
.LBB8_268:
	s_delay_alu instid0(SALU_CYCLE_1)
	s_or_b32 exec_lo, exec_lo, s3
.LBB8_269:
	s_delay_alu instid0(SALU_CYCLE_1) | instskip(SKIP_3) | instid1(VALU_DEP_2)
	s_or_b32 exec_lo, exec_lo, s2
	v_dual_mul_f32 v61, v4, v40 :: v_dual_mov_b32 v40, 7
	v_mov_b32_e32 v60, 7
	s_mov_b32 s2, exec_lo
	v_cmpx_nle_f32_e64 0x40a00000, |v61|
	s_cbranch_execz .LBB8_281
; %bb.270:
	v_mov_b32_e32 v60, 6
	s_mov_b32 s3, exec_lo
	v_cmpx_nle_f32_e64 0x40600000, |v61|
	s_cbranch_execz .LBB8_280
; %bb.271:
	;; [unrolled: 5-line block ×5, first 2 shown]
	v_mov_b32_e32 v60, 2
	s_mov_b32 s11, exec_lo
	v_cmpx_nle_f32_e64 0x3f400000, |v61|
; %bb.275:
	v_cmp_le_f32_e64 s12, 0x3e800000, |v61|
	s_delay_alu instid0(VALU_DEP_1)
	v_cndmask_b32_e64 v60, 0, 1, s12
; %bb.276:
	s_or_b32 exec_lo, exec_lo, s11
.LBB8_277:
	s_delay_alu instid0(SALU_CYCLE_1)
	s_or_b32 exec_lo, exec_lo, s10
.LBB8_278:
	s_delay_alu instid0(SALU_CYCLE_1)
	s_or_b32 exec_lo, exec_lo, s9
.LBB8_279:
	s_delay_alu instid0(SALU_CYCLE_1)
	s_or_b32 exec_lo, exec_lo, s6
.LBB8_280:
	s_delay_alu instid0(SALU_CYCLE_1)
	s_or_b32 exec_lo, exec_lo, s3
.LBB8_281:
	s_delay_alu instid0(SALU_CYCLE_1) | instskip(SKIP_2) | instid1(VALU_DEP_1)
	s_or_b32 exec_lo, exec_lo, s2
	v_mul_f32_e32 v38, v4, v38
	s_mov_b32 s2, exec_lo
	v_cmpx_nle_f32_e64 0x40a00000, |v38|
	s_cbranch_execz .LBB8_293
; %bb.282:
	v_mov_b32_e32 v40, 6
	s_mov_b32 s3, exec_lo
	v_cmpx_nle_f32_e64 0x40600000, |v38|
	s_cbranch_execz .LBB8_292
; %bb.283:
	v_mov_b32_e32 v40, 5
	;; [unrolled: 5-line block ×5, first 2 shown]
	s_mov_b32 s11, exec_lo
	v_cmpx_nle_f32_e64 0x3f400000, |v38|
; %bb.287:
	v_cmp_le_f32_e64 s12, 0x3e800000, |v38|
	s_delay_alu instid0(VALU_DEP_1)
	v_cndmask_b32_e64 v40, 0, 1, s12
; %bb.288:
	s_or_b32 exec_lo, exec_lo, s11
.LBB8_289:
	s_delay_alu instid0(SALU_CYCLE_1)
	s_or_b32 exec_lo, exec_lo, s10
.LBB8_290:
	s_delay_alu instid0(SALU_CYCLE_1)
	s_or_b32 exec_lo, exec_lo, s9
.LBB8_291:
	s_delay_alu instid0(SALU_CYCLE_1)
	s_or_b32 exec_lo, exec_lo, s6
.LBB8_292:
	s_delay_alu instid0(SALU_CYCLE_1)
	s_or_b32 exec_lo, exec_lo, s3
.LBB8_293:
	s_delay_alu instid0(SALU_CYCLE_1) | instskip(SKIP_3) | instid1(VALU_DEP_2)
	s_or_b32 exec_lo, exec_lo, s2
	v_dual_mul_f32 v63, v4, v34 :: v_dual_mov_b32 v34, 7
	v_mov_b32_e32 v62, 7
	s_mov_b32 s2, exec_lo
	v_cmpx_nle_f32_e64 0x40a00000, |v63|
	s_cbranch_execz .LBB8_305
; %bb.294:
	v_mov_b32_e32 v62, 6
	s_mov_b32 s3, exec_lo
	v_cmpx_nle_f32_e64 0x40600000, |v63|
	s_cbranch_execz .LBB8_304
; %bb.295:
	;; [unrolled: 5-line block ×5, first 2 shown]
	v_mov_b32_e32 v62, 2
	s_mov_b32 s11, exec_lo
	v_cmpx_nle_f32_e64 0x3f400000, |v63|
; %bb.299:
	v_cmp_le_f32_e64 s12, 0x3e800000, |v63|
	s_delay_alu instid0(VALU_DEP_1)
	v_cndmask_b32_e64 v62, 0, 1, s12
; %bb.300:
	s_or_b32 exec_lo, exec_lo, s11
.LBB8_301:
	s_delay_alu instid0(SALU_CYCLE_1)
	s_or_b32 exec_lo, exec_lo, s10
.LBB8_302:
	s_delay_alu instid0(SALU_CYCLE_1)
	s_or_b32 exec_lo, exec_lo, s9
.LBB8_303:
	s_delay_alu instid0(SALU_CYCLE_1)
	s_or_b32 exec_lo, exec_lo, s6
.LBB8_304:
	s_delay_alu instid0(SALU_CYCLE_1)
	s_or_b32 exec_lo, exec_lo, s3
.LBB8_305:
	s_delay_alu instid0(SALU_CYCLE_1) | instskip(SKIP_2) | instid1(VALU_DEP_1)
	s_or_b32 exec_lo, exec_lo, s2
	v_mul_f32_e32 v32, v4, v32
	s_mov_b32 s2, exec_lo
	v_cmpx_nle_f32_e64 0x40a00000, |v32|
	s_cbranch_execz .LBB8_317
; %bb.306:
	v_mov_b32_e32 v34, 6
	s_mov_b32 s3, exec_lo
	v_cmpx_nle_f32_e64 0x40600000, |v32|
	s_cbranch_execz .LBB8_316
; %bb.307:
	v_mov_b32_e32 v34, 5
	;; [unrolled: 5-line block ×5, first 2 shown]
	s_mov_b32 s11, exec_lo
	v_cmpx_nle_f32_e64 0x3f400000, |v32|
; %bb.311:
	v_cmp_le_f32_e64 s12, 0x3e800000, |v32|
	s_delay_alu instid0(VALU_DEP_1)
	v_cndmask_b32_e64 v34, 0, 1, s12
; %bb.312:
	s_or_b32 exec_lo, exec_lo, s11
.LBB8_313:
	s_delay_alu instid0(SALU_CYCLE_1)
	s_or_b32 exec_lo, exec_lo, s10
.LBB8_314:
	s_delay_alu instid0(SALU_CYCLE_1)
	s_or_b32 exec_lo, exec_lo, s9
.LBB8_315:
	s_delay_alu instid0(SALU_CYCLE_1)
	s_or_b32 exec_lo, exec_lo, s6
.LBB8_316:
	s_delay_alu instid0(SALU_CYCLE_1)
	s_or_b32 exec_lo, exec_lo, s3
.LBB8_317:
	s_delay_alu instid0(SALU_CYCLE_1) | instskip(SKIP_3) | instid1(VALU_DEP_2)
	s_or_b32 exec_lo, exec_lo, s2
	v_dual_mul_f32 v65, v4, v28 :: v_dual_mov_b32 v28, 7
	v_mov_b32_e32 v64, 7
	s_mov_b32 s2, exec_lo
	v_cmpx_nle_f32_e64 0x40a00000, |v65|
	s_cbranch_execz .LBB8_329
; %bb.318:
	v_mov_b32_e32 v64, 6
	s_mov_b32 s3, exec_lo
	v_cmpx_nle_f32_e64 0x40600000, |v65|
	s_cbranch_execz .LBB8_328
; %bb.319:
	;; [unrolled: 5-line block ×5, first 2 shown]
	v_mov_b32_e32 v64, 2
	s_mov_b32 s11, exec_lo
	v_cmpx_nle_f32_e64 0x3f400000, |v65|
; %bb.323:
	v_cmp_le_f32_e64 s12, 0x3e800000, |v65|
	s_delay_alu instid0(VALU_DEP_1)
	v_cndmask_b32_e64 v64, 0, 1, s12
; %bb.324:
	s_or_b32 exec_lo, exec_lo, s11
.LBB8_325:
	s_delay_alu instid0(SALU_CYCLE_1)
	s_or_b32 exec_lo, exec_lo, s10
.LBB8_326:
	s_delay_alu instid0(SALU_CYCLE_1)
	s_or_b32 exec_lo, exec_lo, s9
.LBB8_327:
	s_delay_alu instid0(SALU_CYCLE_1)
	s_or_b32 exec_lo, exec_lo, s6
.LBB8_328:
	s_delay_alu instid0(SALU_CYCLE_1)
	s_or_b32 exec_lo, exec_lo, s3
.LBB8_329:
	s_delay_alu instid0(SALU_CYCLE_1) | instskip(SKIP_2) | instid1(VALU_DEP_1)
	s_or_b32 exec_lo, exec_lo, s2
	v_mul_f32_e32 v26, v4, v26
	s_mov_b32 s2, exec_lo
	v_cmpx_nle_f32_e64 0x40a00000, |v26|
	s_cbranch_execz .LBB8_341
; %bb.330:
	v_mov_b32_e32 v28, 6
	s_mov_b32 s3, exec_lo
	v_cmpx_nle_f32_e64 0x40600000, |v26|
	s_cbranch_execz .LBB8_340
; %bb.331:
	v_mov_b32_e32 v28, 5
	;; [unrolled: 5-line block ×5, first 2 shown]
	s_mov_b32 s11, exec_lo
	v_cmpx_nle_f32_e64 0x3f400000, |v26|
; %bb.335:
	v_cmp_le_f32_e64 s12, 0x3e800000, |v26|
	s_delay_alu instid0(VALU_DEP_1)
	v_cndmask_b32_e64 v28, 0, 1, s12
; %bb.336:
	s_or_b32 exec_lo, exec_lo, s11
.LBB8_337:
	s_delay_alu instid0(SALU_CYCLE_1)
	s_or_b32 exec_lo, exec_lo, s10
.LBB8_338:
	s_delay_alu instid0(SALU_CYCLE_1)
	s_or_b32 exec_lo, exec_lo, s9
.LBB8_339:
	s_delay_alu instid0(SALU_CYCLE_1)
	s_or_b32 exec_lo, exec_lo, s6
.LBB8_340:
	s_delay_alu instid0(SALU_CYCLE_1)
	s_or_b32 exec_lo, exec_lo, s3
.LBB8_341:
	s_delay_alu instid0(SALU_CYCLE_1) | instskip(SKIP_3) | instid1(VALU_DEP_2)
	s_or_b32 exec_lo, exec_lo, s2
	v_dual_mul_f32 v66, v4, v23 :: v_dual_mov_b32 v23, 7
	v_mov_b32_e32 v67, 7
	s_mov_b32 s2, exec_lo
	v_cmpx_nle_f32_e64 0x40a00000, |v66|
	s_cbranch_execz .LBB8_353
; %bb.342:
	v_mov_b32_e32 v67, 6
	s_mov_b32 s3, exec_lo
	v_cmpx_nle_f32_e64 0x40600000, |v66|
	s_cbranch_execz .LBB8_352
; %bb.343:
	;; [unrolled: 5-line block ×5, first 2 shown]
	v_mov_b32_e32 v67, 2
	s_mov_b32 s11, exec_lo
	v_cmpx_nle_f32_e64 0x3f400000, |v66|
; %bb.347:
	v_cmp_le_f32_e64 s12, 0x3e800000, |v66|
	s_delay_alu instid0(VALU_DEP_1)
	v_cndmask_b32_e64 v67, 0, 1, s12
; %bb.348:
	s_or_b32 exec_lo, exec_lo, s11
.LBB8_349:
	s_delay_alu instid0(SALU_CYCLE_1)
	s_or_b32 exec_lo, exec_lo, s10
.LBB8_350:
	s_delay_alu instid0(SALU_CYCLE_1)
	s_or_b32 exec_lo, exec_lo, s9
.LBB8_351:
	s_delay_alu instid0(SALU_CYCLE_1)
	s_or_b32 exec_lo, exec_lo, s6
.LBB8_352:
	s_delay_alu instid0(SALU_CYCLE_1)
	s_or_b32 exec_lo, exec_lo, s3
.LBB8_353:
	s_delay_alu instid0(SALU_CYCLE_1) | instskip(SKIP_2) | instid1(VALU_DEP_1)
	s_or_b32 exec_lo, exec_lo, s2
	v_mul_f32_e32 v20, v4, v20
	s_mov_b32 s2, exec_lo
	v_cmpx_nle_f32_e64 0x40a00000, |v20|
	s_cbranch_execz .LBB8_365
; %bb.354:
	v_mov_b32_e32 v23, 6
	s_mov_b32 s3, exec_lo
	v_cmpx_nle_f32_e64 0x40600000, |v20|
	s_cbranch_execz .LBB8_364
; %bb.355:
	v_mov_b32_e32 v23, 5
	;; [unrolled: 5-line block ×5, first 2 shown]
	s_mov_b32 s11, exec_lo
	v_cmpx_nle_f32_e64 0x3f400000, |v20|
; %bb.359:
	v_cmp_le_f32_e64 s12, 0x3e800000, |v20|
	s_delay_alu instid0(VALU_DEP_1)
	v_cndmask_b32_e64 v23, 0, 1, s12
; %bb.360:
	s_or_b32 exec_lo, exec_lo, s11
.LBB8_361:
	s_delay_alu instid0(SALU_CYCLE_1)
	s_or_b32 exec_lo, exec_lo, s10
.LBB8_362:
	s_delay_alu instid0(SALU_CYCLE_1)
	s_or_b32 exec_lo, exec_lo, s9
.LBB8_363:
	s_delay_alu instid0(SALU_CYCLE_1)
	s_or_b32 exec_lo, exec_lo, s6
.LBB8_364:
	s_delay_alu instid0(SALU_CYCLE_1)
	s_or_b32 exec_lo, exec_lo, s3
.LBB8_365:
	s_delay_alu instid0(SALU_CYCLE_1) | instskip(SKIP_3) | instid1(VALU_DEP_2)
	s_or_b32 exec_lo, exec_lo, s2
	v_dual_mul_f32 v69, v4, v18 :: v_dual_mov_b32 v18, 7
	v_mov_b32_e32 v70, 7
	s_mov_b32 s2, exec_lo
	v_cmpx_nle_f32_e64 0x40a00000, |v69|
	s_cbranch_execz .LBB8_377
; %bb.366:
	v_mov_b32_e32 v70, 6
	s_mov_b32 s3, exec_lo
	v_cmpx_nle_f32_e64 0x40600000, |v69|
	s_cbranch_execz .LBB8_376
; %bb.367:
	;; [unrolled: 5-line block ×5, first 2 shown]
	v_mov_b32_e32 v70, 2
	s_mov_b32 s11, exec_lo
	v_cmpx_nle_f32_e64 0x3f400000, |v69|
; %bb.371:
	v_cmp_le_f32_e64 s12, 0x3e800000, |v69|
	s_delay_alu instid0(VALU_DEP_1)
	v_cndmask_b32_e64 v70, 0, 1, s12
; %bb.372:
	s_or_b32 exec_lo, exec_lo, s11
.LBB8_373:
	s_delay_alu instid0(SALU_CYCLE_1)
	s_or_b32 exec_lo, exec_lo, s10
.LBB8_374:
	s_delay_alu instid0(SALU_CYCLE_1)
	s_or_b32 exec_lo, exec_lo, s9
.LBB8_375:
	s_delay_alu instid0(SALU_CYCLE_1)
	s_or_b32 exec_lo, exec_lo, s6
.LBB8_376:
	s_delay_alu instid0(SALU_CYCLE_1)
	s_or_b32 exec_lo, exec_lo, s3
.LBB8_377:
	s_delay_alu instid0(SALU_CYCLE_1) | instskip(SKIP_2) | instid1(VALU_DEP_1)
	s_or_b32 exec_lo, exec_lo, s2
	v_mul_f32_e32 v68, v4, v3
	s_mov_b32 s2, exec_lo
	v_cmpx_nle_f32_e64 0x40a00000, |v68|
	s_cbranch_execz .LBB8_389
; %bb.378:
	v_mov_b32_e32 v18, 6
	s_mov_b32 s3, exec_lo
	v_cmpx_nle_f32_e64 0x40600000, |v68|
	s_cbranch_execz .LBB8_388
; %bb.379:
	v_mov_b32_e32 v18, 5
	;; [unrolled: 5-line block ×5, first 2 shown]
	s_mov_b32 s11, exec_lo
	v_cmpx_nle_f32_e64 0x3f400000, |v68|
; %bb.383:
	v_cmp_le_f32_e64 s12, 0x3e800000, |v68|
	s_delay_alu instid0(VALU_DEP_1)
	v_cndmask_b32_e64 v18, 0, 1, s12
; %bb.384:
	s_or_b32 exec_lo, exec_lo, s11
.LBB8_385:
	s_delay_alu instid0(SALU_CYCLE_1)
	s_or_b32 exec_lo, exec_lo, s10
.LBB8_386:
	s_delay_alu instid0(SALU_CYCLE_1)
	s_or_b32 exec_lo, exec_lo, s9
.LBB8_387:
	s_delay_alu instid0(SALU_CYCLE_1)
	s_or_b32 exec_lo, exec_lo, s6
.LBB8_388:
	s_delay_alu instid0(SALU_CYCLE_1)
	s_or_b32 exec_lo, exec_lo, s3
.LBB8_389:
	s_delay_alu instid0(SALU_CYCLE_1)
	s_or_b32 exec_lo, exec_lo, s2
	s_load_b64 s[2:3], s[0:1], 0x8
	v_lshrrev_b32_e32 v3, 2, v5
	s_bitcmp1_b32 s7, 0
	v_and_b32_e32 v71, 3, v5
	s_cselect_b32 s6, -1, 0
	s_lshr_b32 s9, s4, 31
	v_lshlrev_b32_e32 v72, 10, v3
	s_xor_b32 s6, s6, -1
	s_add_i32 s4, s4, s9
	s_mov_b32 s7, -1
	s_and_b32 vcc_lo, exec_lo, s6
	s_ashr_i32 s4, s4, 1
	s_cbranch_vccz .LBB8_391
; %bb.390:
	v_dual_mov_b32 v4, 0 :: v_dual_lshlrev_b32 v3, 4, v0
	v_and_b32_e32 v75, -16, v0
	s_ashr_i32 s7, s4, 31
	v_mul_lo_u32 v1, v1, s4
	s_delay_alu instid0(VALU_DEP_3) | instskip(NEXT) | instid1(VALU_DEP_3)
	v_and_b32_e32 v3, 0xf0, v3
	v_mul_lo_u32 v76, v75, s7
	s_delay_alu instid0(VALU_DEP_2) | instskip(SKIP_1) | instid1(VALU_DEP_2)
	v_mad_u64_u32 v[73:74], null, v75, s4, v[3:4]
	v_lshlrev_b32_e32 v3, 8, v71
	v_add3_u32 v1, v1, v74, v76
	s_delay_alu instid0(VALU_DEP_3) | instskip(NEXT) | instid1(VALU_DEP_2)
	v_add_co_u32 v4, vcc_lo, v73, v72
	v_add_co_ci_u32_e32 v1, vcc_lo, 0, v1, vcc_lo
	s_delay_alu instid0(VALU_DEP_2) | instskip(NEXT) | instid1(VALU_DEP_2)
	v_add_co_u32 v3, vcc_lo, v4, v3
	v_add_co_ci_u32_e32 v4, vcc_lo, 0, v1, vcc_lo
	s_cbranch_execz .LBB8_392
	s_branch .LBB8_393
.LBB8_391:
                                        ; implicit-def: $vgpr3_vgpr4
	s_and_not1_b32 vcc_lo, exec_lo, s7
	s_cbranch_vccnz .LBB8_393
.LBB8_392:
	s_ashr_i32 s7, s8, 1
	v_sub_nc_u32_e32 v4, 0, v0
	s_abs_i32 s9, s7
	s_ashr_i32 s4, s4, 6
	v_cvt_f32_u32_e32 v1, s9
	s_sub_i32 s10, 0, s9
	v_max_i32_e32 v4, v0, v4
	s_delay_alu instid0(VALU_DEP_2) | instskip(SKIP_2) | instid1(VALU_DEP_1)
	v_rcp_iflag_f32_e32 v1, v1
	s_waitcnt_depctr 0xfff
	v_mul_f32_e32 v1, 0x4f7ffffe, v1
	v_cvt_u32_f32_e32 v1, v1
	s_delay_alu instid0(VALU_DEP_1) | instskip(NEXT) | instid1(VALU_DEP_1)
	v_mul_lo_u32 v3, s10, v1
	v_mul_hi_u32 v3, v1, v3
	s_delay_alu instid0(VALU_DEP_1) | instskip(NEXT) | instid1(VALU_DEP_1)
	v_add_nc_u32_e32 v1, v1, v3
	v_mul_hi_u32 v1, v4, v1
	s_delay_alu instid0(VALU_DEP_1) | instskip(NEXT) | instid1(VALU_DEP_1)
	v_mul_lo_u32 v3, v1, s9
	v_sub_nc_u32_e32 v3, v4, v3
	v_add_nc_u32_e32 v4, 1, v1
	s_delay_alu instid0(VALU_DEP_2) | instskip(SKIP_1) | instid1(VALU_DEP_3)
	v_subrev_nc_u32_e32 v73, s9, v3
	v_cmp_le_u32_e32 vcc_lo, s9, v3
	v_cndmask_b32_e32 v1, v1, v4, vcc_lo
	s_delay_alu instid0(VALU_DEP_3) | instskip(SKIP_1) | instid1(VALU_DEP_3)
	v_cndmask_b32_e32 v3, v3, v73, vcc_lo
	v_xor_b32_e32 v4, s7, v0
	v_add_nc_u32_e32 v73, 1, v1
	s_delay_alu instid0(VALU_DEP_3) | instskip(NEXT) | instid1(VALU_DEP_3)
	v_cmp_le_u32_e32 vcc_lo, s9, v3
	v_ashrrev_i32_e32 v4, 31, v4
	v_lshl_or_b32 v3, v71, 8, v72
	s_delay_alu instid0(VALU_DEP_4) | instskip(NEXT) | instid1(VALU_DEP_1)
	v_cndmask_b32_e32 v1, v1, v73, vcc_lo
	v_xor_b32_e32 v1, v1, v4
	s_delay_alu instid0(VALU_DEP_1) | instskip(SKIP_1) | instid1(VALU_DEP_2)
	v_sub_nc_u32_e32 v1, v1, v4
	v_mov_b32_e32 v4, 0
	v_mul_lo_u32 v73, v1, s7
	s_lshl_b32 s7, s4, 10
	s_lshl_b32 s4, s4, 11
	s_delay_alu instid0(VALU_DEP_2) | instskip(NEXT) | instid1(VALU_DEP_2)
	v_mad_i64_i32 v[71:72], null, v1, s7, v[3:4]
	v_sub_nc_u32_e32 v73, v0, v73
	s_delay_alu instid0(VALU_DEP_1) | instskip(NEXT) | instid1(VALU_DEP_1)
	v_ashrrev_i32_e32 v1, 4, v73
	v_mad_i64_i32 v[3:4], null, v1, s4, v[71:72]
	v_lshlrev_b32_e32 v1, 4, v73
	s_delay_alu instid0(VALU_DEP_1)
	v_and_or_b32 v3, 0xf0, v1, v3
.LBB8_393:
	v_cmp_gt_f32_e32 vcc_lo, 0, v69
	v_lshlrev_b16 v9, 4, v9
	v_lshlrev_b16 v18, 4, v18
	;; [unrolled: 1-line block ×3, first 2 shown]
	s_load_b64 s[0:1], s[0:1], 0x10
	v_cndmask_b32_e64 v1, 0, 1, vcc_lo
	v_cmp_gt_f32_e32 vcc_lo, 0, v66
	s_delay_alu instid0(VALU_DEP_2) | instskip(SKIP_2) | instid1(VALU_DEP_3)
	v_lshlrev_b16 v1, 3, v1
	v_cndmask_b32_e64 v66, 0, 1, vcc_lo
	v_cmp_gt_f32_e32 vcc_lo, 0, v65
	v_or_b32_e32 v1, v1, v70
	s_delay_alu instid0(VALU_DEP_3) | instskip(SKIP_2) | instid1(VALU_DEP_3)
	v_lshlrev_b16 v66, 3, v66
	v_cndmask_b32_e64 v65, 0, 1, vcc_lo
	v_cmp_gt_f32_e32 vcc_lo, 0, v63
	v_or_b32_e32 v66, v66, v67
	s_delay_alu instid0(VALU_DEP_3) | instskip(SKIP_2) | instid1(VALU_DEP_3)
	;; [unrolled: 5-line block ×12, first 2 shown]
	v_lshlrev_b16 v24, 3, v24
	v_cndmask_b32_e64 v17, 0, 1, vcc_lo
	v_cmp_gt_f32_e32 vcc_lo, 0, v7
	v_or_b32_e32 v22, v24, v22
	s_delay_alu instid0(VALU_DEP_3) | instskip(SKIP_2) | instid1(VALU_DEP_2)
	v_lshlrev_b16 v17, 3, v17
	v_cndmask_b32_e64 v7, 0, 1, vcc_lo
	v_cmp_gt_f32_e32 vcc_lo, 0, v10
	v_lshlrev_b16 v7, 3, v7
	v_cndmask_b32_e64 v10, 0, 1, vcc_lo
	v_cmp_gt_f32_e32 vcc_lo, 0, v12
	s_delay_alu instid0(VALU_DEP_3) | instskip(NEXT) | instid1(VALU_DEP_3)
	v_or_b32_e32 v7, v7, v8
	v_lshlrev_b16 v10, 7, v10
	v_cndmask_b32_e64 v12, 0, 1, vcc_lo
	v_cmp_gt_f32_e32 vcc_lo, 0, v14
	v_lshlrev_b16 v14, 4, v21
	v_lshlrev_b16 v21, 4, v52
	v_or_b32_e32 v8, v10, v9
	v_lshlrev_b16 v12, 3, v12
	v_cndmask_b32_e64 v9, 0, 1, vcc_lo
	v_cmp_gt_f32_e32 vcc_lo, 0, v19
	v_or_b32_e32 v10, v17, v16
	v_or_b32_e32 v7, v8, v7
	v_lshlrev_b16 v8, 4, v11
	v_or_b32_e32 v12, v12, v13
	v_cndmask_b32_e64 v11, 0, 1, vcc_lo
	v_cmp_gt_f32_e32 vcc_lo, 0, v25
	v_lshlrev_b16 v9, 7, v9
	v_lshlrev_b16 v16, 4, v39
	;; [unrolled: 1-line block ×4, first 2 shown]
	v_cndmask_b32_e64 v13, 0, 1, vcc_lo
	v_cmp_gt_f32_e32 vcc_lo, 0, v31
	v_or_b32_e32 v8, v9, v8
	v_lshlrev_b16 v9, 4, v15
	s_delay_alu instid0(VALU_DEP_4) | instskip(SKIP_2) | instid1(VALU_DEP_4)
	v_lshlrev_b16 v13, 7, v13
	v_cndmask_b32_e64 v15, 0, 1, vcc_lo
	v_cmp_gt_f32_e32 vcc_lo, 0, v36
	v_or_b32_e32 v9, v11, v9
	v_or_b32_e32 v8, v8, v12
	;; [unrolled: 1-line block ×3, first 2 shown]
	v_lshlrev_b16 v12, 4, v27
	v_cndmask_b32_e64 v14, 0, 1, vcc_lo
	v_cmp_gt_f32_e32 vcc_lo, 0, v41
	v_lshlrev_b16 v13, 7, v15
	v_or_b32_e32 v9, v9, v10
	v_or_b32_e32 v10, v11, v22
	v_lshlrev_b16 v14, 7, v14
	v_cndmask_b32_e64 v15, 0, 1, vcc_lo
	v_or_b32_e32 v12, v13, v12
	v_lshlrev_b16 v13, 4, v33
	v_cmp_gt_f32_e32 vcc_lo, 0, v47
	v_lshlrev_b16 v22, 4, v34
	v_lshlrev_b16 v15, 7, v15
	v_or_b32_e32 v11, v12, v29
	v_or_b32_e32 v12, v14, v13
	v_lshlrev_b16 v14, 4, v45
	v_lshlrev_b16 v8, 8, v8
	v_or_b32_e32 v13, v15, v16
	v_cndmask_b32_e64 v15, 0, 1, vcc_lo
	v_cmp_gt_f32_e32 vcc_lo, 0, v53
	v_or_b32_e32 v12, v12, v35
	v_lshlrev_b16 v10, 8, v10
	v_or_b32_e32 v13, v13, v42
	v_lshlrev_b16 v15, 7, v15
	v_cndmask_b32_e64 v16, 0, 1, vcc_lo
	v_cmp_gt_f32_e32 vcc_lo, 0, v50
	v_lshlrev_b16 v12, 8, v12
	v_or_b32_e32 v7, v7, v8
	v_or_b32_e32 v14, v15, v14
	v_lshlrev_b16 v16, 7, v16
	v_cndmask_b32_e64 v17, 0, 1, vcc_lo
	v_cmp_gt_f32_e32 vcc_lo, 0, v44
	v_or_b32_e32 v11, v11, v12
	v_or_b32_e32 v14, v14, v48
	;; [unrolled: 1-line block ×3, first 2 shown]
	v_lshlrev_b16 v17, 7, v17
	v_lshlrev_b16 v19, 4, v46
	v_or_b32_e32 v8, v9, v10
	v_lshlrev_b16 v14, 8, v14
	v_or_b32_e32 v15, v15, v54
	v_or_b32_e32 v16, v17, v21
	v_cndmask_b32_e64 v17, 0, 1, vcc_lo
	v_cmp_gt_f32_e32 vcc_lo, 0, v26
	v_lshlrev_b16 v26, 4, v28
	v_lshlrev_b16 v21, 4, v40
	v_or_b32_e32 v16, v16, v56
	v_lshlrev_b16 v17, 7, v17
	v_cndmask_b32_e64 v24, 0, 1, vcc_lo
	v_cmp_gt_f32_e32 vcc_lo, 0, v32
	v_or_b32_e32 v12, v13, v14
	v_lshlrev_b16 v16, 8, v16
	v_or_b32_e32 v17, v17, v19
	v_lshlrev_b16 v24, 7, v24
	v_cndmask_b32_e64 v25, 0, 1, vcc_lo
	v_cmp_gt_f32_e32 vcc_lo, 0, v68
	v_or_b32_e32 v15, v15, v16
	v_or_b32_e32 v17, v17, v58
	;; [unrolled: 1-line block ×3, first 2 shown]
	v_lshlrev_b16 v25, 7, v25
	v_cndmask_b32_e64 v27, 0, 1, vcc_lo
	v_cmp_gt_f32_e32 vcc_lo, 0, v20
	v_and_b32_e32 v15, 0xffff, v15
	v_and_b32_e32 v11, 0xffff, v11
	v_or_b32_e32 v22, v25, v22
	v_lshlrev_b16 v27, 7, v27
	v_cndmask_b32_e64 v20, 0, 1, vcc_lo
	v_cmp_gt_f32_e32 vcc_lo, 0, v38
	v_lshlrev_b32_e32 v12, 16, v12
	v_or_b32_e32 v22, v22, v62
	v_or_b32_e32 v18, v27, v18
	v_lshlrev_b16 v20, 7, v20
	v_cndmask_b32_e64 v26, 0, 1, vcc_lo
	v_and_b32_e32 v7, 0xffff, v7
	v_lshlrev_b32_e32 v13, 16, v8
	v_or_b32_e32 v1, v18, v1
	v_or_b32_e32 v20, v20, v23
	v_lshlrev_b16 v18, 7, v26
	v_or_b32_e32 v23, v24, v64
	s_waitcnt lgkmcnt(0)
	v_add_co_u32 v3, vcc_lo, s2, v3
	v_or_b32_e32 v20, v20, v66
	v_or_b32_e32 v18, v18, v21
	v_lshlrev_b16 v23, 8, v23
	v_lshlrev_b16 v1, 8, v1
	v_or_b32_e32 v8, v11, v12
	v_or_b32_e32 v7, v7, v13
	;; [unrolled: 1-line block ×5, first 2 shown]
	v_add_co_ci_u32_e32 v4, vcc_lo, s3, v4, vcc_lo
	s_delay_alu instid0(VALU_DEP_4) | instskip(NEXT) | instid1(VALU_DEP_4)
	v_lshlrev_b16 v16, 8, v16
	v_and_b32_e32 v18, 0xffff, v19
	s_delay_alu instid0(VALU_DEP_4) | instskip(SKIP_3) | instid1(VALU_DEP_2)
	v_lshlrev_b32_e32 v1, 16, v1
	s_mov_b32 s2, 0
	s_and_b32 vcc_lo, exec_lo, s6
	v_or_b32_e32 v16, v17, v16
	v_or_b32_e32 v10, v18, v1
	s_delay_alu instid0(VALU_DEP_2) | instskip(NEXT) | instid1(VALU_DEP_1)
	v_lshlrev_b32_e32 v9, 16, v16
	v_or_b32_e32 v9, v15, v9
	global_store_b128 v[3:4], v[7:10], off
	s_cbranch_vccz .LBB8_395
; %bb.394:
	v_ashrrev_i32_e32 v1, 31, v0
	s_delay_alu instid0(VALU_DEP_1) | instskip(NEXT) | instid1(VALU_DEP_1)
	v_lshrrev_b32_e32 v1, 27, v1
	v_add_nc_u32_e32 v1, v0, v1
	s_delay_alu instid0(VALU_DEP_1) | instskip(NEXT) | instid1(VALU_DEP_1)
	v_and_b32_e32 v3, 0xffe0, v1
	v_sub_nc_u32_e32 v3, v0, v3
	s_delay_alu instid0(VALU_DEP_1) | instskip(NEXT) | instid1(VALU_DEP_1)
	v_bfe_i32 v4, v3, 0, 8
	v_lshrrev_b16 v4, 11, v4
	s_delay_alu instid0(VALU_DEP_1) | instskip(NEXT) | instid1(VALU_DEP_1)
	v_and_b32_e32 v4, 15, v4
	v_add_nc_u16 v3, v3, v4
	s_delay_alu instid0(VALU_DEP_1) | instskip(NEXT) | instid1(VALU_DEP_1)
	v_bfe_i32 v3, v3, 0, 8
	v_ashrrev_i16 v4, 4, v3
	v_ashrrev_i32_e32 v3, 5, v1
	s_delay_alu instid0(VALU_DEP_2)
	v_bfe_i32 v1, v4, 0, 16
	s_and_not1_b32 vcc_lo, exec_lo, s2
	s_cbranch_vccz .LBB8_396
	s_branch .LBB8_397
.LBB8_395:
                                        ; implicit-def: $vgpr3
                                        ; implicit-def: $vgpr1
.LBB8_396:
	s_lshr_b32 s2, s8, 31
	v_sub_nc_u32_e32 v4, 0, v0
	s_add_i32 s2, s8, s2
	s_delay_alu instid0(SALU_CYCLE_1) | instskip(NEXT) | instid1(VALU_DEP_1)
	s_ashr_i32 s2, s2, 1
	v_max_i32_e32 v4, v0, v4
	s_abs_i32 s3, s2
	s_delay_alu instid0(SALU_CYCLE_1) | instskip(SKIP_1) | instid1(VALU_DEP_1)
	v_cvt_f32_u32_e32 v1, s3
	s_sub_i32 s4, 0, s3
	v_rcp_iflag_f32_e32 v1, v1
	s_waitcnt_depctr 0xfff
	v_mul_f32_e32 v1, 0x4f7ffffe, v1
	s_delay_alu instid0(VALU_DEP_1) | instskip(NEXT) | instid1(VALU_DEP_1)
	v_cvt_u32_f32_e32 v1, v1
	v_mul_lo_u32 v3, s4, v1
	s_delay_alu instid0(VALU_DEP_1) | instskip(NEXT) | instid1(VALU_DEP_1)
	v_mul_hi_u32 v3, v1, v3
	v_add_nc_u32_e32 v1, v1, v3
	s_delay_alu instid0(VALU_DEP_1) | instskip(NEXT) | instid1(VALU_DEP_1)
	v_mul_hi_u32 v1, v4, v1
	v_mul_lo_u32 v3, v1, s3
	s_delay_alu instid0(VALU_DEP_1) | instskip(NEXT) | instid1(VALU_DEP_1)
	v_sub_nc_u32_e32 v3, v4, v3
	v_subrev_nc_u32_e32 v7, s3, v3
	v_cmp_le_u32_e32 vcc_lo, s3, v3
	s_delay_alu instid0(VALU_DEP_2) | instskip(NEXT) | instid1(VALU_DEP_1)
	v_dual_cndmask_b32 v3, v3, v7 :: v_dual_add_nc_u32 v4, 1, v1
	v_cndmask_b32_e32 v1, v1, v4, vcc_lo
	v_xor_b32_e32 v4, s2, v0
	s_delay_alu instid0(VALU_DEP_3) | instskip(NEXT) | instid1(VALU_DEP_3)
	v_cmp_le_u32_e32 vcc_lo, s3, v3
	v_add_nc_u32_e32 v7, 1, v1
	s_delay_alu instid0(VALU_DEP_3) | instskip(NEXT) | instid1(VALU_DEP_2)
	v_ashrrev_i32_e32 v4, 31, v4
	v_cndmask_b32_e32 v1, v1, v7, vcc_lo
	s_delay_alu instid0(VALU_DEP_1) | instskip(NEXT) | instid1(VALU_DEP_1)
	v_xor_b32_e32 v1, v1, v4
	v_sub_nc_u32_e32 v1, v1, v4
	s_delay_alu instid0(VALU_DEP_1) | instskip(NEXT) | instid1(VALU_DEP_1)
	v_mul_lo_u32 v3, v1, s2
	v_sub_nc_u32_e32 v0, v0, v3
	s_delay_alu instid0(VALU_DEP_1) | instskip(NEXT) | instid1(VALU_DEP_1)
	v_ashrrev_i32_e32 v3, 31, v0
	v_lshrrev_b32_e32 v3, 28, v3
	s_delay_alu instid0(VALU_DEP_1) | instskip(NEXT) | instid1(VALU_DEP_1)
	v_add_nc_u32_e32 v3, v0, v3
	v_ashrrev_i32_e32 v3, 4, v3
.LBB8_397:
	v_ashrrev_i32_e32 v4, 31, v0
	v_lshlrev_b32_e32 v7, 6, v5
	v_lshrrev_b32_e32 v5, 1, v5
	v_and_b32_e32 v2, 0x7fffff00, v2
	s_lshl_b32 s2, s5, 5
	v_lshrrev_b32_e32 v4, 28, v4
	v_and_b32_e32 v7, 0xc0, v7
	v_and_b32_e32 v5, 2, v5
	s_and_b32 s2, s2, 0x7fffff00
	s_delay_alu instid0(SALU_CYCLE_1) | instskip(SKIP_1) | instid1(VALU_DEP_3)
	v_mul_lo_u32 v3, v3, s2
	v_add_nc_u32_e32 v4, v0, v4
	v_or3_b32 v2, v7, v2, v5
	s_delay_alu instid0(VALU_DEP_2) | instskip(NEXT) | instid1(VALU_DEP_2)
	v_and_b32_e32 v4, 0x3ffffff0, v4
	v_add_nc_u32_e32 v1, v2, v1
	v_lshrrev_b32_e32 v2, 23, v6
	s_delay_alu instid0(VALU_DEP_3) | instskip(NEXT) | instid1(VALU_DEP_1)
	v_sub_nc_u32_e32 v0, v0, v4
	v_lshlrev_b32_e32 v0, 2, v0
	s_delay_alu instid0(VALU_DEP_1) | instskip(NEXT) | instid1(VALU_DEP_1)
	v_add3_u32 v0, v1, v0, v3
	v_ashrrev_i32_e32 v1, 31, v0
	v_add_co_u32 v0, vcc_lo, s0, v0
	s_delay_alu instid0(VALU_DEP_2)
	v_add_co_ci_u32_e32 v1, vcc_lo, s1, v1, vcc_lo
	global_store_b8 v[0:1], v2, off
.LBB8_398:
	s_nop 0
	s_sendmsg sendmsg(MSG_DEALLOC_VGPRS)
	s_endpgm
	.section	.rodata,"a",@progbits
	.p2align	6, 0x0
	.amdhsa_kernel _ZN5aiter18quant_mxfp4_kernelI6__halfLNS_16MxScaleRoundModeE1ELb0ELb1ELb1EEEvPKT_PhPfliiib
		.amdhsa_group_segment_fixed_size 0
		.amdhsa_private_segment_fixed_size 0
		.amdhsa_kernarg_size 304
		.amdhsa_user_sgpr_count 15
		.amdhsa_user_sgpr_dispatch_ptr 0
		.amdhsa_user_sgpr_queue_ptr 0
		.amdhsa_user_sgpr_kernarg_segment_ptr 1
		.amdhsa_user_sgpr_dispatch_id 0
		.amdhsa_user_sgpr_private_segment_size 0
		.amdhsa_wavefront_size32 1
		.amdhsa_uses_dynamic_stack 0
		.amdhsa_enable_private_segment 0
		.amdhsa_system_sgpr_workgroup_id_x 1
		.amdhsa_system_sgpr_workgroup_id_y 0
		.amdhsa_system_sgpr_workgroup_id_z 0
		.amdhsa_system_sgpr_workgroup_info 0
		.amdhsa_system_vgpr_workitem_id 0
		.amdhsa_next_free_vgpr 77
		.amdhsa_next_free_sgpr 16
		.amdhsa_reserve_vcc 1
		.amdhsa_float_round_mode_32 0
		.amdhsa_float_round_mode_16_64 0
		.amdhsa_float_denorm_mode_32 3
		.amdhsa_float_denorm_mode_16_64 3
		.amdhsa_dx10_clamp 1
		.amdhsa_ieee_mode 1
		.amdhsa_fp16_overflow 0
		.amdhsa_workgroup_processor_mode 1
		.amdhsa_memory_ordered 1
		.amdhsa_forward_progress 0
		.amdhsa_shared_vgpr_count 0
		.amdhsa_exception_fp_ieee_invalid_op 0
		.amdhsa_exception_fp_denorm_src 0
		.amdhsa_exception_fp_ieee_div_zero 0
		.amdhsa_exception_fp_ieee_overflow 0
		.amdhsa_exception_fp_ieee_underflow 0
		.amdhsa_exception_fp_ieee_inexact 0
		.amdhsa_exception_int_div_zero 0
	.end_amdhsa_kernel
	.section	.text._ZN5aiter18quant_mxfp4_kernelI6__halfLNS_16MxScaleRoundModeE1ELb0ELb1ELb1EEEvPKT_PhPfliiib,"axG",@progbits,_ZN5aiter18quant_mxfp4_kernelI6__halfLNS_16MxScaleRoundModeE1ELb0ELb1ELb1EEEvPKT_PhPfliiib,comdat
.Lfunc_end8:
	.size	_ZN5aiter18quant_mxfp4_kernelI6__halfLNS_16MxScaleRoundModeE1ELb0ELb1ELb1EEEvPKT_PhPfliiib, .Lfunc_end8-_ZN5aiter18quant_mxfp4_kernelI6__halfLNS_16MxScaleRoundModeE1ELb0ELb1ELb1EEEvPKT_PhPfliiib
                                        ; -- End function
	.section	.AMDGPU.csdata,"",@progbits
; Kernel info:
; codeLenInByte = 10728
; NumSgprs: 18
; NumVgprs: 77
; ScratchSize: 0
; MemoryBound: 0
; FloatMode: 240
; IeeeMode: 1
; LDSByteSize: 0 bytes/workgroup (compile time only)
; SGPRBlocks: 2
; VGPRBlocks: 9
; NumSGPRsForWavesPerEU: 18
; NumVGPRsForWavesPerEU: 77
; Occupancy: 16
; WaveLimiterHint : 0
; COMPUTE_PGM_RSRC2:SCRATCH_EN: 0
; COMPUTE_PGM_RSRC2:USER_SGPR: 15
; COMPUTE_PGM_RSRC2:TRAP_HANDLER: 0
; COMPUTE_PGM_RSRC2:TGID_X_EN: 1
; COMPUTE_PGM_RSRC2:TGID_Y_EN: 0
; COMPUTE_PGM_RSRC2:TGID_Z_EN: 0
; COMPUTE_PGM_RSRC2:TIDIG_COMP_CNT: 0
	.section	.text._ZN5aiter18quant_mxfp4_kernelI6__halfLNS_16MxScaleRoundModeE1ELb0ELb1ELb0EEEvPKT_PhPfliiib,"axG",@progbits,_ZN5aiter18quant_mxfp4_kernelI6__halfLNS_16MxScaleRoundModeE1ELb0ELb1ELb0EEEvPKT_PhPfliiib,comdat
	.protected	_ZN5aiter18quant_mxfp4_kernelI6__halfLNS_16MxScaleRoundModeE1ELb0ELb1ELb0EEEvPKT_PhPfliiib ; -- Begin function _ZN5aiter18quant_mxfp4_kernelI6__halfLNS_16MxScaleRoundModeE1ELb0ELb1ELb0EEEvPKT_PhPfliiib
	.globl	_ZN5aiter18quant_mxfp4_kernelI6__halfLNS_16MxScaleRoundModeE1ELb0ELb1ELb0EEEvPKT_PhPfliiib
	.p2align	8
	.type	_ZN5aiter18quant_mxfp4_kernelI6__halfLNS_16MxScaleRoundModeE1ELb0ELb1ELb0EEEvPKT_PhPfliiib,@function
_ZN5aiter18quant_mxfp4_kernelI6__halfLNS_16MxScaleRoundModeE1ELb0ELb1ELb0EEEvPKT_PhPfliiib: ; @_ZN5aiter18quant_mxfp4_kernelI6__halfLNS_16MxScaleRoundModeE1ELb0ELb1ELb0EEEvPKT_PhPfliiib
; %bb.0:
	s_clause 0x1
	s_load_b32 s2, s[0:1], 0x3c
	s_load_b128 s[4:7], s[0:1], 0x20
	v_mov_b32_e32 v1, 0
	s_delay_alu instid0(VALU_DEP_1)
	v_mov_b32_e32 v4, v1
	s_waitcnt lgkmcnt(0)
	s_and_b32 s2, s2, 0xffff
	s_mov_b32 s3, s6
	v_mad_u64_u32 v[2:3], null, s2, s15, v[0:1]
	s_ashr_i32 s2, s6, 31
	s_mov_b32 s6, exec_lo
                                        ; implicit-def: $vgpr0_vgpr1
	s_delay_alu instid0(VALU_DEP_1) | instskip(NEXT) | instid1(VALU_DEP_1)
	v_or_b32_e32 v5, s2, v3
	v_cmpx_ne_u64_e32 0, v[4:5]
	s_xor_b32 s6, exec_lo, s6
	s_cbranch_execz .LBB9_2
; %bb.1:
	s_add_u32 s10, s3, s2
	s_mov_b32 s8, s2
	s_mov_b32 s9, s2
	s_addc_u32 s11, s2, s2
	s_delay_alu instid0(SALU_CYCLE_1) | instskip(NEXT) | instid1(SALU_CYCLE_1)
	s_xor_b64 s[10:11], s[10:11], s[8:9]
	v_cvt_f32_u32_e32 v0, s10
	v_cvt_f32_u32_e32 v1, s11
	s_sub_u32 s2, 0, s10
	s_subb_u32 s12, 0, s11
	s_delay_alu instid0(VALU_DEP_1) | instskip(NEXT) | instid1(VALU_DEP_1)
	v_fmamk_f32 v0, v1, 0x4f800000, v0
	v_rcp_f32_e32 v0, v0
	s_waitcnt_depctr 0xfff
	v_mul_f32_e32 v0, 0x5f7ffffc, v0
	s_delay_alu instid0(VALU_DEP_1) | instskip(NEXT) | instid1(VALU_DEP_1)
	v_mul_f32_e32 v1, 0x2f800000, v0
	v_trunc_f32_e32 v1, v1
	s_delay_alu instid0(VALU_DEP_1) | instskip(SKIP_1) | instid1(VALU_DEP_2)
	v_fmamk_f32 v0, v1, 0xcf800000, v0
	v_cvt_u32_f32_e32 v1, v1
	v_cvt_u32_f32_e32 v0, v0
	s_delay_alu instid0(VALU_DEP_2) | instskip(NEXT) | instid1(VALU_DEP_2)
	v_mul_lo_u32 v4, s2, v1
	v_mul_hi_u32 v5, s2, v0
	v_mul_lo_u32 v6, s12, v0
	s_delay_alu instid0(VALU_DEP_2) | instskip(SKIP_1) | instid1(VALU_DEP_2)
	v_add_nc_u32_e32 v4, v5, v4
	v_mul_lo_u32 v5, s2, v0
	v_add_nc_u32_e32 v4, v4, v6
	s_delay_alu instid0(VALU_DEP_2) | instskip(NEXT) | instid1(VALU_DEP_2)
	v_mul_hi_u32 v6, v0, v5
	v_mul_lo_u32 v7, v0, v4
	v_mul_hi_u32 v8, v0, v4
	v_mul_hi_u32 v9, v1, v5
	v_mul_lo_u32 v5, v1, v5
	v_mul_hi_u32 v10, v1, v4
	v_mul_lo_u32 v4, v1, v4
	v_add_co_u32 v6, vcc_lo, v6, v7
	v_add_co_ci_u32_e32 v7, vcc_lo, 0, v8, vcc_lo
	s_delay_alu instid0(VALU_DEP_2) | instskip(NEXT) | instid1(VALU_DEP_2)
	v_add_co_u32 v5, vcc_lo, v6, v5
	v_add_co_ci_u32_e32 v5, vcc_lo, v7, v9, vcc_lo
	v_add_co_ci_u32_e32 v6, vcc_lo, 0, v10, vcc_lo
	v_ashrrev_i32_e32 v9, 31, v3
	s_delay_alu instid0(VALU_DEP_3) | instskip(NEXT) | instid1(VALU_DEP_3)
	v_add_co_u32 v4, vcc_lo, v5, v4
	v_add_co_ci_u32_e32 v5, vcc_lo, 0, v6, vcc_lo
	s_delay_alu instid0(VALU_DEP_2) | instskip(NEXT) | instid1(VALU_DEP_2)
	v_add_co_u32 v0, vcc_lo, v0, v4
	v_add_co_ci_u32_e32 v1, vcc_lo, v1, v5, vcc_lo
	s_delay_alu instid0(VALU_DEP_2) | instskip(SKIP_1) | instid1(VALU_DEP_3)
	v_mul_hi_u32 v4, s2, v0
	v_mul_lo_u32 v6, s12, v0
	v_mul_lo_u32 v5, s2, v1
	s_delay_alu instid0(VALU_DEP_1) | instskip(SKIP_1) | instid1(VALU_DEP_2)
	v_add_nc_u32_e32 v4, v4, v5
	v_mul_lo_u32 v5, s2, v0
	v_add_nc_u32_e32 v4, v4, v6
	s_delay_alu instid0(VALU_DEP_2) | instskip(NEXT) | instid1(VALU_DEP_2)
	v_mul_hi_u32 v6, v0, v5
	v_mul_lo_u32 v7, v0, v4
	v_mul_hi_u32 v8, v0, v4
	v_mul_hi_u32 v10, v1, v5
	v_mul_lo_u32 v5, v1, v5
	v_mul_hi_u32 v11, v1, v4
	v_mul_lo_u32 v4, v1, v4
	v_add_co_u32 v6, vcc_lo, v6, v7
	v_add_co_ci_u32_e32 v7, vcc_lo, 0, v8, vcc_lo
	s_delay_alu instid0(VALU_DEP_2) | instskip(NEXT) | instid1(VALU_DEP_2)
	v_add_co_u32 v5, vcc_lo, v6, v5
	v_add_co_ci_u32_e32 v5, vcc_lo, v7, v10, vcc_lo
	v_add_co_ci_u32_e32 v6, vcc_lo, 0, v11, vcc_lo
	v_add_co_u32 v7, vcc_lo, v2, v9
	v_add_co_ci_u32_e32 v3, vcc_lo, v3, v9, vcc_lo
	s_delay_alu instid0(VALU_DEP_4) | instskip(NEXT) | instid1(VALU_DEP_4)
	v_add_co_u32 v4, vcc_lo, v5, v4
	v_add_co_ci_u32_e32 v5, vcc_lo, 0, v6, vcc_lo
	s_delay_alu instid0(VALU_DEP_4) | instskip(NEXT) | instid1(VALU_DEP_3)
	v_xor_b32_e32 v7, v7, v9
	v_add_co_u32 v6, vcc_lo, v0, v4
	s_delay_alu instid0(VALU_DEP_3) | instskip(SKIP_1) | instid1(VALU_DEP_3)
	v_add_co_ci_u32_e32 v8, vcc_lo, v1, v5, vcc_lo
	v_xor_b32_e32 v10, v3, v9
	v_mul_hi_u32 v11, v7, v6
	s_delay_alu instid0(VALU_DEP_3) | instskip(NEXT) | instid1(VALU_DEP_3)
	v_mad_u64_u32 v[0:1], null, v7, v8, 0
	v_mad_u64_u32 v[3:4], null, v10, v6, 0
	;; [unrolled: 1-line block ×3, first 2 shown]
	s_delay_alu instid0(VALU_DEP_3) | instskip(NEXT) | instid1(VALU_DEP_4)
	v_add_co_u32 v0, vcc_lo, v11, v0
	v_add_co_ci_u32_e32 v1, vcc_lo, 0, v1, vcc_lo
	s_delay_alu instid0(VALU_DEP_2) | instskip(NEXT) | instid1(VALU_DEP_2)
	v_add_co_u32 v0, vcc_lo, v0, v3
	v_add_co_ci_u32_e32 v0, vcc_lo, v1, v4, vcc_lo
	v_add_co_ci_u32_e32 v1, vcc_lo, 0, v6, vcc_lo
	s_delay_alu instid0(VALU_DEP_2) | instskip(NEXT) | instid1(VALU_DEP_2)
	v_add_co_u32 v3, vcc_lo, v0, v5
	v_add_co_ci_u32_e32 v4, vcc_lo, 0, v1, vcc_lo
	s_delay_alu instid0(VALU_DEP_2) | instskip(SKIP_1) | instid1(VALU_DEP_3)
	v_mul_lo_u32 v5, s11, v3
	v_mad_u64_u32 v[0:1], null, s10, v3, 0
	v_mul_lo_u32 v6, s10, v4
	s_delay_alu instid0(VALU_DEP_2) | instskip(NEXT) | instid1(VALU_DEP_2)
	v_sub_co_u32 v0, vcc_lo, v7, v0
	v_add3_u32 v1, v1, v6, v5
	s_delay_alu instid0(VALU_DEP_1) | instskip(NEXT) | instid1(VALU_DEP_1)
	v_sub_nc_u32_e32 v5, v10, v1
	v_subrev_co_ci_u32_e64 v5, s2, s11, v5, vcc_lo
	v_add_co_u32 v6, s2, v3, 2
	s_delay_alu instid0(VALU_DEP_1) | instskip(SKIP_3) | instid1(VALU_DEP_3)
	v_add_co_ci_u32_e64 v7, s2, 0, v4, s2
	v_sub_co_u32 v8, s2, v0, s10
	v_sub_co_ci_u32_e32 v1, vcc_lo, v10, v1, vcc_lo
	v_subrev_co_ci_u32_e64 v5, s2, 0, v5, s2
	v_cmp_le_u32_e32 vcc_lo, s10, v8
	s_delay_alu instid0(VALU_DEP_3) | instskip(SKIP_1) | instid1(VALU_DEP_4)
	v_cmp_eq_u32_e64 s2, s11, v1
	v_cndmask_b32_e64 v8, 0, -1, vcc_lo
	v_cmp_le_u32_e32 vcc_lo, s11, v5
	v_cndmask_b32_e64 v10, 0, -1, vcc_lo
	v_cmp_le_u32_e32 vcc_lo, s10, v0
	;; [unrolled: 2-line block ×3, first 2 shown]
	v_cndmask_b32_e64 v11, 0, -1, vcc_lo
	v_cmp_eq_u32_e32 vcc_lo, s11, v5
	s_delay_alu instid0(VALU_DEP_2) | instskip(SKIP_3) | instid1(VALU_DEP_3)
	v_cndmask_b32_e64 v0, v11, v0, s2
	v_cndmask_b32_e32 v5, v10, v8, vcc_lo
	v_add_co_u32 v8, vcc_lo, v3, 1
	v_add_co_ci_u32_e32 v10, vcc_lo, 0, v4, vcc_lo
	v_cmp_ne_u32_e32 vcc_lo, 0, v5
	s_delay_alu instid0(VALU_DEP_2) | instskip(NEXT) | instid1(VALU_DEP_4)
	v_cndmask_b32_e32 v1, v10, v7, vcc_lo
	v_cndmask_b32_e32 v5, v8, v6, vcc_lo
	v_cmp_ne_u32_e32 vcc_lo, 0, v0
	v_xor_b32_e32 v0, s8, v9
	s_delay_alu instid0(VALU_DEP_3) | instskip(SKIP_2) | instid1(VALU_DEP_3)
	v_cndmask_b32_e32 v3, v3, v5, vcc_lo
	v_cndmask_b32_e32 v1, v4, v1, vcc_lo
	v_xor_b32_e32 v4, s9, v9
	v_xor_b32_e32 v3, v3, v0
	s_delay_alu instid0(VALU_DEP_2) | instskip(NEXT) | instid1(VALU_DEP_2)
	v_xor_b32_e32 v1, v1, v4
	v_sub_co_u32 v0, vcc_lo, v3, v0
	s_delay_alu instid0(VALU_DEP_2)
	v_sub_co_ci_u32_e32 v1, vcc_lo, v1, v4, vcc_lo
.LBB9_2:
	s_and_not1_saveexec_b32 s2, s6
	s_cbranch_execz .LBB9_4
; %bb.3:
	v_cvt_f32_u32_e32 v0, s3
	s_sub_i32 s6, 0, s3
	s_delay_alu instid0(VALU_DEP_1) | instskip(SKIP_2) | instid1(VALU_DEP_1)
	v_rcp_iflag_f32_e32 v0, v0
	s_waitcnt_depctr 0xfff
	v_mul_f32_e32 v0, 0x4f7ffffe, v0
	v_cvt_u32_f32_e32 v0, v0
	s_delay_alu instid0(VALU_DEP_1) | instskip(NEXT) | instid1(VALU_DEP_1)
	v_mul_lo_u32 v1, s6, v0
	v_mul_hi_u32 v1, v0, v1
	s_delay_alu instid0(VALU_DEP_1) | instskip(NEXT) | instid1(VALU_DEP_1)
	v_add_nc_u32_e32 v0, v0, v1
	v_mul_hi_u32 v0, v2, v0
	s_delay_alu instid0(VALU_DEP_1) | instskip(SKIP_1) | instid1(VALU_DEP_2)
	v_mul_lo_u32 v1, v0, s3
	v_add_nc_u32_e32 v3, 1, v0
	v_sub_nc_u32_e32 v1, v2, v1
	s_delay_alu instid0(VALU_DEP_1) | instskip(SKIP_1) | instid1(VALU_DEP_2)
	v_subrev_nc_u32_e32 v4, s3, v1
	v_cmp_le_u32_e32 vcc_lo, s3, v1
	v_dual_cndmask_b32 v1, v1, v4 :: v_dual_cndmask_b32 v0, v0, v3
	s_delay_alu instid0(VALU_DEP_1) | instskip(NEXT) | instid1(VALU_DEP_2)
	v_cmp_le_u32_e32 vcc_lo, s3, v1
	v_add_nc_u32_e32 v3, 1, v0
	s_delay_alu instid0(VALU_DEP_1)
	v_dual_mov_b32 v1, 0 :: v_dual_cndmask_b32 v0, v0, v3
.LBB9_4:
	s_or_b32 exec_lo, exec_lo, s2
	s_load_b64 s[8:9], s[0:1], 0x18
	s_delay_alu instid0(VALU_DEP_1) | instskip(NEXT) | instid1(VALU_DEP_1)
	v_mad_u64_u32 v[3:4], null, v0, s3, 0
	v_sub_co_u32 v4, null, v2, v3
	s_delay_alu instid0(VALU_DEP_1) | instskip(SKIP_2) | instid1(VALU_DEP_2)
	v_cmp_gt_i32_e64 s2, s5, v4
	s_waitcnt lgkmcnt(0)
	v_cmp_gt_i64_e32 vcc_lo, s[8:9], v[0:1]
	s_and_b32 s2, vcc_lo, s2
	s_delay_alu instid0(SALU_CYCLE_1)
	s_and_saveexec_b32 s3, s2
	s_cbranch_execz .LBB9_394
; %bb.5:
	s_ashr_i32 s6, s4, 31
	s_load_b64 s[2:3], s[0:1], 0x0
	v_mul_lo_u32 v2, v1, s4
	v_mad_u64_u32 v[5:6], null, v0, s4, 0
	v_mul_lo_u32 v3, v0, s6
	s_delay_alu instid0(VALU_DEP_1) | instskip(SKIP_1) | instid1(VALU_DEP_2)
	v_add3_u32 v6, v6, v3, v2
	v_dual_mov_b32 v3, 0 :: v_dual_lshlrev_b32 v2, 5, v4
	v_lshlrev_b64 v[5:6], 1, v[5:6]
	s_delay_alu instid0(VALU_DEP_2) | instskip(SKIP_1) | instid1(VALU_DEP_2)
	v_lshlrev_b64 v[7:8], 1, v[2:3]
	s_waitcnt lgkmcnt(0)
	v_add_co_u32 v3, vcc_lo, s2, v5
	s_delay_alu instid0(VALU_DEP_3) | instskip(SKIP_1) | instid1(VALU_DEP_2)
	v_add_co_ci_u32_e32 v6, vcc_lo, s3, v6, vcc_lo
	s_mov_b32 s2, exec_lo
	v_add_co_u32 v5, vcc_lo, v3, v7
	s_delay_alu instid0(VALU_DEP_2)
	v_add_co_ci_u32_e32 v6, vcc_lo, v6, v8, vcc_lo
	s_clause 0x3
	global_load_b128 v[9:12], v[5:6], off
	global_load_b128 v[29:32], v[5:6], off offset:16
	global_load_b128 v[53:56], v[5:6], off offset:32
	;; [unrolled: 1-line block ×3, first 2 shown]
	s_waitcnt vmcnt(3)
	v_lshrrev_b32_e32 v3, 16, v9
	v_cvt_f32_f16_e32 v5, v9
	v_lshrrev_b32_e32 v6, 16, v10
	v_cvt_f32_f16_e32 v10, v10
	v_cvt_f32_f16_e32 v17, v11
	;; [unrolled: 1-line block ×3, first 2 shown]
	v_lshrrev_b32_e32 v3, 16, v11
	v_cvt_f32_f16_e32 v15, v6
	v_lshrrev_b32_e32 v7, 16, v12
	v_cvt_f32_f16_e32 v23, v12
	v_max3_f32 v6, |v5|, 0, |v8|
	v_cvt_f32_f16_e32 v21, v3
	s_waitcnt vmcnt(2)
	v_cvt_f32_f16_e32 v35, v30
	v_cvt_f32_f16_e32 v27, v7
	v_lshrrev_b32_e32 v7, 16, v30
	v_max3_f32 v3, v6, |v10|, |v15|
	v_lshrrev_b32_e32 v6, 16, v29
	v_cvt_f32_f16_e32 v29, v29
	v_cvt_f32_f16_e32 v41, v31
	;; [unrolled: 1-line block ×3, first 2 shown]
	v_max3_f32 v3, v3, |v17|, |v21|
	v_cvt_f32_f16_e32 v33, v6
	v_lshrrev_b32_e32 v6, 16, v31
	v_lshrrev_b32_e32 v7, 16, v32
	v_cvt_f32_f16_e32 v46, v32
	v_max3_f32 v3, v3, |v23|, |v27|
	s_waitcnt vmcnt(1)
	v_cvt_f32_f16_e32 v49, v54
	v_cvt_f32_f16_e32 v43, v6
	v_lshrrev_b32_e32 v6, 16, v53
	v_cvt_f32_f16_e32 v48, v7
	v_max3_f32 v3, v3, |v29|, |v33|
	v_cvt_f32_f16_e32 v53, v53
	v_lshrrev_b32_e32 v7, 16, v54
	v_cvt_f32_f16_e32 v52, v6
	v_lshrrev_b32_e32 v6, 16, v55
	v_max3_f32 v3, v3, |v35|, |v39|
	v_cvt_f32_f16_e32 v42, v55
	v_cvt_f32_f16_e32 v47, v7
	v_lshrrev_b32_e32 v7, 16, v56
	v_cvt_f32_f16_e32 v40, v6
	v_max3_f32 v3, v3, |v41|, |v43|
	v_cvt_f32_f16_e32 v37, v56
	s_waitcnt vmcnt(0)
	v_lshrrev_b32_e32 v6, 16, v57
	v_cvt_f32_f16_e32 v34, v7
	v_cvt_f32_f16_e32 v32, v57
	v_max3_f32 v3, v3, |v46|, |v48|
	v_lshrrev_b32_e32 v7, 16, v58
	v_cvt_f32_f16_e32 v28, v6
	v_cvt_f32_f16_e32 v26, v58
	v_lshrrev_b32_e32 v6, 16, v59
	v_max3_f32 v3, v3, |v53|, |v52|
	v_cvt_f32_f16_e32 v22, v7
	v_cvt_f32_f16_e32 v20, v59
	v_lshrrev_b32_e32 v7, 16, v60
	v_cvt_f32_f16_e32 v16, v6
	v_max3_f32 v3, v3, |v49|, |v47|
	v_cvt_f32_f16_e32 v14, v60
	s_delay_alu instid0(VALU_DEP_4) | instskip(NEXT) | instid1(VALU_DEP_3)
	v_cvt_f32_f16_e32 v9, v7
	v_max3_f32 v3, v3, |v42|, |v40|
	s_delay_alu instid0(VALU_DEP_1) | instskip(NEXT) | instid1(VALU_DEP_1)
	v_max3_f32 v3, v3, |v37|, |v34|
	v_max3_f32 v3, v3, |v32|, |v28|
	s_delay_alu instid0(VALU_DEP_1) | instskip(NEXT) | instid1(VALU_DEP_1)
	v_max3_f32 v3, v3, |v26|, |v22|
	;; [unrolled: 3-line block ×3, first 2 shown]
	v_mul_f32_e32 v3, 0x3e2aaaab, v3
	s_delay_alu instid0(VALU_DEP_1) | instskip(SKIP_1) | instid1(VALU_DEP_2)
	v_and_b32_e32 v6, 0x7fffff, v3
	v_bfe_u32 v3, v3, 23, 8
	v_cmp_ne_u32_e32 vcc_lo, 0, v6
	s_delay_alu instid0(VALU_DEP_2) | instskip(SKIP_1) | instid1(VALU_DEP_2)
	v_add_co_ci_u32_e32 v6, vcc_lo, 0, v3, vcc_lo
	v_cmp_ne_u32_e32 vcc_lo, 0xff, v3
	v_lshlrev_b32_e32 v6, 23, v6
	s_delay_alu instid0(VALU_DEP_1) | instskip(NEXT) | instid1(VALU_DEP_1)
	v_cndmask_b32_e32 v3, 0x7f800000, v6, vcc_lo
	v_div_scale_f32 v6, null, v3, v3, 1.0
	v_div_scale_f32 v12, vcc_lo, 1.0, v3, 1.0
	s_delay_alu instid0(VALU_DEP_2) | instskip(SKIP_2) | instid1(VALU_DEP_1)
	v_rcp_f32_e32 v7, v6
	s_waitcnt_depctr 0xfff
	v_fma_f32 v11, -v6, v7, 1.0
	v_fmac_f32_e32 v7, v11, v7
	s_delay_alu instid0(VALU_DEP_1) | instskip(NEXT) | instid1(VALU_DEP_1)
	v_mul_f32_e32 v11, v12, v7
	v_fma_f32 v13, -v6, v11, v12
	s_delay_alu instid0(VALU_DEP_1) | instskip(NEXT) | instid1(VALU_DEP_1)
	v_fmac_f32_e32 v11, v13, v7
	v_fma_f32 v6, -v6, v11, v12
	s_delay_alu instid0(VALU_DEP_1) | instskip(SKIP_2) | instid1(VALU_DEP_3)
	v_div_fmas_f32 v6, v6, v7, v11
	v_cmp_neq_f32_e32 vcc_lo, 0, v3
	v_mov_b32_e32 v7, 7
	v_div_fixup_f32 v6, v6, v3, 1.0
	s_delay_alu instid0(VALU_DEP_1) | instskip(NEXT) | instid1(VALU_DEP_1)
	v_cndmask_b32_e32 v11, 0, v6, vcc_lo
	v_dual_mul_f32 v6, v11, v5 :: v_dual_mov_b32 v5, 7
	s_delay_alu instid0(VALU_DEP_1)
	v_cmpx_nle_f32_e64 0x40a00000, |v6|
	s_cbranch_execz .LBB9_17
; %bb.6:
	v_mov_b32_e32 v5, 6
	s_mov_b32 s3, exec_lo
	v_cmpx_nle_f32_e64 0x40600000, |v6|
	s_cbranch_execz .LBB9_16
; %bb.7:
	v_mov_b32_e32 v5, 5
	s_mov_b32 s6, exec_lo
	;; [unrolled: 5-line block ×5, first 2 shown]
	v_cmpx_nle_f32_e64 0x3f400000, |v6|
; %bb.11:
	v_cmp_le_f32_e64 s12, 0x3e800000, |v6|
	s_delay_alu instid0(VALU_DEP_1)
	v_cndmask_b32_e64 v5, 0, 1, s12
; %bb.12:
	s_or_b32 exec_lo, exec_lo, s11
.LBB9_13:
	s_delay_alu instid0(SALU_CYCLE_1)
	s_or_b32 exec_lo, exec_lo, s10
.LBB9_14:
	s_delay_alu instid0(SALU_CYCLE_1)
	s_or_b32 exec_lo, exec_lo, s9
.LBB9_15:
	s_delay_alu instid0(SALU_CYCLE_1)
	s_or_b32 exec_lo, exec_lo, s6
.LBB9_16:
	s_delay_alu instid0(SALU_CYCLE_1)
	s_or_b32 exec_lo, exec_lo, s3
.LBB9_17:
	s_delay_alu instid0(SALU_CYCLE_1) | instskip(SKIP_2) | instid1(VALU_DEP_1)
	s_or_b32 exec_lo, exec_lo, s2
	v_mul_f32_e32 v8, v11, v8
	s_mov_b32 s2, exec_lo
	v_cmpx_nle_f32_e64 0x40a00000, |v8|
	s_cbranch_execz .LBB9_29
; %bb.18:
	v_mov_b32_e32 v7, 6
	s_mov_b32 s3, exec_lo
	v_cmpx_nle_f32_e64 0x40600000, |v8|
	s_cbranch_execz .LBB9_28
; %bb.19:
	v_mov_b32_e32 v7, 5
	;; [unrolled: 5-line block ×5, first 2 shown]
	s_mov_b32 s11, exec_lo
	v_cmpx_nle_f32_e64 0x3f400000, |v8|
; %bb.23:
	v_cmp_le_f32_e64 s12, 0x3e800000, |v8|
	s_delay_alu instid0(VALU_DEP_1)
	v_cndmask_b32_e64 v7, 0, 1, s12
; %bb.24:
	s_or_b32 exec_lo, exec_lo, s11
.LBB9_25:
	s_delay_alu instid0(SALU_CYCLE_1)
	s_or_b32 exec_lo, exec_lo, s10
.LBB9_26:
	s_delay_alu instid0(SALU_CYCLE_1)
	s_or_b32 exec_lo, exec_lo, s9
.LBB9_27:
	s_delay_alu instid0(SALU_CYCLE_1)
	s_or_b32 exec_lo, exec_lo, s6
.LBB9_28:
	s_delay_alu instid0(SALU_CYCLE_1)
	s_or_b32 exec_lo, exec_lo, s3
.LBB9_29:
	s_delay_alu instid0(SALU_CYCLE_1) | instskip(SKIP_3) | instid1(VALU_DEP_2)
	s_or_b32 exec_lo, exec_lo, s2
	v_dual_mul_f32 v12, v11, v10 :: v_dual_mov_b32 v13, 7
	v_mov_b32_e32 v10, 7
	s_mov_b32 s2, exec_lo
	v_cmpx_nle_f32_e64 0x40a00000, |v12|
	s_cbranch_execz .LBB9_41
; %bb.30:
	v_mov_b32_e32 v13, 6
	s_mov_b32 s3, exec_lo
	v_cmpx_nle_f32_e64 0x40600000, |v12|
	s_cbranch_execz .LBB9_40
; %bb.31:
	;; [unrolled: 5-line block ×5, first 2 shown]
	v_mov_b32_e32 v13, 2
	s_mov_b32 s11, exec_lo
	v_cmpx_nle_f32_e64 0x3f400000, |v12|
; %bb.35:
	v_cmp_le_f32_e64 s12, 0x3e800000, |v12|
	s_delay_alu instid0(VALU_DEP_1)
	v_cndmask_b32_e64 v13, 0, 1, s12
; %bb.36:
	s_or_b32 exec_lo, exec_lo, s11
.LBB9_37:
	s_delay_alu instid0(SALU_CYCLE_1)
	s_or_b32 exec_lo, exec_lo, s10
.LBB9_38:
	s_delay_alu instid0(SALU_CYCLE_1)
	s_or_b32 exec_lo, exec_lo, s9
.LBB9_39:
	s_delay_alu instid0(SALU_CYCLE_1)
	s_or_b32 exec_lo, exec_lo, s6
.LBB9_40:
	s_delay_alu instid0(SALU_CYCLE_1)
	s_or_b32 exec_lo, exec_lo, s3
.LBB9_41:
	s_delay_alu instid0(SALU_CYCLE_1) | instskip(SKIP_2) | instid1(VALU_DEP_1)
	s_or_b32 exec_lo, exec_lo, s2
	v_mul_f32_e32 v15, v11, v15
	s_mov_b32 s2, exec_lo
	v_cmpx_nle_f32_e64 0x40a00000, |v15|
	s_cbranch_execz .LBB9_53
; %bb.42:
	v_mov_b32_e32 v10, 6
	s_mov_b32 s3, exec_lo
	v_cmpx_nle_f32_e64 0x40600000, |v15|
	s_cbranch_execz .LBB9_52
; %bb.43:
	v_mov_b32_e32 v10, 5
	;; [unrolled: 5-line block ×5, first 2 shown]
	s_mov_b32 s11, exec_lo
	v_cmpx_nle_f32_e64 0x3f400000, |v15|
; %bb.47:
	v_cmp_le_f32_e64 s12, 0x3e800000, |v15|
	s_delay_alu instid0(VALU_DEP_1)
	v_cndmask_b32_e64 v10, 0, 1, s12
; %bb.48:
	s_or_b32 exec_lo, exec_lo, s11
.LBB9_49:
	s_delay_alu instid0(SALU_CYCLE_1)
	s_or_b32 exec_lo, exec_lo, s10
.LBB9_50:
	s_delay_alu instid0(SALU_CYCLE_1)
	s_or_b32 exec_lo, exec_lo, s9
.LBB9_51:
	s_delay_alu instid0(SALU_CYCLE_1)
	s_or_b32 exec_lo, exec_lo, s6
.LBB9_52:
	s_delay_alu instid0(SALU_CYCLE_1)
	s_or_b32 exec_lo, exec_lo, s3
.LBB9_53:
	s_delay_alu instid0(SALU_CYCLE_1) | instskip(SKIP_3) | instid1(VALU_DEP_2)
	s_or_b32 exec_lo, exec_lo, s2
	v_dual_mul_f32 v19, v11, v17 :: v_dual_mov_b32 v18, 7
	v_mov_b32_e32 v17, 7
	s_mov_b32 s2, exec_lo
	v_cmpx_nle_f32_e64 0x40a00000, |v19|
	s_cbranch_execz .LBB9_65
; %bb.54:
	v_mov_b32_e32 v17, 6
	s_mov_b32 s3, exec_lo
	v_cmpx_nle_f32_e64 0x40600000, |v19|
	s_cbranch_execz .LBB9_64
; %bb.55:
	;; [unrolled: 5-line block ×5, first 2 shown]
	v_mov_b32_e32 v17, 2
	s_mov_b32 s11, exec_lo
	v_cmpx_nle_f32_e64 0x3f400000, |v19|
; %bb.59:
	v_cmp_le_f32_e64 s12, 0x3e800000, |v19|
	s_delay_alu instid0(VALU_DEP_1)
	v_cndmask_b32_e64 v17, 0, 1, s12
; %bb.60:
	s_or_b32 exec_lo, exec_lo, s11
.LBB9_61:
	s_delay_alu instid0(SALU_CYCLE_1)
	s_or_b32 exec_lo, exec_lo, s10
.LBB9_62:
	s_delay_alu instid0(SALU_CYCLE_1)
	s_or_b32 exec_lo, exec_lo, s9
.LBB9_63:
	s_delay_alu instid0(SALU_CYCLE_1)
	s_or_b32 exec_lo, exec_lo, s6
.LBB9_64:
	s_delay_alu instid0(SALU_CYCLE_1)
	s_or_b32 exec_lo, exec_lo, s3
.LBB9_65:
	s_delay_alu instid0(SALU_CYCLE_1) | instskip(SKIP_2) | instid1(VALU_DEP_1)
	s_or_b32 exec_lo, exec_lo, s2
	v_mul_f32_e32 v21, v11, v21
	s_mov_b32 s2, exec_lo
	v_cmpx_nle_f32_e64 0x40a00000, |v21|
	s_cbranch_execz .LBB9_77
; %bb.66:
	v_mov_b32_e32 v18, 6
	s_mov_b32 s3, exec_lo
	v_cmpx_nle_f32_e64 0x40600000, |v21|
	s_cbranch_execz .LBB9_76
; %bb.67:
	v_mov_b32_e32 v18, 5
	;; [unrolled: 5-line block ×5, first 2 shown]
	s_mov_b32 s11, exec_lo
	v_cmpx_nle_f32_e64 0x3f400000, |v21|
; %bb.71:
	v_cmp_le_f32_e64 s12, 0x3e800000, |v21|
	s_delay_alu instid0(VALU_DEP_1)
	v_cndmask_b32_e64 v18, 0, 1, s12
; %bb.72:
	s_or_b32 exec_lo, exec_lo, s11
.LBB9_73:
	s_delay_alu instid0(SALU_CYCLE_1)
	s_or_b32 exec_lo, exec_lo, s10
.LBB9_74:
	s_delay_alu instid0(SALU_CYCLE_1)
	s_or_b32 exec_lo, exec_lo, s9
.LBB9_75:
	s_delay_alu instid0(SALU_CYCLE_1)
	s_or_b32 exec_lo, exec_lo, s6
.LBB9_76:
	s_delay_alu instid0(SALU_CYCLE_1)
	s_or_b32 exec_lo, exec_lo, s3
.LBB9_77:
	s_delay_alu instid0(SALU_CYCLE_1) | instskip(SKIP_3) | instid1(VALU_DEP_2)
	s_or_b32 exec_lo, exec_lo, s2
	v_dual_mul_f32 v25, v11, v23 :: v_dual_mov_b32 v24, 7
	v_mov_b32_e32 v23, 7
	s_mov_b32 s2, exec_lo
	v_cmpx_nle_f32_e64 0x40a00000, |v25|
	s_cbranch_execz .LBB9_89
; %bb.78:
	v_mov_b32_e32 v24, 6
	s_mov_b32 s3, exec_lo
	v_cmpx_nle_f32_e64 0x40600000, |v25|
	s_cbranch_execz .LBB9_88
; %bb.79:
	;; [unrolled: 5-line block ×5, first 2 shown]
	v_mov_b32_e32 v24, 2
	s_mov_b32 s11, exec_lo
	v_cmpx_nle_f32_e64 0x3f400000, |v25|
; %bb.83:
	v_cmp_le_f32_e64 s12, 0x3e800000, |v25|
	s_delay_alu instid0(VALU_DEP_1)
	v_cndmask_b32_e64 v24, 0, 1, s12
; %bb.84:
	s_or_b32 exec_lo, exec_lo, s11
.LBB9_85:
	s_delay_alu instid0(SALU_CYCLE_1)
	s_or_b32 exec_lo, exec_lo, s10
.LBB9_86:
	s_delay_alu instid0(SALU_CYCLE_1)
	s_or_b32 exec_lo, exec_lo, s9
.LBB9_87:
	s_delay_alu instid0(SALU_CYCLE_1)
	s_or_b32 exec_lo, exec_lo, s6
.LBB9_88:
	s_delay_alu instid0(SALU_CYCLE_1)
	s_or_b32 exec_lo, exec_lo, s3
.LBB9_89:
	s_delay_alu instid0(SALU_CYCLE_1) | instskip(SKIP_2) | instid1(VALU_DEP_1)
	s_or_b32 exec_lo, exec_lo, s2
	v_mul_f32_e32 v27, v11, v27
	s_mov_b32 s2, exec_lo
	v_cmpx_nle_f32_e64 0x40a00000, |v27|
	s_cbranch_execz .LBB9_101
; %bb.90:
	v_mov_b32_e32 v23, 6
	s_mov_b32 s3, exec_lo
	v_cmpx_nle_f32_e64 0x40600000, |v27|
	s_cbranch_execz .LBB9_100
; %bb.91:
	v_mov_b32_e32 v23, 5
	;; [unrolled: 5-line block ×5, first 2 shown]
	s_mov_b32 s11, exec_lo
	v_cmpx_nle_f32_e64 0x3f400000, |v27|
; %bb.95:
	v_cmp_le_f32_e64 s12, 0x3e800000, |v27|
	s_delay_alu instid0(VALU_DEP_1)
	v_cndmask_b32_e64 v23, 0, 1, s12
; %bb.96:
	s_or_b32 exec_lo, exec_lo, s11
.LBB9_97:
	s_delay_alu instid0(SALU_CYCLE_1)
	s_or_b32 exec_lo, exec_lo, s10
.LBB9_98:
	s_delay_alu instid0(SALU_CYCLE_1)
	s_or_b32 exec_lo, exec_lo, s9
.LBB9_99:
	s_delay_alu instid0(SALU_CYCLE_1)
	s_or_b32 exec_lo, exec_lo, s6
.LBB9_100:
	s_delay_alu instid0(SALU_CYCLE_1)
	s_or_b32 exec_lo, exec_lo, s3
.LBB9_101:
	s_delay_alu instid0(SALU_CYCLE_1) | instskip(SKIP_3) | instid1(VALU_DEP_2)
	s_or_b32 exec_lo, exec_lo, s2
	v_dual_mul_f32 v31, v11, v29 :: v_dual_mov_b32 v30, 7
	v_mov_b32_e32 v29, 7
	s_mov_b32 s2, exec_lo
	v_cmpx_nle_f32_e64 0x40a00000, |v31|
	s_cbranch_execz .LBB9_113
; %bb.102:
	v_mov_b32_e32 v30, 6
	s_mov_b32 s3, exec_lo
	v_cmpx_nle_f32_e64 0x40600000, |v31|
	s_cbranch_execz .LBB9_112
; %bb.103:
	;; [unrolled: 5-line block ×5, first 2 shown]
	v_mov_b32_e32 v30, 2
	s_mov_b32 s11, exec_lo
	v_cmpx_nle_f32_e64 0x3f400000, |v31|
; %bb.107:
	v_cmp_le_f32_e64 s12, 0x3e800000, |v31|
	s_delay_alu instid0(VALU_DEP_1)
	v_cndmask_b32_e64 v30, 0, 1, s12
; %bb.108:
	s_or_b32 exec_lo, exec_lo, s11
.LBB9_109:
	s_delay_alu instid0(SALU_CYCLE_1)
	s_or_b32 exec_lo, exec_lo, s10
.LBB9_110:
	s_delay_alu instid0(SALU_CYCLE_1)
	s_or_b32 exec_lo, exec_lo, s9
.LBB9_111:
	s_delay_alu instid0(SALU_CYCLE_1)
	s_or_b32 exec_lo, exec_lo, s6
.LBB9_112:
	s_delay_alu instid0(SALU_CYCLE_1)
	s_or_b32 exec_lo, exec_lo, s3
.LBB9_113:
	s_delay_alu instid0(SALU_CYCLE_1) | instskip(SKIP_2) | instid1(VALU_DEP_1)
	s_or_b32 exec_lo, exec_lo, s2
	v_mul_f32_e32 v33, v11, v33
	s_mov_b32 s2, exec_lo
	v_cmpx_nle_f32_e64 0x40a00000, |v33|
	s_cbranch_execz .LBB9_125
; %bb.114:
	v_mov_b32_e32 v29, 6
	s_mov_b32 s3, exec_lo
	v_cmpx_nle_f32_e64 0x40600000, |v33|
	s_cbranch_execz .LBB9_124
; %bb.115:
	v_mov_b32_e32 v29, 5
	;; [unrolled: 5-line block ×5, first 2 shown]
	s_mov_b32 s11, exec_lo
	v_cmpx_nle_f32_e64 0x3f400000, |v33|
; %bb.119:
	v_cmp_le_f32_e64 s12, 0x3e800000, |v33|
	s_delay_alu instid0(VALU_DEP_1)
	v_cndmask_b32_e64 v29, 0, 1, s12
; %bb.120:
	s_or_b32 exec_lo, exec_lo, s11
.LBB9_121:
	s_delay_alu instid0(SALU_CYCLE_1)
	s_or_b32 exec_lo, exec_lo, s10
.LBB9_122:
	s_delay_alu instid0(SALU_CYCLE_1)
	s_or_b32 exec_lo, exec_lo, s9
.LBB9_123:
	s_delay_alu instid0(SALU_CYCLE_1)
	s_or_b32 exec_lo, exec_lo, s6
.LBB9_124:
	s_delay_alu instid0(SALU_CYCLE_1)
	s_or_b32 exec_lo, exec_lo, s3
.LBB9_125:
	s_delay_alu instid0(SALU_CYCLE_1) | instskip(SKIP_3) | instid1(VALU_DEP_2)
	s_or_b32 exec_lo, exec_lo, s2
	v_dual_mul_f32 v38, v11, v35 :: v_dual_mov_b32 v35, 7
	v_mov_b32_e32 v36, 7
	s_mov_b32 s2, exec_lo
	v_cmpx_nle_f32_e64 0x40a00000, |v38|
	s_cbranch_execz .LBB9_137
; %bb.126:
	v_mov_b32_e32 v36, 6
	s_mov_b32 s3, exec_lo
	v_cmpx_nle_f32_e64 0x40600000, |v38|
	s_cbranch_execz .LBB9_136
; %bb.127:
	;; [unrolled: 5-line block ×5, first 2 shown]
	v_mov_b32_e32 v36, 2
	s_mov_b32 s11, exec_lo
	v_cmpx_nle_f32_e64 0x3f400000, |v38|
; %bb.131:
	v_cmp_le_f32_e64 s12, 0x3e800000, |v38|
	s_delay_alu instid0(VALU_DEP_1)
	v_cndmask_b32_e64 v36, 0, 1, s12
; %bb.132:
	s_or_b32 exec_lo, exec_lo, s11
.LBB9_133:
	s_delay_alu instid0(SALU_CYCLE_1)
	s_or_b32 exec_lo, exec_lo, s10
.LBB9_134:
	s_delay_alu instid0(SALU_CYCLE_1)
	s_or_b32 exec_lo, exec_lo, s9
.LBB9_135:
	s_delay_alu instid0(SALU_CYCLE_1)
	s_or_b32 exec_lo, exec_lo, s6
.LBB9_136:
	s_delay_alu instid0(SALU_CYCLE_1)
	s_or_b32 exec_lo, exec_lo, s3
.LBB9_137:
	s_delay_alu instid0(SALU_CYCLE_1) | instskip(SKIP_2) | instid1(VALU_DEP_1)
	s_or_b32 exec_lo, exec_lo, s2
	v_mul_f32_e32 v39, v11, v39
	s_mov_b32 s2, exec_lo
	v_cmpx_nle_f32_e64 0x40a00000, |v39|
	s_cbranch_execz .LBB9_149
; %bb.138:
	v_mov_b32_e32 v35, 6
	s_mov_b32 s3, exec_lo
	v_cmpx_nle_f32_e64 0x40600000, |v39|
	s_cbranch_execz .LBB9_148
; %bb.139:
	v_mov_b32_e32 v35, 5
	;; [unrolled: 5-line block ×5, first 2 shown]
	s_mov_b32 s11, exec_lo
	v_cmpx_nle_f32_e64 0x3f400000, |v39|
; %bb.143:
	v_cmp_le_f32_e64 s12, 0x3e800000, |v39|
	s_delay_alu instid0(VALU_DEP_1)
	v_cndmask_b32_e64 v35, 0, 1, s12
; %bb.144:
	s_or_b32 exec_lo, exec_lo, s11
.LBB9_145:
	s_delay_alu instid0(SALU_CYCLE_1)
	s_or_b32 exec_lo, exec_lo, s10
.LBB9_146:
	s_delay_alu instid0(SALU_CYCLE_1)
	s_or_b32 exec_lo, exec_lo, s9
.LBB9_147:
	s_delay_alu instid0(SALU_CYCLE_1)
	s_or_b32 exec_lo, exec_lo, s6
.LBB9_148:
	s_delay_alu instid0(SALU_CYCLE_1)
	s_or_b32 exec_lo, exec_lo, s3
.LBB9_149:
	s_delay_alu instid0(SALU_CYCLE_1) | instskip(SKIP_3) | instid1(VALU_DEP_2)
	s_or_b32 exec_lo, exec_lo, s2
	v_dual_mul_f32 v44, v11, v41 :: v_dual_mov_b32 v41, 7
	v_mov_b32_e32 v45, 7
	s_mov_b32 s2, exec_lo
	v_cmpx_nle_f32_e64 0x40a00000, |v44|
	s_cbranch_execz .LBB9_161
; %bb.150:
	v_mov_b32_e32 v45, 6
	s_mov_b32 s3, exec_lo
	v_cmpx_nle_f32_e64 0x40600000, |v44|
	s_cbranch_execz .LBB9_160
; %bb.151:
	;; [unrolled: 5-line block ×5, first 2 shown]
	v_mov_b32_e32 v45, 2
	s_mov_b32 s11, exec_lo
	v_cmpx_nle_f32_e64 0x3f400000, |v44|
; %bb.155:
	v_cmp_le_f32_e64 s12, 0x3e800000, |v44|
	s_delay_alu instid0(VALU_DEP_1)
	v_cndmask_b32_e64 v45, 0, 1, s12
; %bb.156:
	s_or_b32 exec_lo, exec_lo, s11
.LBB9_157:
	s_delay_alu instid0(SALU_CYCLE_1)
	s_or_b32 exec_lo, exec_lo, s10
.LBB9_158:
	s_delay_alu instid0(SALU_CYCLE_1)
	s_or_b32 exec_lo, exec_lo, s9
.LBB9_159:
	s_delay_alu instid0(SALU_CYCLE_1)
	s_or_b32 exec_lo, exec_lo, s6
.LBB9_160:
	s_delay_alu instid0(SALU_CYCLE_1)
	s_or_b32 exec_lo, exec_lo, s3
.LBB9_161:
	s_delay_alu instid0(SALU_CYCLE_1) | instskip(SKIP_2) | instid1(VALU_DEP_1)
	s_or_b32 exec_lo, exec_lo, s2
	v_mul_f32_e32 v43, v11, v43
	s_mov_b32 s2, exec_lo
	v_cmpx_nle_f32_e64 0x40a00000, |v43|
	s_cbranch_execz .LBB9_173
; %bb.162:
	v_mov_b32_e32 v41, 6
	s_mov_b32 s3, exec_lo
	v_cmpx_nle_f32_e64 0x40600000, |v43|
	s_cbranch_execz .LBB9_172
; %bb.163:
	v_mov_b32_e32 v41, 5
	;; [unrolled: 5-line block ×5, first 2 shown]
	s_mov_b32 s11, exec_lo
	v_cmpx_nle_f32_e64 0x3f400000, |v43|
; %bb.167:
	v_cmp_le_f32_e64 s12, 0x3e800000, |v43|
	s_delay_alu instid0(VALU_DEP_1)
	v_cndmask_b32_e64 v41, 0, 1, s12
; %bb.168:
	s_or_b32 exec_lo, exec_lo, s11
.LBB9_169:
	s_delay_alu instid0(SALU_CYCLE_1)
	s_or_b32 exec_lo, exec_lo, s10
.LBB9_170:
	s_delay_alu instid0(SALU_CYCLE_1)
	s_or_b32 exec_lo, exec_lo, s9
.LBB9_171:
	s_delay_alu instid0(SALU_CYCLE_1)
	s_or_b32 exec_lo, exec_lo, s6
.LBB9_172:
	s_delay_alu instid0(SALU_CYCLE_1)
	s_or_b32 exec_lo, exec_lo, s3
.LBB9_173:
	s_delay_alu instid0(SALU_CYCLE_1) | instskip(SKIP_3) | instid1(VALU_DEP_2)
	s_or_b32 exec_lo, exec_lo, s2
	v_dual_mul_f32 v51, v11, v46 :: v_dual_mov_b32 v46, 7
	v_mov_b32_e32 v50, 7
	s_mov_b32 s2, exec_lo
	v_cmpx_nle_f32_e64 0x40a00000, |v51|
	s_cbranch_execz .LBB9_185
; %bb.174:
	v_mov_b32_e32 v50, 6
	s_mov_b32 s3, exec_lo
	v_cmpx_nle_f32_e64 0x40600000, |v51|
	s_cbranch_execz .LBB9_184
; %bb.175:
	;; [unrolled: 5-line block ×5, first 2 shown]
	v_mov_b32_e32 v50, 2
	s_mov_b32 s11, exec_lo
	v_cmpx_nle_f32_e64 0x3f400000, |v51|
; %bb.179:
	v_cmp_le_f32_e64 s12, 0x3e800000, |v51|
	s_delay_alu instid0(VALU_DEP_1)
	v_cndmask_b32_e64 v50, 0, 1, s12
; %bb.180:
	s_or_b32 exec_lo, exec_lo, s11
.LBB9_181:
	s_delay_alu instid0(SALU_CYCLE_1)
	s_or_b32 exec_lo, exec_lo, s10
.LBB9_182:
	s_delay_alu instid0(SALU_CYCLE_1)
	s_or_b32 exec_lo, exec_lo, s9
.LBB9_183:
	s_delay_alu instid0(SALU_CYCLE_1)
	s_or_b32 exec_lo, exec_lo, s6
.LBB9_184:
	s_delay_alu instid0(SALU_CYCLE_1)
	s_or_b32 exec_lo, exec_lo, s3
.LBB9_185:
	s_delay_alu instid0(SALU_CYCLE_1) | instskip(SKIP_2) | instid1(VALU_DEP_1)
	s_or_b32 exec_lo, exec_lo, s2
	v_mul_f32_e32 v48, v11, v48
	s_mov_b32 s2, exec_lo
	v_cmpx_nle_f32_e64 0x40a00000, |v48|
	s_cbranch_execz .LBB9_197
; %bb.186:
	v_mov_b32_e32 v46, 6
	s_mov_b32 s3, exec_lo
	v_cmpx_nle_f32_e64 0x40600000, |v48|
	s_cbranch_execz .LBB9_196
; %bb.187:
	v_mov_b32_e32 v46, 5
	;; [unrolled: 5-line block ×5, first 2 shown]
	s_mov_b32 s11, exec_lo
	v_cmpx_nle_f32_e64 0x3f400000, |v48|
; %bb.191:
	v_cmp_le_f32_e64 s12, 0x3e800000, |v48|
	s_delay_alu instid0(VALU_DEP_1)
	v_cndmask_b32_e64 v46, 0, 1, s12
; %bb.192:
	s_or_b32 exec_lo, exec_lo, s11
.LBB9_193:
	s_delay_alu instid0(SALU_CYCLE_1)
	s_or_b32 exec_lo, exec_lo, s10
.LBB9_194:
	s_delay_alu instid0(SALU_CYCLE_1)
	s_or_b32 exec_lo, exec_lo, s9
.LBB9_195:
	s_delay_alu instid0(SALU_CYCLE_1)
	s_or_b32 exec_lo, exec_lo, s6
.LBB9_196:
	s_delay_alu instid0(SALU_CYCLE_1)
	s_or_b32 exec_lo, exec_lo, s3
.LBB9_197:
	s_delay_alu instid0(SALU_CYCLE_1) | instskip(SKIP_3) | instid1(VALU_DEP_2)
	s_or_b32 exec_lo, exec_lo, s2
	v_dual_mul_f32 v55, v11, v53 :: v_dual_mov_b32 v54, 7
	v_mov_b32_e32 v53, 7
	s_mov_b32 s2, exec_lo
	v_cmpx_nle_f32_e64 0x40a00000, |v55|
	s_cbranch_execz .LBB9_209
; %bb.198:
	v_mov_b32_e32 v54, 6
	s_mov_b32 s3, exec_lo
	v_cmpx_nle_f32_e64 0x40600000, |v55|
	s_cbranch_execz .LBB9_208
; %bb.199:
	v_mov_b32_e32 v54, 5
	s_mov_b32 s6, exec_lo
	v_cmpx_nle_f32_e64 0x40200000, |v55|
	s_cbranch_execz .LBB9_207
; %bb.200:
	v_mov_b32_e32 v54, 4
	s_mov_b32 s9, exec_lo
	v_cmpx_nle_f32_e64 0x3fe00000, |v55|
	s_cbranch_execz .LBB9_206
; %bb.201:
	v_mov_b32_e32 v54, 3
	s_mov_b32 s10, exec_lo
	v_cmpx_nle_f32_e64 0x3fa00000, |v55|
	s_cbranch_execz .LBB9_205
; %bb.202:
	v_mov_b32_e32 v54, 2
	s_mov_b32 s11, exec_lo
	v_cmpx_nle_f32_e64 0x3f400000, |v55|
; %bb.203:
	v_cmp_le_f32_e64 s12, 0x3e800000, |v55|
	s_delay_alu instid0(VALU_DEP_1)
	v_cndmask_b32_e64 v54, 0, 1, s12
; %bb.204:
	s_or_b32 exec_lo, exec_lo, s11
.LBB9_205:
	s_delay_alu instid0(SALU_CYCLE_1)
	s_or_b32 exec_lo, exec_lo, s10
.LBB9_206:
	s_delay_alu instid0(SALU_CYCLE_1)
	s_or_b32 exec_lo, exec_lo, s9
.LBB9_207:
	s_delay_alu instid0(SALU_CYCLE_1)
	s_or_b32 exec_lo, exec_lo, s6
.LBB9_208:
	s_delay_alu instid0(SALU_CYCLE_1)
	s_or_b32 exec_lo, exec_lo, s3
.LBB9_209:
	s_delay_alu instid0(SALU_CYCLE_1) | instskip(SKIP_2) | instid1(VALU_DEP_1)
	s_or_b32 exec_lo, exec_lo, s2
	v_mul_f32_e32 v52, v11, v52
	s_mov_b32 s2, exec_lo
	v_cmpx_nle_f32_e64 0x40a00000, |v52|
	s_cbranch_execz .LBB9_221
; %bb.210:
	v_mov_b32_e32 v53, 6
	s_mov_b32 s3, exec_lo
	v_cmpx_nle_f32_e64 0x40600000, |v52|
	s_cbranch_execz .LBB9_220
; %bb.211:
	v_mov_b32_e32 v53, 5
	;; [unrolled: 5-line block ×5, first 2 shown]
	s_mov_b32 s11, exec_lo
	v_cmpx_nle_f32_e64 0x3f400000, |v52|
; %bb.215:
	v_cmp_le_f32_e64 s12, 0x3e800000, |v52|
	s_delay_alu instid0(VALU_DEP_1)
	v_cndmask_b32_e64 v53, 0, 1, s12
; %bb.216:
	s_or_b32 exec_lo, exec_lo, s11
.LBB9_217:
	s_delay_alu instid0(SALU_CYCLE_1)
	s_or_b32 exec_lo, exec_lo, s10
.LBB9_218:
	s_delay_alu instid0(SALU_CYCLE_1)
	s_or_b32 exec_lo, exec_lo, s9
.LBB9_219:
	s_delay_alu instid0(SALU_CYCLE_1)
	s_or_b32 exec_lo, exec_lo, s6
.LBB9_220:
	s_delay_alu instid0(SALU_CYCLE_1)
	s_or_b32 exec_lo, exec_lo, s3
.LBB9_221:
	s_delay_alu instid0(SALU_CYCLE_1) | instskip(SKIP_3) | instid1(VALU_DEP_2)
	s_or_b32 exec_lo, exec_lo, s2
	v_dual_mul_f32 v57, v11, v49 :: v_dual_mov_b32 v56, 7
	v_mov_b32_e32 v49, 7
	s_mov_b32 s2, exec_lo
	v_cmpx_nle_f32_e64 0x40a00000, |v57|
	s_cbranch_execz .LBB9_233
; %bb.222:
	v_mov_b32_e32 v56, 6
	s_mov_b32 s3, exec_lo
	v_cmpx_nle_f32_e64 0x40600000, |v57|
	s_cbranch_execz .LBB9_232
; %bb.223:
	;; [unrolled: 5-line block ×5, first 2 shown]
	v_mov_b32_e32 v56, 2
	s_mov_b32 s11, exec_lo
	v_cmpx_nle_f32_e64 0x3f400000, |v57|
; %bb.227:
	v_cmp_le_f32_e64 s12, 0x3e800000, |v57|
	s_delay_alu instid0(VALU_DEP_1)
	v_cndmask_b32_e64 v56, 0, 1, s12
; %bb.228:
	s_or_b32 exec_lo, exec_lo, s11
.LBB9_229:
	s_delay_alu instid0(SALU_CYCLE_1)
	s_or_b32 exec_lo, exec_lo, s10
.LBB9_230:
	s_delay_alu instid0(SALU_CYCLE_1)
	s_or_b32 exec_lo, exec_lo, s9
.LBB9_231:
	s_delay_alu instid0(SALU_CYCLE_1)
	s_or_b32 exec_lo, exec_lo, s6
.LBB9_232:
	s_delay_alu instid0(SALU_CYCLE_1)
	s_or_b32 exec_lo, exec_lo, s3
.LBB9_233:
	s_delay_alu instid0(SALU_CYCLE_1) | instskip(SKIP_2) | instid1(VALU_DEP_1)
	s_or_b32 exec_lo, exec_lo, s2
	v_mul_f32_e32 v47, v11, v47
	s_mov_b32 s2, exec_lo
	v_cmpx_nle_f32_e64 0x40a00000, |v47|
	s_cbranch_execz .LBB9_245
; %bb.234:
	v_mov_b32_e32 v49, 6
	s_mov_b32 s3, exec_lo
	v_cmpx_nle_f32_e64 0x40600000, |v47|
	s_cbranch_execz .LBB9_244
; %bb.235:
	v_mov_b32_e32 v49, 5
	;; [unrolled: 5-line block ×5, first 2 shown]
	s_mov_b32 s11, exec_lo
	v_cmpx_nle_f32_e64 0x3f400000, |v47|
; %bb.239:
	v_cmp_le_f32_e64 s12, 0x3e800000, |v47|
	s_delay_alu instid0(VALU_DEP_1)
	v_cndmask_b32_e64 v49, 0, 1, s12
; %bb.240:
	s_or_b32 exec_lo, exec_lo, s11
.LBB9_241:
	s_delay_alu instid0(SALU_CYCLE_1)
	s_or_b32 exec_lo, exec_lo, s10
.LBB9_242:
	s_delay_alu instid0(SALU_CYCLE_1)
	s_or_b32 exec_lo, exec_lo, s9
.LBB9_243:
	s_delay_alu instid0(SALU_CYCLE_1)
	s_or_b32 exec_lo, exec_lo, s6
.LBB9_244:
	s_delay_alu instid0(SALU_CYCLE_1)
	s_or_b32 exec_lo, exec_lo, s3
.LBB9_245:
	s_delay_alu instid0(SALU_CYCLE_1) | instskip(SKIP_3) | instid1(VALU_DEP_2)
	s_or_b32 exec_lo, exec_lo, s2
	v_dual_mul_f32 v59, v11, v42 :: v_dual_mov_b32 v42, 7
	v_mov_b32_e32 v58, 7
	s_mov_b32 s2, exec_lo
	v_cmpx_nle_f32_e64 0x40a00000, |v59|
	s_cbranch_execz .LBB9_257
; %bb.246:
	v_mov_b32_e32 v58, 6
	s_mov_b32 s3, exec_lo
	v_cmpx_nle_f32_e64 0x40600000, |v59|
	s_cbranch_execz .LBB9_256
; %bb.247:
	;; [unrolled: 5-line block ×5, first 2 shown]
	v_mov_b32_e32 v58, 2
	s_mov_b32 s11, exec_lo
	v_cmpx_nle_f32_e64 0x3f400000, |v59|
; %bb.251:
	v_cmp_le_f32_e64 s12, 0x3e800000, |v59|
	s_delay_alu instid0(VALU_DEP_1)
	v_cndmask_b32_e64 v58, 0, 1, s12
; %bb.252:
	s_or_b32 exec_lo, exec_lo, s11
.LBB9_253:
	s_delay_alu instid0(SALU_CYCLE_1)
	s_or_b32 exec_lo, exec_lo, s10
.LBB9_254:
	s_delay_alu instid0(SALU_CYCLE_1)
	s_or_b32 exec_lo, exec_lo, s9
.LBB9_255:
	s_delay_alu instid0(SALU_CYCLE_1)
	s_or_b32 exec_lo, exec_lo, s6
.LBB9_256:
	s_delay_alu instid0(SALU_CYCLE_1)
	s_or_b32 exec_lo, exec_lo, s3
.LBB9_257:
	s_delay_alu instid0(SALU_CYCLE_1) | instskip(SKIP_2) | instid1(VALU_DEP_1)
	s_or_b32 exec_lo, exec_lo, s2
	v_mul_f32_e32 v40, v11, v40
	s_mov_b32 s2, exec_lo
	v_cmpx_nle_f32_e64 0x40a00000, |v40|
	s_cbranch_execz .LBB9_269
; %bb.258:
	v_mov_b32_e32 v42, 6
	s_mov_b32 s3, exec_lo
	v_cmpx_nle_f32_e64 0x40600000, |v40|
	s_cbranch_execz .LBB9_268
; %bb.259:
	v_mov_b32_e32 v42, 5
	;; [unrolled: 5-line block ×5, first 2 shown]
	s_mov_b32 s11, exec_lo
	v_cmpx_nle_f32_e64 0x3f400000, |v40|
; %bb.263:
	v_cmp_le_f32_e64 s12, 0x3e800000, |v40|
	s_delay_alu instid0(VALU_DEP_1)
	v_cndmask_b32_e64 v42, 0, 1, s12
; %bb.264:
	s_or_b32 exec_lo, exec_lo, s11
.LBB9_265:
	s_delay_alu instid0(SALU_CYCLE_1)
	s_or_b32 exec_lo, exec_lo, s10
.LBB9_266:
	s_delay_alu instid0(SALU_CYCLE_1)
	s_or_b32 exec_lo, exec_lo, s9
.LBB9_267:
	s_delay_alu instid0(SALU_CYCLE_1)
	s_or_b32 exec_lo, exec_lo, s6
.LBB9_268:
	s_delay_alu instid0(SALU_CYCLE_1)
	s_or_b32 exec_lo, exec_lo, s3
.LBB9_269:
	s_delay_alu instid0(SALU_CYCLE_1) | instskip(SKIP_3) | instid1(VALU_DEP_2)
	s_or_b32 exec_lo, exec_lo, s2
	v_dual_mul_f32 v60, v11, v37 :: v_dual_mov_b32 v37, 7
	v_mov_b32_e32 v61, 7
	s_mov_b32 s2, exec_lo
	v_cmpx_nle_f32_e64 0x40a00000, |v60|
	s_cbranch_execz .LBB9_281
; %bb.270:
	v_mov_b32_e32 v61, 6
	s_mov_b32 s3, exec_lo
	v_cmpx_nle_f32_e64 0x40600000, |v60|
	s_cbranch_execz .LBB9_280
; %bb.271:
	;; [unrolled: 5-line block ×5, first 2 shown]
	v_mov_b32_e32 v61, 2
	s_mov_b32 s11, exec_lo
	v_cmpx_nle_f32_e64 0x3f400000, |v60|
; %bb.275:
	v_cmp_le_f32_e64 s12, 0x3e800000, |v60|
	s_delay_alu instid0(VALU_DEP_1)
	v_cndmask_b32_e64 v61, 0, 1, s12
; %bb.276:
	s_or_b32 exec_lo, exec_lo, s11
.LBB9_277:
	s_delay_alu instid0(SALU_CYCLE_1)
	s_or_b32 exec_lo, exec_lo, s10
.LBB9_278:
	s_delay_alu instid0(SALU_CYCLE_1)
	s_or_b32 exec_lo, exec_lo, s9
.LBB9_279:
	s_delay_alu instid0(SALU_CYCLE_1)
	s_or_b32 exec_lo, exec_lo, s6
.LBB9_280:
	s_delay_alu instid0(SALU_CYCLE_1)
	s_or_b32 exec_lo, exec_lo, s3
.LBB9_281:
	s_delay_alu instid0(SALU_CYCLE_1) | instskip(SKIP_2) | instid1(VALU_DEP_1)
	s_or_b32 exec_lo, exec_lo, s2
	v_mul_f32_e32 v34, v11, v34
	s_mov_b32 s2, exec_lo
	v_cmpx_nle_f32_e64 0x40a00000, |v34|
	s_cbranch_execz .LBB9_293
; %bb.282:
	v_mov_b32_e32 v37, 6
	s_mov_b32 s3, exec_lo
	v_cmpx_nle_f32_e64 0x40600000, |v34|
	s_cbranch_execz .LBB9_292
; %bb.283:
	v_mov_b32_e32 v37, 5
	s_mov_b32 s6, exec_lo
	v_cmpx_nle_f32_e64 0x40200000, |v34|
	s_cbranch_execz .LBB9_291
; %bb.284:
	v_mov_b32_e32 v37, 4
	s_mov_b32 s9, exec_lo
	v_cmpx_nle_f32_e64 0x3fe00000, |v34|
	s_cbranch_execz .LBB9_290
; %bb.285:
	v_mov_b32_e32 v37, 3
	s_mov_b32 s10, exec_lo
	v_cmpx_nle_f32_e64 0x3fa00000, |v34|
	s_cbranch_execz .LBB9_289
; %bb.286:
	v_mov_b32_e32 v37, 2
	s_mov_b32 s11, exec_lo
	v_cmpx_nle_f32_e64 0x3f400000, |v34|
; %bb.287:
	v_cmp_le_f32_e64 s12, 0x3e800000, |v34|
	s_delay_alu instid0(VALU_DEP_1)
	v_cndmask_b32_e64 v37, 0, 1, s12
; %bb.288:
	s_or_b32 exec_lo, exec_lo, s11
.LBB9_289:
	s_delay_alu instid0(SALU_CYCLE_1)
	s_or_b32 exec_lo, exec_lo, s10
.LBB9_290:
	s_delay_alu instid0(SALU_CYCLE_1)
	s_or_b32 exec_lo, exec_lo, s9
.LBB9_291:
	s_delay_alu instid0(SALU_CYCLE_1)
	s_or_b32 exec_lo, exec_lo, s6
.LBB9_292:
	s_delay_alu instid0(SALU_CYCLE_1)
	s_or_b32 exec_lo, exec_lo, s3
.LBB9_293:
	s_delay_alu instid0(SALU_CYCLE_1) | instskip(SKIP_3) | instid1(VALU_DEP_2)
	s_or_b32 exec_lo, exec_lo, s2
	v_dual_mul_f32 v63, v11, v32 :: v_dual_mov_b32 v32, 7
	v_mov_b32_e32 v62, 7
	s_mov_b32 s2, exec_lo
	v_cmpx_nle_f32_e64 0x40a00000, |v63|
	s_cbranch_execz .LBB9_305
; %bb.294:
	v_mov_b32_e32 v62, 6
	s_mov_b32 s3, exec_lo
	v_cmpx_nle_f32_e64 0x40600000, |v63|
	s_cbranch_execz .LBB9_304
; %bb.295:
	;; [unrolled: 5-line block ×5, first 2 shown]
	v_mov_b32_e32 v62, 2
	s_mov_b32 s11, exec_lo
	v_cmpx_nle_f32_e64 0x3f400000, |v63|
; %bb.299:
	v_cmp_le_f32_e64 s12, 0x3e800000, |v63|
	s_delay_alu instid0(VALU_DEP_1)
	v_cndmask_b32_e64 v62, 0, 1, s12
; %bb.300:
	s_or_b32 exec_lo, exec_lo, s11
.LBB9_301:
	s_delay_alu instid0(SALU_CYCLE_1)
	s_or_b32 exec_lo, exec_lo, s10
.LBB9_302:
	s_delay_alu instid0(SALU_CYCLE_1)
	s_or_b32 exec_lo, exec_lo, s9
.LBB9_303:
	s_delay_alu instid0(SALU_CYCLE_1)
	s_or_b32 exec_lo, exec_lo, s6
.LBB9_304:
	s_delay_alu instid0(SALU_CYCLE_1)
	s_or_b32 exec_lo, exec_lo, s3
.LBB9_305:
	s_delay_alu instid0(SALU_CYCLE_1) | instskip(SKIP_2) | instid1(VALU_DEP_1)
	s_or_b32 exec_lo, exec_lo, s2
	v_mul_f32_e32 v28, v11, v28
	s_mov_b32 s2, exec_lo
	v_cmpx_nle_f32_e64 0x40a00000, |v28|
	s_cbranch_execz .LBB9_317
; %bb.306:
	v_mov_b32_e32 v32, 6
	s_mov_b32 s3, exec_lo
	v_cmpx_nle_f32_e64 0x40600000, |v28|
	s_cbranch_execz .LBB9_316
; %bb.307:
	v_mov_b32_e32 v32, 5
	;; [unrolled: 5-line block ×5, first 2 shown]
	s_mov_b32 s11, exec_lo
	v_cmpx_nle_f32_e64 0x3f400000, |v28|
; %bb.311:
	v_cmp_le_f32_e64 s12, 0x3e800000, |v28|
	s_delay_alu instid0(VALU_DEP_1)
	v_cndmask_b32_e64 v32, 0, 1, s12
; %bb.312:
	s_or_b32 exec_lo, exec_lo, s11
.LBB9_313:
	s_delay_alu instid0(SALU_CYCLE_1)
	s_or_b32 exec_lo, exec_lo, s10
.LBB9_314:
	s_delay_alu instid0(SALU_CYCLE_1)
	s_or_b32 exec_lo, exec_lo, s9
.LBB9_315:
	s_delay_alu instid0(SALU_CYCLE_1)
	s_or_b32 exec_lo, exec_lo, s6
.LBB9_316:
	s_delay_alu instid0(SALU_CYCLE_1)
	s_or_b32 exec_lo, exec_lo, s3
.LBB9_317:
	s_delay_alu instid0(SALU_CYCLE_1) | instskip(SKIP_3) | instid1(VALU_DEP_2)
	s_or_b32 exec_lo, exec_lo, s2
	v_dual_mul_f32 v65, v11, v26 :: v_dual_mov_b32 v26, 7
	v_mov_b32_e32 v64, 7
	s_mov_b32 s2, exec_lo
	v_cmpx_nle_f32_e64 0x40a00000, |v65|
	s_cbranch_execz .LBB9_329
; %bb.318:
	v_mov_b32_e32 v64, 6
	s_mov_b32 s3, exec_lo
	v_cmpx_nle_f32_e64 0x40600000, |v65|
	s_cbranch_execz .LBB9_328
; %bb.319:
	;; [unrolled: 5-line block ×5, first 2 shown]
	v_mov_b32_e32 v64, 2
	s_mov_b32 s11, exec_lo
	v_cmpx_nle_f32_e64 0x3f400000, |v65|
; %bb.323:
	v_cmp_le_f32_e64 s12, 0x3e800000, |v65|
	s_delay_alu instid0(VALU_DEP_1)
	v_cndmask_b32_e64 v64, 0, 1, s12
; %bb.324:
	s_or_b32 exec_lo, exec_lo, s11
.LBB9_325:
	s_delay_alu instid0(SALU_CYCLE_1)
	s_or_b32 exec_lo, exec_lo, s10
.LBB9_326:
	s_delay_alu instid0(SALU_CYCLE_1)
	s_or_b32 exec_lo, exec_lo, s9
.LBB9_327:
	s_delay_alu instid0(SALU_CYCLE_1)
	s_or_b32 exec_lo, exec_lo, s6
.LBB9_328:
	s_delay_alu instid0(SALU_CYCLE_1)
	s_or_b32 exec_lo, exec_lo, s3
.LBB9_329:
	s_delay_alu instid0(SALU_CYCLE_1) | instskip(SKIP_2) | instid1(VALU_DEP_1)
	s_or_b32 exec_lo, exec_lo, s2
	v_mul_f32_e32 v22, v11, v22
	s_mov_b32 s2, exec_lo
	v_cmpx_nle_f32_e64 0x40a00000, |v22|
	s_cbranch_execz .LBB9_341
; %bb.330:
	v_mov_b32_e32 v26, 6
	s_mov_b32 s3, exec_lo
	v_cmpx_nle_f32_e64 0x40600000, |v22|
	s_cbranch_execz .LBB9_340
; %bb.331:
	v_mov_b32_e32 v26, 5
	;; [unrolled: 5-line block ×5, first 2 shown]
	s_mov_b32 s11, exec_lo
	v_cmpx_nle_f32_e64 0x3f400000, |v22|
; %bb.335:
	v_cmp_le_f32_e64 s12, 0x3e800000, |v22|
	s_delay_alu instid0(VALU_DEP_1)
	v_cndmask_b32_e64 v26, 0, 1, s12
; %bb.336:
	s_or_b32 exec_lo, exec_lo, s11
.LBB9_337:
	s_delay_alu instid0(SALU_CYCLE_1)
	s_or_b32 exec_lo, exec_lo, s10
.LBB9_338:
	s_delay_alu instid0(SALU_CYCLE_1)
	s_or_b32 exec_lo, exec_lo, s9
.LBB9_339:
	s_delay_alu instid0(SALU_CYCLE_1)
	s_or_b32 exec_lo, exec_lo, s6
.LBB9_340:
	s_delay_alu instid0(SALU_CYCLE_1)
	s_or_b32 exec_lo, exec_lo, s3
.LBB9_341:
	s_delay_alu instid0(SALU_CYCLE_1) | instskip(SKIP_3) | instid1(VALU_DEP_2)
	s_or_b32 exec_lo, exec_lo, s2
	v_dual_mul_f32 v67, v11, v20 :: v_dual_mov_b32 v20, 7
	v_mov_b32_e32 v66, 7
	s_mov_b32 s2, exec_lo
	v_cmpx_nle_f32_e64 0x40a00000, |v67|
	s_cbranch_execz .LBB9_353
; %bb.342:
	v_mov_b32_e32 v66, 6
	s_mov_b32 s3, exec_lo
	v_cmpx_nle_f32_e64 0x40600000, |v67|
	s_cbranch_execz .LBB9_352
; %bb.343:
	;; [unrolled: 5-line block ×5, first 2 shown]
	v_mov_b32_e32 v66, 2
	s_mov_b32 s11, exec_lo
	v_cmpx_nle_f32_e64 0x3f400000, |v67|
; %bb.347:
	v_cmp_le_f32_e64 s12, 0x3e800000, |v67|
	s_delay_alu instid0(VALU_DEP_1)
	v_cndmask_b32_e64 v66, 0, 1, s12
; %bb.348:
	s_or_b32 exec_lo, exec_lo, s11
.LBB9_349:
	s_delay_alu instid0(SALU_CYCLE_1)
	s_or_b32 exec_lo, exec_lo, s10
.LBB9_350:
	s_delay_alu instid0(SALU_CYCLE_1)
	s_or_b32 exec_lo, exec_lo, s9
.LBB9_351:
	s_delay_alu instid0(SALU_CYCLE_1)
	s_or_b32 exec_lo, exec_lo, s6
.LBB9_352:
	s_delay_alu instid0(SALU_CYCLE_1)
	s_or_b32 exec_lo, exec_lo, s3
.LBB9_353:
	s_delay_alu instid0(SALU_CYCLE_1) | instskip(SKIP_2) | instid1(VALU_DEP_1)
	s_or_b32 exec_lo, exec_lo, s2
	v_mul_f32_e32 v16, v11, v16
	s_mov_b32 s2, exec_lo
	v_cmpx_nle_f32_e64 0x40a00000, |v16|
	s_cbranch_execz .LBB9_365
; %bb.354:
	v_mov_b32_e32 v20, 6
	s_mov_b32 s3, exec_lo
	v_cmpx_nle_f32_e64 0x40600000, |v16|
	s_cbranch_execz .LBB9_364
; %bb.355:
	v_mov_b32_e32 v20, 5
	;; [unrolled: 5-line block ×5, first 2 shown]
	s_mov_b32 s11, exec_lo
	v_cmpx_nle_f32_e64 0x3f400000, |v16|
; %bb.359:
	v_cmp_le_f32_e64 s12, 0x3e800000, |v16|
	s_delay_alu instid0(VALU_DEP_1)
	v_cndmask_b32_e64 v20, 0, 1, s12
; %bb.360:
	s_or_b32 exec_lo, exec_lo, s11
.LBB9_361:
	s_delay_alu instid0(SALU_CYCLE_1)
	s_or_b32 exec_lo, exec_lo, s10
.LBB9_362:
	s_delay_alu instid0(SALU_CYCLE_1)
	s_or_b32 exec_lo, exec_lo, s9
.LBB9_363:
	s_delay_alu instid0(SALU_CYCLE_1)
	s_or_b32 exec_lo, exec_lo, s6
.LBB9_364:
	s_delay_alu instid0(SALU_CYCLE_1)
	s_or_b32 exec_lo, exec_lo, s3
.LBB9_365:
	s_delay_alu instid0(SALU_CYCLE_1) | instskip(SKIP_3) | instid1(VALU_DEP_2)
	s_or_b32 exec_lo, exec_lo, s2
	v_dual_mul_f32 v69, v11, v14 :: v_dual_mov_b32 v14, 7
	v_mov_b32_e32 v68, 7
	s_mov_b32 s2, exec_lo
	v_cmpx_nle_f32_e64 0x40a00000, |v69|
	s_cbranch_execz .LBB9_377
; %bb.366:
	v_mov_b32_e32 v68, 6
	s_mov_b32 s3, exec_lo
	v_cmpx_nle_f32_e64 0x40600000, |v69|
	s_cbranch_execz .LBB9_376
; %bb.367:
	;; [unrolled: 5-line block ×5, first 2 shown]
	v_mov_b32_e32 v68, 2
	s_mov_b32 s11, exec_lo
	v_cmpx_nle_f32_e64 0x3f400000, |v69|
; %bb.371:
	v_cmp_le_f32_e64 s12, 0x3e800000, |v69|
	s_delay_alu instid0(VALU_DEP_1)
	v_cndmask_b32_e64 v68, 0, 1, s12
; %bb.372:
	s_or_b32 exec_lo, exec_lo, s11
.LBB9_373:
	s_delay_alu instid0(SALU_CYCLE_1)
	s_or_b32 exec_lo, exec_lo, s10
.LBB9_374:
	s_delay_alu instid0(SALU_CYCLE_1)
	s_or_b32 exec_lo, exec_lo, s9
.LBB9_375:
	s_delay_alu instid0(SALU_CYCLE_1)
	s_or_b32 exec_lo, exec_lo, s6
.LBB9_376:
	s_delay_alu instid0(SALU_CYCLE_1)
	s_or_b32 exec_lo, exec_lo, s3
.LBB9_377:
	s_delay_alu instid0(SALU_CYCLE_1) | instskip(SKIP_3) | instid1(VALU_DEP_1)
	s_or_b32 exec_lo, exec_lo, s2
	s_load_b64 s[2:3], s[0:1], 0x8
	v_mul_f32_e32 v9, v11, v9
	s_mov_b32 s6, exec_lo
	v_cmpx_nle_f32_e64 0x40a00000, |v9|
	s_cbranch_execz .LBB9_389
; %bb.378:
	v_mov_b32_e32 v14, 6
	s_mov_b32 s9, exec_lo
	v_cmpx_nle_f32_e64 0x40600000, |v9|
	s_cbranch_execz .LBB9_388
; %bb.379:
	v_mov_b32_e32 v14, 5
	;; [unrolled: 5-line block ×5, first 2 shown]
	s_mov_b32 s13, exec_lo
	v_cmpx_nle_f32_e64 0x3f400000, |v9|
; %bb.383:
	v_cmp_le_f32_e64 s14, 0x3e800000, |v9|
	s_delay_alu instid0(VALU_DEP_1)
	v_cndmask_b32_e64 v14, 0, 1, s14
; %bb.384:
	s_or_b32 exec_lo, exec_lo, s13
.LBB9_385:
	s_delay_alu instid0(SALU_CYCLE_1)
	s_or_b32 exec_lo, exec_lo, s12
.LBB9_386:
	s_delay_alu instid0(SALU_CYCLE_1)
	s_or_b32 exec_lo, exec_lo, s11
.LBB9_387:
	s_delay_alu instid0(SALU_CYCLE_1)
	s_or_b32 exec_lo, exec_lo, s10
.LBB9_388:
	s_delay_alu instid0(SALU_CYCLE_1)
	s_or_b32 exec_lo, exec_lo, s9
.LBB9_389:
	s_delay_alu instid0(SALU_CYCLE_1)
	s_or_b32 exec_lo, exec_lo, s6
	v_cmp_gt_f32_e32 vcc_lo, 0, v69
	v_lshlrev_b16 v7, 4, v7
	v_lshlrev_b16 v10, 4, v10
	;; [unrolled: 1-line block ×4, first 2 shown]
	v_cndmask_b32_e64 v11, 0, 1, vcc_lo
	v_cmp_gt_f32_e32 vcc_lo, 0, v67
	s_lshr_b32 s6, s4, 31
	s_load_b64 s[0:1], s[0:1], 0x10
	s_add_i32 s4, s4, s6
	v_lshlrev_b16 v11, 3, v11
	v_cndmask_b32_e64 v67, 0, 1, vcc_lo
	v_cmp_gt_f32_e32 vcc_lo, 0, v65
	s_ashr_i32 s4, s4, 1
	s_delay_alu instid0(SALU_CYCLE_1) | instskip(NEXT) | instid1(VALU_DEP_2)
	s_ashr_i32 s6, s4, 31
	v_lshlrev_b16 v67, 3, v67
	v_cndmask_b32_e64 v65, 0, 1, vcc_lo
	v_cmp_gt_f32_e32 vcc_lo, 0, v63
	v_or_b32_e32 v11, v11, v68
	v_mul_lo_u32 v1, v1, s4
	v_or_b32_e32 v66, v67, v66
	v_lshlrev_b16 v65, 3, v65
	v_cndmask_b32_e64 v63, 0, 1, vcc_lo
	v_cmp_gt_f32_e32 vcc_lo, 0, v60
	s_delay_alu instid0(VALU_DEP_3) | instskip(NEXT) | instid1(VALU_DEP_3)
	v_or_b32_e32 v64, v65, v64
	v_lshlrev_b16 v63, 3, v63
	v_cndmask_b32_e64 v60, 0, 1, vcc_lo
	v_cmp_gt_f32_e32 vcc_lo, 0, v59
	s_delay_alu instid0(VALU_DEP_3) | instskip(NEXT) | instid1(VALU_DEP_3)
	;; [unrolled: 5-line block ×11, first 2 shown]
	v_or_b32_e32 v12, v12, v13
	v_lshlrev_b16 v25, 3, v25
	v_cndmask_b32_e64 v19, 0, 1, vcc_lo
	v_cmp_gt_f32_e32 vcc_lo, 0, v6
	s_delay_alu instid0(VALU_DEP_2) | instskip(SKIP_2) | instid1(VALU_DEP_2)
	v_lshlrev_b16 v19, 3, v19
	v_cndmask_b32_e64 v6, 0, 1, vcc_lo
	v_cmp_gt_f32_e32 vcc_lo, 0, v8
	v_lshlrev_b16 v6, 3, v6
	v_cndmask_b32_e64 v8, 0, 1, vcc_lo
	v_cmp_gt_f32_e32 vcc_lo, 0, v15
	s_delay_alu instid0(VALU_DEP_3) | instskip(NEXT) | instid1(VALU_DEP_3)
	v_or_b32_e32 v5, v6, v5
	v_lshlrev_b16 v8, 7, v8
	v_cndmask_b32_e64 v13, 0, 1, vcc_lo
	v_cmp_gt_f32_e32 vcc_lo, 0, v21
	s_delay_alu instid0(VALU_DEP_3) | instskip(NEXT) | instid1(VALU_DEP_3)
	v_or_b32_e32 v6, v8, v7
	v_lshlrev_b16 v13, 7, v13
	v_cndmask_b32_e64 v15, 0, 1, vcc_lo
	v_lshlrev_b16 v8, 4, v18
	v_cmp_gt_f32_e32 vcc_lo, 0, v27
	v_or_b32_e32 v5, v6, v5
	v_or_b32_e32 v7, v13, v10
	v_lshlrev_b16 v10, 7, v15
	v_or_b32_e32 v15, v19, v17
	v_lshlrev_b16 v18, 4, v29
	v_lshlrev_b16 v19, 4, v35
	v_or_b32_e32 v6, v7, v12
	v_or_b32_e32 v7, v10, v8
	v_cndmask_b32_e64 v10, 0, 1, vcc_lo
	v_cmp_gt_f32_e32 vcc_lo, 0, v33
	v_lshlrev_b16 v8, 4, v23
	v_or_b32_e32 v13, v25, v24
	v_or_b32_e32 v7, v7, v15
	v_lshlrev_b16 v10, 7, v10
	v_cndmask_b32_e64 v12, 0, 1, vcc_lo
	v_cmp_gt_f32_e32 vcc_lo, 0, v39
	v_lshlrev_b16 v23, 4, v49
	v_lshlrev_b16 v24, 4, v42
	v_or_b32_e32 v8, v10, v8
	v_lshlrev_b16 v12, 7, v12
	v_cndmask_b32_e64 v17, 0, 1, vcc_lo
	v_cmp_gt_f32_e32 vcc_lo, 0, v43
	v_lshlrev_b16 v25, 4, v46
	v_or_b32_e32 v13, v8, v13
	v_or_b32_e32 v10, v12, v18
	v_lshlrev_b16 v17, 7, v17
	v_cndmask_b32_e64 v21, 0, 1, vcc_lo
	v_cmp_gt_f32_e32 vcc_lo, 0, v48
	v_lshlrev_b16 v6, 8, v6
	v_or_b32_e32 v10, v10, v30
	v_or_b32_e32 v12, v17, v19
	v_lshlrev_b16 v17, 4, v41
	v_lshlrev_b16 v18, 7, v21
	v_cndmask_b32_e64 v15, 0, 1, vcc_lo
	v_cmp_gt_f32_e32 vcc_lo, 0, v52
	v_or_b32_e32 v12, v12, v36
	v_lshlrev_b16 v13, 8, v13
	v_or_b32_e32 v8, v18, v17
	v_lshlrev_b16 v17, 4, v53
	v_cndmask_b32_e64 v18, 0, 1, vcc_lo
	v_cmp_gt_f32_e32 vcc_lo, 0, v47
	v_lshlrev_b16 v15, 7, v15
	v_or_b32_e32 v5, v5, v6
	v_or_b32_e32 v6, v7, v13
	v_lshlrev_b16 v18, 7, v18
	v_cndmask_b32_e64 v19, 0, 1, vcc_lo
	v_cmp_gt_f32_e32 vcc_lo, 0, v40
	v_mul_lo_u32 v13, v0, s6
	v_and_b32_e32 v5, 0xffff, v5
	v_or_b32_e32 v17, v18, v17
	v_lshlrev_b16 v19, 7, v19
	v_cndmask_b32_e64 v21, 0, 1, vcc_lo
	v_cmp_gt_f32_e32 vcc_lo, 0, v22
	s_delay_alu instid0(VALU_DEP_3) | instskip(NEXT) | instid1(VALU_DEP_3)
	v_or_b32_e32 v18, v19, v23
	v_lshlrev_b16 v21, 7, v21
	v_cndmask_b32_e64 v22, 0, 1, vcc_lo
	v_cmp_gt_f32_e32 vcc_lo, 0, v28
	v_lshlrev_b16 v23, 4, v32
	s_delay_alu instid0(VALU_DEP_4)
	v_or_b32_e32 v19, v21, v24
	v_or_b32_e32 v21, v8, v44
	v_cndmask_b32_e64 v24, 0, 1, vcc_lo
	v_cmp_gt_f32_e32 vcc_lo, 0, v9
	v_or_b32_e32 v8, v15, v25
	v_lshlrev_b16 v25, 4, v26
	v_lshlrev_b16 v22, 7, v22
	;; [unrolled: 1-line block ×3, first 2 shown]
	v_cndmask_b32_e64 v9, 0, 1, vcc_lo
	v_cmp_gt_f32_e32 vcc_lo, 0, v16
	v_or_b32_e32 v15, v17, v54
	v_or_b32_e32 v22, v22, v25
	;; [unrolled: 1-line block ×3, first 2 shown]
	v_lshlrev_b16 v9, 7, v9
	v_cndmask_b32_e64 v16, 0, 1, vcc_lo
	v_cmp_gt_f32_e32 vcc_lo, 0, v34
	v_or_b32_e32 v18, v19, v58
	v_lshlrev_b16 v19, 4, v37
	v_or_b32_e32 v9, v9, v14
	v_lshlrev_b16 v16, 7, v16
	v_cndmask_b32_e64 v14, 0, 1, vcc_lo
	v_or_b32_e32 v23, v24, v23
	s_delay_alu instid0(VALU_DEP_4) | instskip(NEXT) | instid1(VALU_DEP_4)
	v_or_b32_e32 v9, v9, v11
	v_or_b32_e32 v16, v16, v20
	;; [unrolled: 1-line block ×3, first 2 shown]
	v_lshlrev_b16 v11, 7, v14
	v_or_b32_e32 v14, v23, v62
	v_lshlrev_b16 v9, 8, v9
	v_or_b32_e32 v16, v16, v66
	;; [unrolled: 2-line block ×3, first 2 shown]
	s_delay_alu instid0(VALU_DEP_3) | instskip(NEXT) | instid1(VALU_DEP_3)
	v_or_b32_e32 v9, v16, v9
	v_or_b32_e32 v14, v14, v20
	s_delay_alu instid0(VALU_DEP_3) | instskip(SKIP_1) | instid1(VALU_DEP_4)
	v_or_b32_e32 v11, v11, v60
	v_lshlrev_b16 v16, 8, v17
	v_lshlrev_b32_e32 v9, 16, v9
	s_delay_alu instid0(VALU_DEP_4) | instskip(NEXT) | instid1(VALU_DEP_4)
	v_and_b32_e32 v14, 0xffff, v14
	v_lshlrev_b16 v11, 8, v11
	s_delay_alu instid0(VALU_DEP_4) | instskip(SKIP_1) | instid1(VALU_DEP_4)
	v_or_b32_e32 v15, v15, v16
	v_or_b32_e32 v16, v8, v50
	;; [unrolled: 1-line block ×3, first 2 shown]
	s_delay_alu instid0(VALU_DEP_4) | instskip(SKIP_1) | instid1(VALU_DEP_4)
	v_or_b32_e32 v9, v18, v11
	v_lshlrev_b16 v11, 8, v12
	v_lshlrev_b16 v12, 8, v16
	v_and_b32_e32 v14, 0xffff, v15
	v_lshlrev_b32_e32 v16, 16, v6
	v_lshlrev_b32_e32 v15, 16, v9
	v_or_b32_e32 v11, v10, v11
	s_waitcnt lgkmcnt(0)
	v_mad_u64_u32 v[9:10], null, v0, s4, s[2:3]
	v_or_b32_e32 v12, v21, v12
	v_or_b32_e32 v7, v14, v15
	v_lshlrev_b32_e32 v14, 4, v4
	v_and_b32_e32 v11, 0xffff, v11
	v_or_b32_e32 v5, v5, v16
	v_lshlrev_b32_e32 v12, 16, v12
	v_add3_u32 v1, v1, v10, v13
	v_add_co_u32 v9, vcc_lo, v9, v14
	s_and_b32 s2, s7, 1
	s_delay_alu instid0(VALU_DEP_3) | instskip(NEXT) | instid1(VALU_DEP_3)
	v_or_b32_e32 v6, v11, v12
	v_add_co_ci_u32_e32 v10, vcc_lo, 0, v1, vcc_lo
	s_cmp_eq_u32 s2, 0
	s_mov_b32 s2, 0
	global_store_b128 v[9:10], v[5:8], off
	s_cbranch_scc0 .LBB9_391
; %bb.390:
	v_ashrrev_i32_e32 v1, 31, v0
	s_delay_alu instid0(VALU_DEP_1) | instskip(NEXT) | instid1(VALU_DEP_1)
	v_lshrrev_b32_e32 v1, 27, v1
	v_add_nc_u32_e32 v1, v0, v1
	s_delay_alu instid0(VALU_DEP_1) | instskip(NEXT) | instid1(VALU_DEP_1)
	v_and_b32_e32 v5, 0xffe0, v1
	v_sub_nc_u32_e32 v5, v0, v5
	s_delay_alu instid0(VALU_DEP_1) | instskip(NEXT) | instid1(VALU_DEP_1)
	v_bfe_i32 v6, v5, 0, 8
	v_lshrrev_b16 v6, 11, v6
	s_delay_alu instid0(VALU_DEP_1) | instskip(NEXT) | instid1(VALU_DEP_1)
	v_and_b32_e32 v6, 15, v6
	v_add_nc_u16 v5, v5, v6
	s_delay_alu instid0(VALU_DEP_1) | instskip(NEXT) | instid1(VALU_DEP_1)
	v_bfe_i32 v5, v5, 0, 8
	v_ashrrev_i16 v6, 4, v5
	v_ashrrev_i32_e32 v5, 5, v1
	s_delay_alu instid0(VALU_DEP_2)
	v_bfe_i32 v1, v6, 0, 16
	s_and_not1_b32 vcc_lo, exec_lo, s2
	s_cbranch_vccz .LBB9_392
	s_branch .LBB9_393
.LBB9_391:
                                        ; implicit-def: $vgpr5
                                        ; implicit-def: $vgpr1
.LBB9_392:
	s_lshr_b32 s2, s8, 31
	v_sub_nc_u32_e32 v6, 0, v0
	s_add_i32 s2, s8, s2
	s_delay_alu instid0(SALU_CYCLE_1) | instskip(NEXT) | instid1(VALU_DEP_1)
	s_ashr_i32 s2, s2, 1
	v_max_i32_e32 v6, v0, v6
	s_abs_i32 s3, s2
	s_delay_alu instid0(SALU_CYCLE_1) | instskip(SKIP_1) | instid1(VALU_DEP_1)
	v_cvt_f32_u32_e32 v1, s3
	s_sub_i32 s4, 0, s3
	v_rcp_iflag_f32_e32 v1, v1
	s_waitcnt_depctr 0xfff
	v_mul_f32_e32 v1, 0x4f7ffffe, v1
	s_delay_alu instid0(VALU_DEP_1) | instskip(NEXT) | instid1(VALU_DEP_1)
	v_cvt_u32_f32_e32 v1, v1
	v_mul_lo_u32 v5, s4, v1
	s_delay_alu instid0(VALU_DEP_1) | instskip(NEXT) | instid1(VALU_DEP_1)
	v_mul_hi_u32 v5, v1, v5
	v_add_nc_u32_e32 v1, v1, v5
	s_delay_alu instid0(VALU_DEP_1) | instskip(NEXT) | instid1(VALU_DEP_1)
	v_mul_hi_u32 v1, v6, v1
	v_mul_lo_u32 v5, v1, s3
	s_delay_alu instid0(VALU_DEP_1) | instskip(NEXT) | instid1(VALU_DEP_1)
	v_sub_nc_u32_e32 v5, v6, v5
	v_subrev_nc_u32_e32 v7, s3, v5
	v_cmp_le_u32_e32 vcc_lo, s3, v5
	s_delay_alu instid0(VALU_DEP_2) | instskip(NEXT) | instid1(VALU_DEP_1)
	v_dual_cndmask_b32 v5, v5, v7 :: v_dual_add_nc_u32 v6, 1, v1
	v_cndmask_b32_e32 v1, v1, v6, vcc_lo
	v_xor_b32_e32 v6, s2, v0
	s_delay_alu instid0(VALU_DEP_3) | instskip(NEXT) | instid1(VALU_DEP_3)
	v_cmp_le_u32_e32 vcc_lo, s3, v5
	v_add_nc_u32_e32 v7, 1, v1
	s_delay_alu instid0(VALU_DEP_3) | instskip(NEXT) | instid1(VALU_DEP_2)
	v_ashrrev_i32_e32 v6, 31, v6
	v_cndmask_b32_e32 v1, v1, v7, vcc_lo
	s_delay_alu instid0(VALU_DEP_1) | instskip(NEXT) | instid1(VALU_DEP_1)
	v_xor_b32_e32 v1, v1, v6
	v_sub_nc_u32_e32 v1, v1, v6
	s_delay_alu instid0(VALU_DEP_1) | instskip(NEXT) | instid1(VALU_DEP_1)
	v_mul_lo_u32 v5, v1, s2
	v_sub_nc_u32_e32 v0, v0, v5
	s_delay_alu instid0(VALU_DEP_1) | instskip(NEXT) | instid1(VALU_DEP_1)
	v_ashrrev_i32_e32 v5, 31, v0
	v_lshrrev_b32_e32 v5, 28, v5
	s_delay_alu instid0(VALU_DEP_1) | instskip(NEXT) | instid1(VALU_DEP_1)
	v_add_nc_u32_e32 v5, v0, v5
	v_ashrrev_i32_e32 v5, 4, v5
.LBB9_393:
	v_ashrrev_i32_e32 v6, 31, v0
	v_lshlrev_b32_e32 v7, 6, v4
	v_lshrrev_b32_e32 v4, 1, v4
	v_and_b32_e32 v2, 0x7fffff00, v2
	s_lshl_b32 s2, s5, 5
	v_lshrrev_b32_e32 v6, 28, v6
	v_and_b32_e32 v7, 0xc0, v7
	v_and_b32_e32 v4, 2, v4
	s_and_b32 s2, s2, 0x7fffff00
	s_delay_alu instid0(VALU_DEP_3) | instskip(NEXT) | instid1(VALU_DEP_2)
	v_add_nc_u32_e32 v6, v0, v6
	v_or3_b32 v2, v7, v2, v4
	v_mul_lo_u32 v4, v5, s2
	s_delay_alu instid0(VALU_DEP_3) | instskip(NEXT) | instid1(VALU_DEP_3)
	v_and_b32_e32 v6, 0x3ffffff0, v6
	v_add_nc_u32_e32 v1, v2, v1
	v_lshrrev_b32_e32 v2, 23, v3
	s_delay_alu instid0(VALU_DEP_3) | instskip(NEXT) | instid1(VALU_DEP_1)
	v_sub_nc_u32_e32 v0, v0, v6
	v_lshlrev_b32_e32 v0, 2, v0
	s_delay_alu instid0(VALU_DEP_1) | instskip(NEXT) | instid1(VALU_DEP_1)
	v_add3_u32 v0, v1, v0, v4
	v_ashrrev_i32_e32 v1, 31, v0
	v_add_co_u32 v0, vcc_lo, s0, v0
	s_delay_alu instid0(VALU_DEP_2)
	v_add_co_ci_u32_e32 v1, vcc_lo, s1, v1, vcc_lo
	global_store_b8 v[0:1], v2, off
.LBB9_394:
	s_nop 0
	s_sendmsg sendmsg(MSG_DEALLOC_VGPRS)
	s_endpgm
	.section	.rodata,"a",@progbits
	.p2align	6, 0x0
	.amdhsa_kernel _ZN5aiter18quant_mxfp4_kernelI6__halfLNS_16MxScaleRoundModeE1ELb0ELb1ELb0EEEvPKT_PhPfliiib
		.amdhsa_group_segment_fixed_size 0
		.amdhsa_private_segment_fixed_size 0
		.amdhsa_kernarg_size 304
		.amdhsa_user_sgpr_count 15
		.amdhsa_user_sgpr_dispatch_ptr 0
		.amdhsa_user_sgpr_queue_ptr 0
		.amdhsa_user_sgpr_kernarg_segment_ptr 1
		.amdhsa_user_sgpr_dispatch_id 0
		.amdhsa_user_sgpr_private_segment_size 0
		.amdhsa_wavefront_size32 1
		.amdhsa_uses_dynamic_stack 0
		.amdhsa_enable_private_segment 0
		.amdhsa_system_sgpr_workgroup_id_x 1
		.amdhsa_system_sgpr_workgroup_id_y 0
		.amdhsa_system_sgpr_workgroup_id_z 0
		.amdhsa_system_sgpr_workgroup_info 0
		.amdhsa_system_vgpr_workitem_id 0
		.amdhsa_next_free_vgpr 70
		.amdhsa_next_free_sgpr 16
		.amdhsa_reserve_vcc 1
		.amdhsa_float_round_mode_32 0
		.amdhsa_float_round_mode_16_64 0
		.amdhsa_float_denorm_mode_32 3
		.amdhsa_float_denorm_mode_16_64 3
		.amdhsa_dx10_clamp 1
		.amdhsa_ieee_mode 1
		.amdhsa_fp16_overflow 0
		.amdhsa_workgroup_processor_mode 1
		.amdhsa_memory_ordered 1
		.amdhsa_forward_progress 0
		.amdhsa_shared_vgpr_count 0
		.amdhsa_exception_fp_ieee_invalid_op 0
		.amdhsa_exception_fp_denorm_src 0
		.amdhsa_exception_fp_ieee_div_zero 0
		.amdhsa_exception_fp_ieee_overflow 0
		.amdhsa_exception_fp_ieee_underflow 0
		.amdhsa_exception_fp_ieee_inexact 0
		.amdhsa_exception_int_div_zero 0
	.end_amdhsa_kernel
	.section	.text._ZN5aiter18quant_mxfp4_kernelI6__halfLNS_16MxScaleRoundModeE1ELb0ELb1ELb0EEEvPKT_PhPfliiib,"axG",@progbits,_ZN5aiter18quant_mxfp4_kernelI6__halfLNS_16MxScaleRoundModeE1ELb0ELb1ELb0EEEvPKT_PhPfliiib,comdat
.Lfunc_end9:
	.size	_ZN5aiter18quant_mxfp4_kernelI6__halfLNS_16MxScaleRoundModeE1ELb0ELb1ELb0EEEvPKT_PhPfliiib, .Lfunc_end9-_ZN5aiter18quant_mxfp4_kernelI6__halfLNS_16MxScaleRoundModeE1ELb0ELb1ELb0EEEvPKT_PhPfliiib
                                        ; -- End function
	.section	.AMDGPU.csdata,"",@progbits
; Kernel info:
; codeLenInByte = 10392
; NumSgprs: 18
; NumVgprs: 70
; ScratchSize: 0
; MemoryBound: 0
; FloatMode: 240
; IeeeMode: 1
; LDSByteSize: 0 bytes/workgroup (compile time only)
; SGPRBlocks: 2
; VGPRBlocks: 8
; NumSGPRsForWavesPerEU: 18
; NumVGPRsForWavesPerEU: 70
; Occupancy: 16
; WaveLimiterHint : 0
; COMPUTE_PGM_RSRC2:SCRATCH_EN: 0
; COMPUTE_PGM_RSRC2:USER_SGPR: 15
; COMPUTE_PGM_RSRC2:TRAP_HANDLER: 0
; COMPUTE_PGM_RSRC2:TGID_X_EN: 1
; COMPUTE_PGM_RSRC2:TGID_Y_EN: 0
; COMPUTE_PGM_RSRC2:TGID_Z_EN: 0
; COMPUTE_PGM_RSRC2:TIDIG_COMP_CNT: 0
	.section	.text._ZN5aiter18quant_mxfp4_kernelI6__halfLNS_16MxScaleRoundModeE1ELb0ELb0ELb0EEEvPKT_PhPfliiib,"axG",@progbits,_ZN5aiter18quant_mxfp4_kernelI6__halfLNS_16MxScaleRoundModeE1ELb0ELb0ELb0EEEvPKT_PhPfliiib,comdat
	.protected	_ZN5aiter18quant_mxfp4_kernelI6__halfLNS_16MxScaleRoundModeE1ELb0ELb0ELb0EEEvPKT_PhPfliiib ; -- Begin function _ZN5aiter18quant_mxfp4_kernelI6__halfLNS_16MxScaleRoundModeE1ELb0ELb0ELb0EEEvPKT_PhPfliiib
	.globl	_ZN5aiter18quant_mxfp4_kernelI6__halfLNS_16MxScaleRoundModeE1ELb0ELb0ELb0EEEvPKT_PhPfliiib
	.p2align	8
	.type	_ZN5aiter18quant_mxfp4_kernelI6__halfLNS_16MxScaleRoundModeE1ELb0ELb0ELb0EEEvPKT_PhPfliiib,@function
_ZN5aiter18quant_mxfp4_kernelI6__halfLNS_16MxScaleRoundModeE1ELb0ELb0ELb0EEEvPKT_PhPfliiib: ; @_ZN5aiter18quant_mxfp4_kernelI6__halfLNS_16MxScaleRoundModeE1ELb0ELb0ELb0EEEvPKT_PhPfliiib
; %bb.0:
	s_clause 0x1
	s_load_b32 s2, s[0:1], 0x3c
	s_load_b128 s[4:7], s[0:1], 0x20
	v_mov_b32_e32 v1, 0
	s_mov_b32 s3, exec_lo
	s_delay_alu instid0(VALU_DEP_1) | instskip(SKIP_2) | instid1(SALU_CYCLE_1)
	v_mov_b32_e32 v4, v1
	s_waitcnt lgkmcnt(0)
	s_and_b32 s2, s2, 0xffff
	v_mad_u64_u32 v[2:3], null, s2, s15, v[0:1]
	s_ashr_i32 s2, s6, 31
                                        ; implicit-def: $vgpr0_vgpr1
	s_delay_alu instid0(VALU_DEP_1) | instid1(SALU_CYCLE_1)
	v_or_b32_e32 v5, s2, v3
	s_delay_alu instid0(VALU_DEP_1)
	v_cmpx_ne_u64_e32 0, v[4:5]
	s_xor_b32 s3, exec_lo, s3
	s_cbranch_execz .LBB10_2
; %bb.1:
	s_add_u32 s10, s6, s2
	s_mov_b32 s8, s2
	s_mov_b32 s9, s2
	s_addc_u32 s11, s2, s2
	s_delay_alu instid0(SALU_CYCLE_1) | instskip(NEXT) | instid1(SALU_CYCLE_1)
	s_xor_b64 s[10:11], s[10:11], s[8:9]
	v_cvt_f32_u32_e32 v0, s10
	v_cvt_f32_u32_e32 v1, s11
	s_sub_u32 s2, 0, s10
	s_subb_u32 s7, 0, s11
	s_delay_alu instid0(VALU_DEP_1) | instskip(NEXT) | instid1(VALU_DEP_1)
	v_fmamk_f32 v0, v1, 0x4f800000, v0
	v_rcp_f32_e32 v0, v0
	s_waitcnt_depctr 0xfff
	v_mul_f32_e32 v0, 0x5f7ffffc, v0
	s_delay_alu instid0(VALU_DEP_1) | instskip(NEXT) | instid1(VALU_DEP_1)
	v_mul_f32_e32 v1, 0x2f800000, v0
	v_trunc_f32_e32 v1, v1
	s_delay_alu instid0(VALU_DEP_1) | instskip(SKIP_1) | instid1(VALU_DEP_2)
	v_fmamk_f32 v0, v1, 0xcf800000, v0
	v_cvt_u32_f32_e32 v1, v1
	v_cvt_u32_f32_e32 v0, v0
	s_delay_alu instid0(VALU_DEP_2) | instskip(NEXT) | instid1(VALU_DEP_2)
	v_mul_lo_u32 v4, s2, v1
	v_mul_hi_u32 v5, s2, v0
	v_mul_lo_u32 v6, s7, v0
	s_delay_alu instid0(VALU_DEP_2) | instskip(SKIP_1) | instid1(VALU_DEP_2)
	v_add_nc_u32_e32 v4, v5, v4
	v_mul_lo_u32 v5, s2, v0
	v_add_nc_u32_e32 v4, v4, v6
	s_delay_alu instid0(VALU_DEP_2) | instskip(NEXT) | instid1(VALU_DEP_2)
	v_mul_hi_u32 v6, v0, v5
	v_mul_lo_u32 v7, v0, v4
	v_mul_hi_u32 v8, v0, v4
	v_mul_hi_u32 v9, v1, v5
	v_mul_lo_u32 v5, v1, v5
	v_mul_hi_u32 v10, v1, v4
	v_mul_lo_u32 v4, v1, v4
	v_add_co_u32 v6, vcc_lo, v6, v7
	v_add_co_ci_u32_e32 v7, vcc_lo, 0, v8, vcc_lo
	s_delay_alu instid0(VALU_DEP_2) | instskip(NEXT) | instid1(VALU_DEP_2)
	v_add_co_u32 v5, vcc_lo, v6, v5
	v_add_co_ci_u32_e32 v5, vcc_lo, v7, v9, vcc_lo
	v_add_co_ci_u32_e32 v6, vcc_lo, 0, v10, vcc_lo
	v_ashrrev_i32_e32 v9, 31, v3
	s_delay_alu instid0(VALU_DEP_3) | instskip(NEXT) | instid1(VALU_DEP_3)
	v_add_co_u32 v4, vcc_lo, v5, v4
	v_add_co_ci_u32_e32 v5, vcc_lo, 0, v6, vcc_lo
	s_delay_alu instid0(VALU_DEP_2) | instskip(NEXT) | instid1(VALU_DEP_2)
	v_add_co_u32 v0, vcc_lo, v0, v4
	v_add_co_ci_u32_e32 v1, vcc_lo, v1, v5, vcc_lo
	s_delay_alu instid0(VALU_DEP_2) | instskip(SKIP_1) | instid1(VALU_DEP_3)
	v_mul_hi_u32 v4, s2, v0
	v_mul_lo_u32 v6, s7, v0
	v_mul_lo_u32 v5, s2, v1
	s_delay_alu instid0(VALU_DEP_1) | instskip(SKIP_1) | instid1(VALU_DEP_2)
	v_add_nc_u32_e32 v4, v4, v5
	v_mul_lo_u32 v5, s2, v0
	v_add_nc_u32_e32 v4, v4, v6
	s_delay_alu instid0(VALU_DEP_2) | instskip(NEXT) | instid1(VALU_DEP_2)
	v_mul_hi_u32 v6, v0, v5
	v_mul_lo_u32 v7, v0, v4
	v_mul_hi_u32 v8, v0, v4
	v_mul_hi_u32 v10, v1, v5
	v_mul_lo_u32 v5, v1, v5
	v_mul_hi_u32 v11, v1, v4
	v_mul_lo_u32 v4, v1, v4
	v_add_co_u32 v6, vcc_lo, v6, v7
	v_add_co_ci_u32_e32 v7, vcc_lo, 0, v8, vcc_lo
	s_delay_alu instid0(VALU_DEP_2) | instskip(NEXT) | instid1(VALU_DEP_2)
	v_add_co_u32 v5, vcc_lo, v6, v5
	v_add_co_ci_u32_e32 v5, vcc_lo, v7, v10, vcc_lo
	v_add_co_ci_u32_e32 v6, vcc_lo, 0, v11, vcc_lo
	v_add_co_u32 v7, vcc_lo, v2, v9
	v_add_co_ci_u32_e32 v3, vcc_lo, v3, v9, vcc_lo
	s_delay_alu instid0(VALU_DEP_4) | instskip(NEXT) | instid1(VALU_DEP_4)
	v_add_co_u32 v4, vcc_lo, v5, v4
	v_add_co_ci_u32_e32 v5, vcc_lo, 0, v6, vcc_lo
	s_delay_alu instid0(VALU_DEP_4) | instskip(NEXT) | instid1(VALU_DEP_3)
	v_xor_b32_e32 v7, v7, v9
	v_add_co_u32 v6, vcc_lo, v0, v4
	s_delay_alu instid0(VALU_DEP_3) | instskip(SKIP_1) | instid1(VALU_DEP_3)
	v_add_co_ci_u32_e32 v8, vcc_lo, v1, v5, vcc_lo
	v_xor_b32_e32 v10, v3, v9
	v_mul_hi_u32 v11, v7, v6
	s_delay_alu instid0(VALU_DEP_3) | instskip(NEXT) | instid1(VALU_DEP_3)
	v_mad_u64_u32 v[0:1], null, v7, v8, 0
	v_mad_u64_u32 v[3:4], null, v10, v6, 0
	;; [unrolled: 1-line block ×3, first 2 shown]
	s_delay_alu instid0(VALU_DEP_3) | instskip(NEXT) | instid1(VALU_DEP_4)
	v_add_co_u32 v0, vcc_lo, v11, v0
	v_add_co_ci_u32_e32 v1, vcc_lo, 0, v1, vcc_lo
	s_delay_alu instid0(VALU_DEP_2) | instskip(NEXT) | instid1(VALU_DEP_2)
	v_add_co_u32 v0, vcc_lo, v0, v3
	v_add_co_ci_u32_e32 v0, vcc_lo, v1, v4, vcc_lo
	v_add_co_ci_u32_e32 v1, vcc_lo, 0, v6, vcc_lo
	s_delay_alu instid0(VALU_DEP_2) | instskip(NEXT) | instid1(VALU_DEP_2)
	v_add_co_u32 v3, vcc_lo, v0, v5
	v_add_co_ci_u32_e32 v4, vcc_lo, 0, v1, vcc_lo
	s_delay_alu instid0(VALU_DEP_2) | instskip(SKIP_1) | instid1(VALU_DEP_3)
	v_mul_lo_u32 v5, s11, v3
	v_mad_u64_u32 v[0:1], null, s10, v3, 0
	v_mul_lo_u32 v6, s10, v4
	s_delay_alu instid0(VALU_DEP_2) | instskip(NEXT) | instid1(VALU_DEP_2)
	v_sub_co_u32 v0, vcc_lo, v7, v0
	v_add3_u32 v1, v1, v6, v5
	s_delay_alu instid0(VALU_DEP_1) | instskip(NEXT) | instid1(VALU_DEP_1)
	v_sub_nc_u32_e32 v5, v10, v1
	v_subrev_co_ci_u32_e64 v5, s2, s11, v5, vcc_lo
	v_add_co_u32 v6, s2, v3, 2
	s_delay_alu instid0(VALU_DEP_1) | instskip(SKIP_3) | instid1(VALU_DEP_3)
	v_add_co_ci_u32_e64 v7, s2, 0, v4, s2
	v_sub_co_u32 v8, s2, v0, s10
	v_sub_co_ci_u32_e32 v1, vcc_lo, v10, v1, vcc_lo
	v_subrev_co_ci_u32_e64 v5, s2, 0, v5, s2
	v_cmp_le_u32_e32 vcc_lo, s10, v8
	s_delay_alu instid0(VALU_DEP_3) | instskip(SKIP_1) | instid1(VALU_DEP_4)
	v_cmp_eq_u32_e64 s2, s11, v1
	v_cndmask_b32_e64 v8, 0, -1, vcc_lo
	v_cmp_le_u32_e32 vcc_lo, s11, v5
	v_cndmask_b32_e64 v10, 0, -1, vcc_lo
	v_cmp_le_u32_e32 vcc_lo, s10, v0
	;; [unrolled: 2-line block ×3, first 2 shown]
	v_cndmask_b32_e64 v11, 0, -1, vcc_lo
	v_cmp_eq_u32_e32 vcc_lo, s11, v5
	s_delay_alu instid0(VALU_DEP_2) | instskip(SKIP_3) | instid1(VALU_DEP_3)
	v_cndmask_b32_e64 v0, v11, v0, s2
	v_cndmask_b32_e32 v5, v10, v8, vcc_lo
	v_add_co_u32 v8, vcc_lo, v3, 1
	v_add_co_ci_u32_e32 v10, vcc_lo, 0, v4, vcc_lo
	v_cmp_ne_u32_e32 vcc_lo, 0, v5
	s_delay_alu instid0(VALU_DEP_2) | instskip(NEXT) | instid1(VALU_DEP_4)
	v_cndmask_b32_e32 v1, v10, v7, vcc_lo
	v_cndmask_b32_e32 v5, v8, v6, vcc_lo
	v_cmp_ne_u32_e32 vcc_lo, 0, v0
	v_xor_b32_e32 v0, s8, v9
	s_delay_alu instid0(VALU_DEP_3) | instskip(SKIP_2) | instid1(VALU_DEP_3)
	v_cndmask_b32_e32 v3, v3, v5, vcc_lo
	v_cndmask_b32_e32 v1, v4, v1, vcc_lo
	v_xor_b32_e32 v4, s9, v9
	v_xor_b32_e32 v3, v3, v0
	s_delay_alu instid0(VALU_DEP_2) | instskip(NEXT) | instid1(VALU_DEP_2)
	v_xor_b32_e32 v1, v1, v4
	v_sub_co_u32 v0, vcc_lo, v3, v0
	s_delay_alu instid0(VALU_DEP_2)
	v_sub_co_ci_u32_e32 v1, vcc_lo, v1, v4, vcc_lo
.LBB10_2:
	s_and_not1_saveexec_b32 s2, s3
	s_cbranch_execz .LBB10_4
; %bb.3:
	v_cvt_f32_u32_e32 v0, s6
	s_sub_i32 s3, 0, s6
	s_delay_alu instid0(VALU_DEP_1) | instskip(SKIP_2) | instid1(VALU_DEP_1)
	v_rcp_iflag_f32_e32 v0, v0
	s_waitcnt_depctr 0xfff
	v_mul_f32_e32 v0, 0x4f7ffffe, v0
	v_cvt_u32_f32_e32 v0, v0
	s_delay_alu instid0(VALU_DEP_1) | instskip(NEXT) | instid1(VALU_DEP_1)
	v_mul_lo_u32 v1, s3, v0
	v_mul_hi_u32 v1, v0, v1
	s_delay_alu instid0(VALU_DEP_1) | instskip(NEXT) | instid1(VALU_DEP_1)
	v_add_nc_u32_e32 v0, v0, v1
	v_mul_hi_u32 v0, v2, v0
	s_delay_alu instid0(VALU_DEP_1) | instskip(SKIP_1) | instid1(VALU_DEP_2)
	v_mul_lo_u32 v1, v0, s6
	v_add_nc_u32_e32 v3, 1, v0
	v_sub_nc_u32_e32 v1, v2, v1
	s_delay_alu instid0(VALU_DEP_1) | instskip(SKIP_1) | instid1(VALU_DEP_2)
	v_subrev_nc_u32_e32 v4, s6, v1
	v_cmp_le_u32_e32 vcc_lo, s6, v1
	v_dual_cndmask_b32 v1, v1, v4 :: v_dual_cndmask_b32 v0, v0, v3
	s_delay_alu instid0(VALU_DEP_1) | instskip(NEXT) | instid1(VALU_DEP_2)
	v_cmp_le_u32_e32 vcc_lo, s6, v1
	v_add_nc_u32_e32 v3, 1, v0
	s_delay_alu instid0(VALU_DEP_1)
	v_dual_mov_b32 v1, 0 :: v_dual_cndmask_b32 v0, v0, v3
.LBB10_4:
	s_or_b32 exec_lo, exec_lo, s2
	s_load_b64 s[2:3], s[0:1], 0x18
	s_delay_alu instid0(VALU_DEP_1) | instskip(NEXT) | instid1(VALU_DEP_1)
	v_mad_u64_u32 v[3:4], null, v0, s6, 0
	v_sub_co_u32 v2, null, v2, v3
	s_waitcnt lgkmcnt(0)
	v_cmp_gt_i64_e32 vcc_lo, s[2:3], v[0:1]
	s_delay_alu instid0(VALU_DEP_2) | instskip(NEXT) | instid1(VALU_DEP_1)
	v_cmp_gt_i32_e64 s2, s5, v2
	s_and_b32 s2, vcc_lo, s2
	s_delay_alu instid0(SALU_CYCLE_1)
	s_and_saveexec_b32 s3, s2
	s_cbranch_execz .LBB10_390
; %bb.5:
	s_ashr_i32 s6, s4, 31
	s_load_b64 s[2:3], s[0:1], 0x0
	v_mul_lo_u32 v5, v1, s4
	v_mad_u64_u32 v[3:4], null, v0, s4, 0
	v_mul_lo_u32 v6, v0, s6
	s_delay_alu instid0(VALU_DEP_1) | instskip(SKIP_1) | instid1(VALU_DEP_2)
	v_add3_u32 v4, v4, v6, v5
	v_dual_mov_b32 v6, 0 :: v_dual_lshlrev_b32 v5, 5, v2
	v_lshlrev_b64 v[3:4], 1, v[3:4]
	s_delay_alu instid0(VALU_DEP_2) | instskip(SKIP_1) | instid1(VALU_DEP_2)
	v_lshlrev_b64 v[5:6], 1, v[5:6]
	s_waitcnt lgkmcnt(0)
	v_add_co_u32 v3, vcc_lo, s2, v3
	s_delay_alu instid0(VALU_DEP_3) | instskip(SKIP_1) | instid1(VALU_DEP_2)
	v_add_co_ci_u32_e32 v4, vcc_lo, s3, v4, vcc_lo
	s_mov_b32 s2, exec_lo
	v_add_co_u32 v7, vcc_lo, v3, v5
	s_delay_alu instid0(VALU_DEP_2)
	v_add_co_ci_u32_e32 v8, vcc_lo, v4, v6, vcc_lo
	s_clause 0x3
	global_load_b128 v[3:6], v[7:8], off
	global_load_b128 v[10:13], v[7:8], off offset:16
	global_load_b128 v[52:55], v[7:8], off offset:32
	global_load_b128 v[56:59], v[7:8], off offset:48
	s_waitcnt vmcnt(3)
	v_lshrrev_b32_e32 v7, 16, v3
	v_cvt_f32_f16_e32 v17, v3
	v_lshrrev_b32_e32 v3, 16, v4
	v_cvt_f32_f16_e32 v9, v4
	;; [unrolled: 2-line block ×3, first 2 shown]
	v_cvt_f32_f16_e32 v16, v5
	v_cvt_f32_f16_e32 v14, v3
	v_lshrrev_b32_e32 v5, 16, v6
	v_cvt_f32_f16_e32 v20, v4
	v_max3_f32 v3, |v17|, 0, |v7|
	v_cvt_f32_f16_e32 v22, v6
	s_waitcnt vmcnt(2)
	v_lshrrev_b32_e32 v4, 16, v10
	v_cvt_f32_f16_e32 v26, v5
	v_cvt_f32_f16_e32 v28, v10
	v_max3_f32 v3, v3, |v9|, |v14|
	v_lshrrev_b32_e32 v5, 16, v11
	v_cvt_f32_f16_e32 v32, v4
	v_cvt_f32_f16_e32 v34, v11
	v_lshrrev_b32_e32 v4, 16, v12
	v_max3_f32 v3, v3, |v16|, |v20|
	v_cvt_f32_f16_e32 v38, v5
	v_cvt_f32_f16_e32 v40, v12
	v_lshrrev_b32_e32 v5, 16, v13
	v_cvt_f32_f16_e32 v42, v4
	v_max3_f32 v3, v3, |v22|, |v26|
	v_cvt_f32_f16_e32 v46, v13
	s_waitcnt vmcnt(1)
	v_lshrrev_b32_e32 v4, 16, v52
	v_cvt_f32_f16_e32 v47, v5
	v_cvt_f32_f16_e32 v51, v52
	v_max3_f32 v3, v3, |v28|, |v32|
	v_lshrrev_b32_e32 v5, 16, v53
	v_cvt_f32_f16_e32 v52, v4
	v_cvt_f32_f16_e32 v48, v53
	v_lshrrev_b32_e32 v4, 16, v54
	v_max3_f32 v3, v3, |v34|, |v38|
	v_cvt_f32_f16_e32 v45, v5
	v_cvt_f32_f16_e32 v41, v54
	v_lshrrev_b32_e32 v5, 16, v55
	v_cvt_f32_f16_e32 v39, v4
	v_max3_f32 v3, v3, |v40|, |v42|
	;; [unrolled: 16-line block ×3, first 2 shown]
	v_cvt_f32_f16_e32 v13, v59
	s_delay_alu instid0(VALU_DEP_4) | instskip(NEXT) | instid1(VALU_DEP_3)
	v_cvt_f32_f16_e32 v8, v5
	v_max3_f32 v3, v3, |v41|, |v39|
	s_delay_alu instid0(VALU_DEP_1) | instskip(NEXT) | instid1(VALU_DEP_1)
	v_max3_f32 v3, v3, |v36|, |v33|
	v_max3_f32 v3, v3, |v31|, |v27|
	s_delay_alu instid0(VALU_DEP_1) | instskip(NEXT) | instid1(VALU_DEP_1)
	v_max3_f32 v3, v3, |v25|, |v21|
	;; [unrolled: 3-line block ×3, first 2 shown]
	v_mul_f32_e32 v3, 0x3e2aaaab, v3
	s_delay_alu instid0(VALU_DEP_1) | instskip(SKIP_1) | instid1(VALU_DEP_2)
	v_and_b32_e32 v4, 0x7fffff, v3
	v_bfe_u32 v3, v3, 23, 8
	v_cmp_ne_u32_e32 vcc_lo, 0, v4
	s_delay_alu instid0(VALU_DEP_2) | instskip(SKIP_1) | instid1(VALU_DEP_2)
	v_add_co_ci_u32_e32 v4, vcc_lo, 0, v3, vcc_lo
	v_cmp_ne_u32_e32 vcc_lo, 0xff, v3
	v_lshlrev_b32_e32 v4, 23, v4
	s_delay_alu instid0(VALU_DEP_1) | instskip(NEXT) | instid1(VALU_DEP_1)
	v_cndmask_b32_e32 v3, 0x7f800000, v4, vcc_lo
	v_div_scale_f32 v4, null, v3, v3, 1.0
	v_div_scale_f32 v10, vcc_lo, 1.0, v3, 1.0
	s_delay_alu instid0(VALU_DEP_2) | instskip(SKIP_2) | instid1(VALU_DEP_1)
	v_rcp_f32_e32 v5, v4
	s_waitcnt_depctr 0xfff
	v_fma_f32 v6, -v4, v5, 1.0
	v_fmac_f32_e32 v5, v6, v5
	s_delay_alu instid0(VALU_DEP_1) | instskip(NEXT) | instid1(VALU_DEP_1)
	v_mul_f32_e32 v6, v10, v5
	v_fma_f32 v11, -v4, v6, v10
	s_delay_alu instid0(VALU_DEP_1) | instskip(NEXT) | instid1(VALU_DEP_1)
	v_fmac_f32_e32 v6, v11, v5
	v_fma_f32 v4, -v4, v6, v10
	s_delay_alu instid0(VALU_DEP_1) | instskip(SKIP_2) | instid1(VALU_DEP_3)
	v_div_fmas_f32 v4, v4, v5, v6
	v_cmp_neq_f32_e32 vcc_lo, 0, v3
	v_mov_b32_e32 v6, 7
	v_div_fixup_f32 v4, v4, v3, 1.0
	s_delay_alu instid0(VALU_DEP_1) | instskip(NEXT) | instid1(VALU_DEP_1)
	v_cndmask_b32_e32 v10, 0, v4, vcc_lo
	v_dual_mov_b32 v4, 7 :: v_dual_mul_f32 v5, v10, v17
	s_delay_alu instid0(VALU_DEP_1)
	v_cmpx_nle_f32_e64 0x40a00000, |v5|
	s_cbranch_execz .LBB10_17
; %bb.6:
	v_mov_b32_e32 v4, 6
	s_mov_b32 s3, exec_lo
	v_cmpx_nle_f32_e64 0x40600000, |v5|
	s_cbranch_execz .LBB10_16
; %bb.7:
	v_mov_b32_e32 v4, 5
	s_mov_b32 s6, exec_lo
	;; [unrolled: 5-line block ×5, first 2 shown]
	v_cmpx_nle_f32_e64 0x3f400000, |v5|
; %bb.11:
	v_cmp_le_f32_e64 s10, 0x3e800000, |v5|
	s_delay_alu instid0(VALU_DEP_1)
	v_cndmask_b32_e64 v4, 0, 1, s10
; %bb.12:
	s_or_b32 exec_lo, exec_lo, s9
.LBB10_13:
	s_delay_alu instid0(SALU_CYCLE_1)
	s_or_b32 exec_lo, exec_lo, s8
.LBB10_14:
	s_delay_alu instid0(SALU_CYCLE_1)
	s_or_b32 exec_lo, exec_lo, s7
.LBB10_15:
	s_delay_alu instid0(SALU_CYCLE_1)
	s_or_b32 exec_lo, exec_lo, s6
.LBB10_16:
	s_delay_alu instid0(SALU_CYCLE_1)
	s_or_b32 exec_lo, exec_lo, s3
.LBB10_17:
	s_delay_alu instid0(SALU_CYCLE_1) | instskip(SKIP_2) | instid1(VALU_DEP_1)
	s_or_b32 exec_lo, exec_lo, s2
	v_mul_f32_e32 v7, v10, v7
	s_mov_b32 s2, exec_lo
	v_cmpx_nle_f32_e64 0x40a00000, |v7|
	s_cbranch_execz .LBB10_29
; %bb.18:
	v_mov_b32_e32 v6, 6
	s_mov_b32 s3, exec_lo
	v_cmpx_nle_f32_e64 0x40600000, |v7|
	s_cbranch_execz .LBB10_28
; %bb.19:
	v_mov_b32_e32 v6, 5
	;; [unrolled: 5-line block ×5, first 2 shown]
	s_mov_b32 s9, exec_lo
	v_cmpx_nle_f32_e64 0x3f400000, |v7|
; %bb.23:
	v_cmp_le_f32_e64 s10, 0x3e800000, |v7|
	s_delay_alu instid0(VALU_DEP_1)
	v_cndmask_b32_e64 v6, 0, 1, s10
; %bb.24:
	s_or_b32 exec_lo, exec_lo, s9
.LBB10_25:
	s_delay_alu instid0(SALU_CYCLE_1)
	s_or_b32 exec_lo, exec_lo, s8
.LBB10_26:
	s_delay_alu instid0(SALU_CYCLE_1)
	s_or_b32 exec_lo, exec_lo, s7
.LBB10_27:
	s_delay_alu instid0(SALU_CYCLE_1)
	s_or_b32 exec_lo, exec_lo, s6
.LBB10_28:
	s_delay_alu instid0(SALU_CYCLE_1)
	s_or_b32 exec_lo, exec_lo, s3
.LBB10_29:
	s_delay_alu instid0(SALU_CYCLE_1) | instskip(SKIP_3) | instid1(VALU_DEP_2)
	s_or_b32 exec_lo, exec_lo, s2
	v_dual_mul_f32 v11, v10, v9 :: v_dual_mov_b32 v12, 7
	v_mov_b32_e32 v9, 7
	s_mov_b32 s2, exec_lo
	v_cmpx_nle_f32_e64 0x40a00000, |v11|
	s_cbranch_execz .LBB10_41
; %bb.30:
	v_mov_b32_e32 v12, 6
	s_mov_b32 s3, exec_lo
	v_cmpx_nle_f32_e64 0x40600000, |v11|
	s_cbranch_execz .LBB10_40
; %bb.31:
	;; [unrolled: 5-line block ×5, first 2 shown]
	v_mov_b32_e32 v12, 2
	s_mov_b32 s9, exec_lo
	v_cmpx_nle_f32_e64 0x3f400000, |v11|
; %bb.35:
	v_cmp_le_f32_e64 s10, 0x3e800000, |v11|
	s_delay_alu instid0(VALU_DEP_1)
	v_cndmask_b32_e64 v12, 0, 1, s10
; %bb.36:
	s_or_b32 exec_lo, exec_lo, s9
.LBB10_37:
	s_delay_alu instid0(SALU_CYCLE_1)
	s_or_b32 exec_lo, exec_lo, s8
.LBB10_38:
	s_delay_alu instid0(SALU_CYCLE_1)
	s_or_b32 exec_lo, exec_lo, s7
.LBB10_39:
	s_delay_alu instid0(SALU_CYCLE_1)
	s_or_b32 exec_lo, exec_lo, s6
.LBB10_40:
	s_delay_alu instid0(SALU_CYCLE_1)
	s_or_b32 exec_lo, exec_lo, s3
.LBB10_41:
	s_delay_alu instid0(SALU_CYCLE_1) | instskip(SKIP_2) | instid1(VALU_DEP_1)
	s_or_b32 exec_lo, exec_lo, s2
	v_mul_f32_e32 v14, v10, v14
	s_mov_b32 s2, exec_lo
	v_cmpx_nle_f32_e64 0x40a00000, |v14|
	s_cbranch_execz .LBB10_53
; %bb.42:
	v_mov_b32_e32 v9, 6
	s_mov_b32 s3, exec_lo
	v_cmpx_nle_f32_e64 0x40600000, |v14|
	s_cbranch_execz .LBB10_52
; %bb.43:
	v_mov_b32_e32 v9, 5
	;; [unrolled: 5-line block ×5, first 2 shown]
	s_mov_b32 s9, exec_lo
	v_cmpx_nle_f32_e64 0x3f400000, |v14|
; %bb.47:
	v_cmp_le_f32_e64 s10, 0x3e800000, |v14|
	s_delay_alu instid0(VALU_DEP_1)
	v_cndmask_b32_e64 v9, 0, 1, s10
; %bb.48:
	s_or_b32 exec_lo, exec_lo, s9
.LBB10_49:
	s_delay_alu instid0(SALU_CYCLE_1)
	s_or_b32 exec_lo, exec_lo, s8
.LBB10_50:
	s_delay_alu instid0(SALU_CYCLE_1)
	s_or_b32 exec_lo, exec_lo, s7
.LBB10_51:
	s_delay_alu instid0(SALU_CYCLE_1)
	s_or_b32 exec_lo, exec_lo, s6
.LBB10_52:
	s_delay_alu instid0(SALU_CYCLE_1)
	s_or_b32 exec_lo, exec_lo, s3
.LBB10_53:
	s_delay_alu instid0(SALU_CYCLE_1) | instskip(SKIP_3) | instid1(VALU_DEP_2)
	s_or_b32 exec_lo, exec_lo, s2
	v_dual_mul_f32 v18, v10, v16 :: v_dual_mov_b32 v17, 7
	v_mov_b32_e32 v16, 7
	s_mov_b32 s2, exec_lo
	v_cmpx_nle_f32_e64 0x40a00000, |v18|
	s_cbranch_execz .LBB10_65
; %bb.54:
	v_mov_b32_e32 v16, 6
	s_mov_b32 s3, exec_lo
	v_cmpx_nle_f32_e64 0x40600000, |v18|
	s_cbranch_execz .LBB10_64
; %bb.55:
	;; [unrolled: 5-line block ×5, first 2 shown]
	v_mov_b32_e32 v16, 2
	s_mov_b32 s9, exec_lo
	v_cmpx_nle_f32_e64 0x3f400000, |v18|
; %bb.59:
	v_cmp_le_f32_e64 s10, 0x3e800000, |v18|
	s_delay_alu instid0(VALU_DEP_1)
	v_cndmask_b32_e64 v16, 0, 1, s10
; %bb.60:
	s_or_b32 exec_lo, exec_lo, s9
.LBB10_61:
	s_delay_alu instid0(SALU_CYCLE_1)
	s_or_b32 exec_lo, exec_lo, s8
.LBB10_62:
	s_delay_alu instid0(SALU_CYCLE_1)
	s_or_b32 exec_lo, exec_lo, s7
.LBB10_63:
	s_delay_alu instid0(SALU_CYCLE_1)
	s_or_b32 exec_lo, exec_lo, s6
.LBB10_64:
	s_delay_alu instid0(SALU_CYCLE_1)
	s_or_b32 exec_lo, exec_lo, s3
.LBB10_65:
	s_delay_alu instid0(SALU_CYCLE_1) | instskip(SKIP_2) | instid1(VALU_DEP_1)
	s_or_b32 exec_lo, exec_lo, s2
	v_mul_f32_e32 v20, v10, v20
	s_mov_b32 s2, exec_lo
	v_cmpx_nle_f32_e64 0x40a00000, |v20|
	s_cbranch_execz .LBB10_77
; %bb.66:
	v_mov_b32_e32 v17, 6
	s_mov_b32 s3, exec_lo
	v_cmpx_nle_f32_e64 0x40600000, |v20|
	s_cbranch_execz .LBB10_76
; %bb.67:
	v_mov_b32_e32 v17, 5
	;; [unrolled: 5-line block ×5, first 2 shown]
	s_mov_b32 s9, exec_lo
	v_cmpx_nle_f32_e64 0x3f400000, |v20|
; %bb.71:
	v_cmp_le_f32_e64 s10, 0x3e800000, |v20|
	s_delay_alu instid0(VALU_DEP_1)
	v_cndmask_b32_e64 v17, 0, 1, s10
; %bb.72:
	s_or_b32 exec_lo, exec_lo, s9
.LBB10_73:
	s_delay_alu instid0(SALU_CYCLE_1)
	s_or_b32 exec_lo, exec_lo, s8
.LBB10_74:
	s_delay_alu instid0(SALU_CYCLE_1)
	s_or_b32 exec_lo, exec_lo, s7
.LBB10_75:
	s_delay_alu instid0(SALU_CYCLE_1)
	s_or_b32 exec_lo, exec_lo, s6
.LBB10_76:
	s_delay_alu instid0(SALU_CYCLE_1)
	s_or_b32 exec_lo, exec_lo, s3
.LBB10_77:
	s_delay_alu instid0(SALU_CYCLE_1) | instskip(SKIP_3) | instid1(VALU_DEP_2)
	s_or_b32 exec_lo, exec_lo, s2
	v_dual_mul_f32 v24, v10, v22 :: v_dual_mov_b32 v23, 7
	v_mov_b32_e32 v22, 7
	s_mov_b32 s2, exec_lo
	v_cmpx_nle_f32_e64 0x40a00000, |v24|
	s_cbranch_execz .LBB10_89
; %bb.78:
	v_mov_b32_e32 v23, 6
	s_mov_b32 s3, exec_lo
	v_cmpx_nle_f32_e64 0x40600000, |v24|
	s_cbranch_execz .LBB10_88
; %bb.79:
	;; [unrolled: 5-line block ×5, first 2 shown]
	v_mov_b32_e32 v23, 2
	s_mov_b32 s9, exec_lo
	v_cmpx_nle_f32_e64 0x3f400000, |v24|
; %bb.83:
	v_cmp_le_f32_e64 s10, 0x3e800000, |v24|
	s_delay_alu instid0(VALU_DEP_1)
	v_cndmask_b32_e64 v23, 0, 1, s10
; %bb.84:
	s_or_b32 exec_lo, exec_lo, s9
.LBB10_85:
	s_delay_alu instid0(SALU_CYCLE_1)
	s_or_b32 exec_lo, exec_lo, s8
.LBB10_86:
	s_delay_alu instid0(SALU_CYCLE_1)
	s_or_b32 exec_lo, exec_lo, s7
.LBB10_87:
	s_delay_alu instid0(SALU_CYCLE_1)
	s_or_b32 exec_lo, exec_lo, s6
.LBB10_88:
	s_delay_alu instid0(SALU_CYCLE_1)
	s_or_b32 exec_lo, exec_lo, s3
.LBB10_89:
	s_delay_alu instid0(SALU_CYCLE_1) | instskip(SKIP_2) | instid1(VALU_DEP_1)
	s_or_b32 exec_lo, exec_lo, s2
	v_mul_f32_e32 v26, v10, v26
	s_mov_b32 s2, exec_lo
	v_cmpx_nle_f32_e64 0x40a00000, |v26|
	s_cbranch_execz .LBB10_101
; %bb.90:
	v_mov_b32_e32 v22, 6
	s_mov_b32 s3, exec_lo
	v_cmpx_nle_f32_e64 0x40600000, |v26|
	s_cbranch_execz .LBB10_100
; %bb.91:
	v_mov_b32_e32 v22, 5
	s_mov_b32 s6, exec_lo
	v_cmpx_nle_f32_e64 0x40200000, |v26|
	s_cbranch_execz .LBB10_99
; %bb.92:
	v_mov_b32_e32 v22, 4
	s_mov_b32 s7, exec_lo
	v_cmpx_nle_f32_e64 0x3fe00000, |v26|
	s_cbranch_execz .LBB10_98
; %bb.93:
	v_mov_b32_e32 v22, 3
	s_mov_b32 s8, exec_lo
	v_cmpx_nle_f32_e64 0x3fa00000, |v26|
	s_cbranch_execz .LBB10_97
; %bb.94:
	v_mov_b32_e32 v22, 2
	s_mov_b32 s9, exec_lo
	v_cmpx_nle_f32_e64 0x3f400000, |v26|
; %bb.95:
	v_cmp_le_f32_e64 s10, 0x3e800000, |v26|
	s_delay_alu instid0(VALU_DEP_1)
	v_cndmask_b32_e64 v22, 0, 1, s10
; %bb.96:
	s_or_b32 exec_lo, exec_lo, s9
.LBB10_97:
	s_delay_alu instid0(SALU_CYCLE_1)
	s_or_b32 exec_lo, exec_lo, s8
.LBB10_98:
	s_delay_alu instid0(SALU_CYCLE_1)
	s_or_b32 exec_lo, exec_lo, s7
.LBB10_99:
	s_delay_alu instid0(SALU_CYCLE_1)
	s_or_b32 exec_lo, exec_lo, s6
.LBB10_100:
	s_delay_alu instid0(SALU_CYCLE_1)
	s_or_b32 exec_lo, exec_lo, s3
.LBB10_101:
	s_delay_alu instid0(SALU_CYCLE_1) | instskip(SKIP_3) | instid1(VALU_DEP_2)
	s_or_b32 exec_lo, exec_lo, s2
	v_dual_mul_f32 v30, v10, v28 :: v_dual_mov_b32 v29, 7
	v_mov_b32_e32 v28, 7
	s_mov_b32 s2, exec_lo
	v_cmpx_nle_f32_e64 0x40a00000, |v30|
	s_cbranch_execz .LBB10_113
; %bb.102:
	v_mov_b32_e32 v29, 6
	s_mov_b32 s3, exec_lo
	v_cmpx_nle_f32_e64 0x40600000, |v30|
	s_cbranch_execz .LBB10_112
; %bb.103:
	;; [unrolled: 5-line block ×5, first 2 shown]
	v_mov_b32_e32 v29, 2
	s_mov_b32 s9, exec_lo
	v_cmpx_nle_f32_e64 0x3f400000, |v30|
; %bb.107:
	v_cmp_le_f32_e64 s10, 0x3e800000, |v30|
	s_delay_alu instid0(VALU_DEP_1)
	v_cndmask_b32_e64 v29, 0, 1, s10
; %bb.108:
	s_or_b32 exec_lo, exec_lo, s9
.LBB10_109:
	s_delay_alu instid0(SALU_CYCLE_1)
	s_or_b32 exec_lo, exec_lo, s8
.LBB10_110:
	s_delay_alu instid0(SALU_CYCLE_1)
	s_or_b32 exec_lo, exec_lo, s7
.LBB10_111:
	s_delay_alu instid0(SALU_CYCLE_1)
	s_or_b32 exec_lo, exec_lo, s6
.LBB10_112:
	s_delay_alu instid0(SALU_CYCLE_1)
	s_or_b32 exec_lo, exec_lo, s3
.LBB10_113:
	s_delay_alu instid0(SALU_CYCLE_1) | instskip(SKIP_2) | instid1(VALU_DEP_1)
	s_or_b32 exec_lo, exec_lo, s2
	v_mul_f32_e32 v32, v10, v32
	s_mov_b32 s2, exec_lo
	v_cmpx_nle_f32_e64 0x40a00000, |v32|
	s_cbranch_execz .LBB10_125
; %bb.114:
	v_mov_b32_e32 v28, 6
	s_mov_b32 s3, exec_lo
	v_cmpx_nle_f32_e64 0x40600000, |v32|
	s_cbranch_execz .LBB10_124
; %bb.115:
	v_mov_b32_e32 v28, 5
	;; [unrolled: 5-line block ×5, first 2 shown]
	s_mov_b32 s9, exec_lo
	v_cmpx_nle_f32_e64 0x3f400000, |v32|
; %bb.119:
	v_cmp_le_f32_e64 s10, 0x3e800000, |v32|
	s_delay_alu instid0(VALU_DEP_1)
	v_cndmask_b32_e64 v28, 0, 1, s10
; %bb.120:
	s_or_b32 exec_lo, exec_lo, s9
.LBB10_121:
	s_delay_alu instid0(SALU_CYCLE_1)
	s_or_b32 exec_lo, exec_lo, s8
.LBB10_122:
	s_delay_alu instid0(SALU_CYCLE_1)
	s_or_b32 exec_lo, exec_lo, s7
.LBB10_123:
	s_delay_alu instid0(SALU_CYCLE_1)
	s_or_b32 exec_lo, exec_lo, s6
.LBB10_124:
	s_delay_alu instid0(SALU_CYCLE_1)
	s_or_b32 exec_lo, exec_lo, s3
.LBB10_125:
	s_delay_alu instid0(SALU_CYCLE_1) | instskip(SKIP_3) | instid1(VALU_DEP_2)
	s_or_b32 exec_lo, exec_lo, s2
	v_dual_mul_f32 v37, v10, v34 :: v_dual_mov_b32 v34, 7
	v_mov_b32_e32 v35, 7
	s_mov_b32 s2, exec_lo
	v_cmpx_nle_f32_e64 0x40a00000, |v37|
	s_cbranch_execz .LBB10_137
; %bb.126:
	v_mov_b32_e32 v35, 6
	s_mov_b32 s3, exec_lo
	v_cmpx_nle_f32_e64 0x40600000, |v37|
	s_cbranch_execz .LBB10_136
; %bb.127:
	;; [unrolled: 5-line block ×5, first 2 shown]
	v_mov_b32_e32 v35, 2
	s_mov_b32 s9, exec_lo
	v_cmpx_nle_f32_e64 0x3f400000, |v37|
; %bb.131:
	v_cmp_le_f32_e64 s10, 0x3e800000, |v37|
	s_delay_alu instid0(VALU_DEP_1)
	v_cndmask_b32_e64 v35, 0, 1, s10
; %bb.132:
	s_or_b32 exec_lo, exec_lo, s9
.LBB10_133:
	s_delay_alu instid0(SALU_CYCLE_1)
	s_or_b32 exec_lo, exec_lo, s8
.LBB10_134:
	s_delay_alu instid0(SALU_CYCLE_1)
	s_or_b32 exec_lo, exec_lo, s7
.LBB10_135:
	s_delay_alu instid0(SALU_CYCLE_1)
	s_or_b32 exec_lo, exec_lo, s6
.LBB10_136:
	s_delay_alu instid0(SALU_CYCLE_1)
	s_or_b32 exec_lo, exec_lo, s3
.LBB10_137:
	s_delay_alu instid0(SALU_CYCLE_1) | instskip(SKIP_2) | instid1(VALU_DEP_1)
	s_or_b32 exec_lo, exec_lo, s2
	v_mul_f32_e32 v38, v10, v38
	s_mov_b32 s2, exec_lo
	v_cmpx_nle_f32_e64 0x40a00000, |v38|
	s_cbranch_execz .LBB10_149
; %bb.138:
	v_mov_b32_e32 v34, 6
	s_mov_b32 s3, exec_lo
	v_cmpx_nle_f32_e64 0x40600000, |v38|
	s_cbranch_execz .LBB10_148
; %bb.139:
	v_mov_b32_e32 v34, 5
	s_mov_b32 s6, exec_lo
	v_cmpx_nle_f32_e64 0x40200000, |v38|
	s_cbranch_execz .LBB10_147
; %bb.140:
	v_mov_b32_e32 v34, 4
	s_mov_b32 s7, exec_lo
	v_cmpx_nle_f32_e64 0x3fe00000, |v38|
	s_cbranch_execz .LBB10_146
; %bb.141:
	v_mov_b32_e32 v34, 3
	s_mov_b32 s8, exec_lo
	v_cmpx_nle_f32_e64 0x3fa00000, |v38|
	s_cbranch_execz .LBB10_145
; %bb.142:
	v_mov_b32_e32 v34, 2
	s_mov_b32 s9, exec_lo
	v_cmpx_nle_f32_e64 0x3f400000, |v38|
; %bb.143:
	v_cmp_le_f32_e64 s10, 0x3e800000, |v38|
	s_delay_alu instid0(VALU_DEP_1)
	v_cndmask_b32_e64 v34, 0, 1, s10
; %bb.144:
	s_or_b32 exec_lo, exec_lo, s9
.LBB10_145:
	s_delay_alu instid0(SALU_CYCLE_1)
	s_or_b32 exec_lo, exec_lo, s8
.LBB10_146:
	s_delay_alu instid0(SALU_CYCLE_1)
	s_or_b32 exec_lo, exec_lo, s7
.LBB10_147:
	s_delay_alu instid0(SALU_CYCLE_1)
	s_or_b32 exec_lo, exec_lo, s6
.LBB10_148:
	s_delay_alu instid0(SALU_CYCLE_1)
	s_or_b32 exec_lo, exec_lo, s3
.LBB10_149:
	s_delay_alu instid0(SALU_CYCLE_1) | instskip(SKIP_3) | instid1(VALU_DEP_2)
	s_or_b32 exec_lo, exec_lo, s2
	v_dual_mul_f32 v43, v10, v40 :: v_dual_mov_b32 v40, 7
	v_mov_b32_e32 v44, 7
	s_mov_b32 s2, exec_lo
	v_cmpx_nle_f32_e64 0x40a00000, |v43|
	s_cbranch_execz .LBB10_161
; %bb.150:
	v_mov_b32_e32 v44, 6
	s_mov_b32 s3, exec_lo
	v_cmpx_nle_f32_e64 0x40600000, |v43|
	s_cbranch_execz .LBB10_160
; %bb.151:
	v_mov_b32_e32 v44, 5
	s_mov_b32 s6, exec_lo
	v_cmpx_nle_f32_e64 0x40200000, |v43|
	s_cbranch_execz .LBB10_159
; %bb.152:
	v_mov_b32_e32 v44, 4
	s_mov_b32 s7, exec_lo
	v_cmpx_nle_f32_e64 0x3fe00000, |v43|
	s_cbranch_execz .LBB10_158
; %bb.153:
	v_mov_b32_e32 v44, 3
	s_mov_b32 s8, exec_lo
	v_cmpx_nle_f32_e64 0x3fa00000, |v43|
	s_cbranch_execz .LBB10_157
; %bb.154:
	v_mov_b32_e32 v44, 2
	s_mov_b32 s9, exec_lo
	v_cmpx_nle_f32_e64 0x3f400000, |v43|
; %bb.155:
	v_cmp_le_f32_e64 s10, 0x3e800000, |v43|
	s_delay_alu instid0(VALU_DEP_1)
	v_cndmask_b32_e64 v44, 0, 1, s10
; %bb.156:
	s_or_b32 exec_lo, exec_lo, s9
.LBB10_157:
	s_delay_alu instid0(SALU_CYCLE_1)
	s_or_b32 exec_lo, exec_lo, s8
.LBB10_158:
	s_delay_alu instid0(SALU_CYCLE_1)
	s_or_b32 exec_lo, exec_lo, s7
.LBB10_159:
	s_delay_alu instid0(SALU_CYCLE_1)
	s_or_b32 exec_lo, exec_lo, s6
.LBB10_160:
	s_delay_alu instid0(SALU_CYCLE_1)
	s_or_b32 exec_lo, exec_lo, s3
.LBB10_161:
	s_delay_alu instid0(SALU_CYCLE_1) | instskip(SKIP_2) | instid1(VALU_DEP_1)
	s_or_b32 exec_lo, exec_lo, s2
	v_mul_f32_e32 v42, v10, v42
	s_mov_b32 s2, exec_lo
	v_cmpx_nle_f32_e64 0x40a00000, |v42|
	s_cbranch_execz .LBB10_173
; %bb.162:
	v_mov_b32_e32 v40, 6
	s_mov_b32 s3, exec_lo
	v_cmpx_nle_f32_e64 0x40600000, |v42|
	s_cbranch_execz .LBB10_172
; %bb.163:
	v_mov_b32_e32 v40, 5
	;; [unrolled: 5-line block ×5, first 2 shown]
	s_mov_b32 s9, exec_lo
	v_cmpx_nle_f32_e64 0x3f400000, |v42|
; %bb.167:
	v_cmp_le_f32_e64 s10, 0x3e800000, |v42|
	s_delay_alu instid0(VALU_DEP_1)
	v_cndmask_b32_e64 v40, 0, 1, s10
; %bb.168:
	s_or_b32 exec_lo, exec_lo, s9
.LBB10_169:
	s_delay_alu instid0(SALU_CYCLE_1)
	s_or_b32 exec_lo, exec_lo, s8
.LBB10_170:
	s_delay_alu instid0(SALU_CYCLE_1)
	s_or_b32 exec_lo, exec_lo, s7
.LBB10_171:
	s_delay_alu instid0(SALU_CYCLE_1)
	s_or_b32 exec_lo, exec_lo, s6
.LBB10_172:
	s_delay_alu instid0(SALU_CYCLE_1)
	s_or_b32 exec_lo, exec_lo, s3
.LBB10_173:
	s_delay_alu instid0(SALU_CYCLE_1) | instskip(SKIP_3) | instid1(VALU_DEP_2)
	s_or_b32 exec_lo, exec_lo, s2
	v_dual_mul_f32 v50, v10, v46 :: v_dual_mov_b32 v49, 7
	v_mov_b32_e32 v46, 7
	s_mov_b32 s2, exec_lo
	v_cmpx_nle_f32_e64 0x40a00000, |v50|
	s_cbranch_execz .LBB10_185
; %bb.174:
	v_mov_b32_e32 v49, 6
	s_mov_b32 s3, exec_lo
	v_cmpx_nle_f32_e64 0x40600000, |v50|
	s_cbranch_execz .LBB10_184
; %bb.175:
	;; [unrolled: 5-line block ×5, first 2 shown]
	v_mov_b32_e32 v49, 2
	s_mov_b32 s9, exec_lo
	v_cmpx_nle_f32_e64 0x3f400000, |v50|
; %bb.179:
	v_cmp_le_f32_e64 s10, 0x3e800000, |v50|
	s_delay_alu instid0(VALU_DEP_1)
	v_cndmask_b32_e64 v49, 0, 1, s10
; %bb.180:
	s_or_b32 exec_lo, exec_lo, s9
.LBB10_181:
	s_delay_alu instid0(SALU_CYCLE_1)
	s_or_b32 exec_lo, exec_lo, s8
.LBB10_182:
	s_delay_alu instid0(SALU_CYCLE_1)
	s_or_b32 exec_lo, exec_lo, s7
.LBB10_183:
	s_delay_alu instid0(SALU_CYCLE_1)
	s_or_b32 exec_lo, exec_lo, s6
.LBB10_184:
	s_delay_alu instid0(SALU_CYCLE_1)
	s_or_b32 exec_lo, exec_lo, s3
.LBB10_185:
	s_delay_alu instid0(SALU_CYCLE_1) | instskip(SKIP_2) | instid1(VALU_DEP_1)
	s_or_b32 exec_lo, exec_lo, s2
	v_mul_f32_e32 v47, v10, v47
	s_mov_b32 s2, exec_lo
	v_cmpx_nle_f32_e64 0x40a00000, |v47|
	s_cbranch_execz .LBB10_197
; %bb.186:
	v_mov_b32_e32 v46, 6
	s_mov_b32 s3, exec_lo
	v_cmpx_nle_f32_e64 0x40600000, |v47|
	s_cbranch_execz .LBB10_196
; %bb.187:
	v_mov_b32_e32 v46, 5
	;; [unrolled: 5-line block ×5, first 2 shown]
	s_mov_b32 s9, exec_lo
	v_cmpx_nle_f32_e64 0x3f400000, |v47|
; %bb.191:
	v_cmp_le_f32_e64 s10, 0x3e800000, |v47|
	s_delay_alu instid0(VALU_DEP_1)
	v_cndmask_b32_e64 v46, 0, 1, s10
; %bb.192:
	s_or_b32 exec_lo, exec_lo, s9
.LBB10_193:
	s_delay_alu instid0(SALU_CYCLE_1)
	s_or_b32 exec_lo, exec_lo, s8
.LBB10_194:
	s_delay_alu instid0(SALU_CYCLE_1)
	s_or_b32 exec_lo, exec_lo, s7
.LBB10_195:
	s_delay_alu instid0(SALU_CYCLE_1)
	s_or_b32 exec_lo, exec_lo, s6
.LBB10_196:
	s_delay_alu instid0(SALU_CYCLE_1)
	s_or_b32 exec_lo, exec_lo, s3
.LBB10_197:
	s_delay_alu instid0(SALU_CYCLE_1) | instskip(SKIP_3) | instid1(VALU_DEP_2)
	s_or_b32 exec_lo, exec_lo, s2
	v_dual_mul_f32 v54, v10, v51 :: v_dual_mov_b32 v51, 7
	v_mov_b32_e32 v53, 7
	s_mov_b32 s2, exec_lo
	v_cmpx_nle_f32_e64 0x40a00000, |v54|
	s_cbranch_execz .LBB10_209
; %bb.198:
	v_mov_b32_e32 v53, 6
	s_mov_b32 s3, exec_lo
	v_cmpx_nle_f32_e64 0x40600000, |v54|
	s_cbranch_execz .LBB10_208
; %bb.199:
	v_mov_b32_e32 v53, 5
	s_mov_b32 s6, exec_lo
	v_cmpx_nle_f32_e64 0x40200000, |v54|
	s_cbranch_execz .LBB10_207
; %bb.200:
	v_mov_b32_e32 v53, 4
	s_mov_b32 s7, exec_lo
	v_cmpx_nle_f32_e64 0x3fe00000, |v54|
	s_cbranch_execz .LBB10_206
; %bb.201:
	v_mov_b32_e32 v53, 3
	s_mov_b32 s8, exec_lo
	v_cmpx_nle_f32_e64 0x3fa00000, |v54|
	s_cbranch_execz .LBB10_205
; %bb.202:
	v_mov_b32_e32 v53, 2
	s_mov_b32 s9, exec_lo
	v_cmpx_nle_f32_e64 0x3f400000, |v54|
; %bb.203:
	v_cmp_le_f32_e64 s10, 0x3e800000, |v54|
	s_delay_alu instid0(VALU_DEP_1)
	v_cndmask_b32_e64 v53, 0, 1, s10
; %bb.204:
	s_or_b32 exec_lo, exec_lo, s9
.LBB10_205:
	s_delay_alu instid0(SALU_CYCLE_1)
	s_or_b32 exec_lo, exec_lo, s8
.LBB10_206:
	s_delay_alu instid0(SALU_CYCLE_1)
	s_or_b32 exec_lo, exec_lo, s7
.LBB10_207:
	s_delay_alu instid0(SALU_CYCLE_1)
	s_or_b32 exec_lo, exec_lo, s6
.LBB10_208:
	s_delay_alu instid0(SALU_CYCLE_1)
	s_or_b32 exec_lo, exec_lo, s3
.LBB10_209:
	s_delay_alu instid0(SALU_CYCLE_1) | instskip(SKIP_2) | instid1(VALU_DEP_1)
	s_or_b32 exec_lo, exec_lo, s2
	v_mul_f32_e32 v52, v10, v52
	s_mov_b32 s2, exec_lo
	v_cmpx_nle_f32_e64 0x40a00000, |v52|
	s_cbranch_execz .LBB10_221
; %bb.210:
	v_mov_b32_e32 v51, 6
	s_mov_b32 s3, exec_lo
	v_cmpx_nle_f32_e64 0x40600000, |v52|
	s_cbranch_execz .LBB10_220
; %bb.211:
	v_mov_b32_e32 v51, 5
	s_mov_b32 s6, exec_lo
	v_cmpx_nle_f32_e64 0x40200000, |v52|
	s_cbranch_execz .LBB10_219
; %bb.212:
	v_mov_b32_e32 v51, 4
	s_mov_b32 s7, exec_lo
	v_cmpx_nle_f32_e64 0x3fe00000, |v52|
	s_cbranch_execz .LBB10_218
; %bb.213:
	v_mov_b32_e32 v51, 3
	s_mov_b32 s8, exec_lo
	v_cmpx_nle_f32_e64 0x3fa00000, |v52|
	s_cbranch_execz .LBB10_217
; %bb.214:
	v_mov_b32_e32 v51, 2
	s_mov_b32 s9, exec_lo
	v_cmpx_nle_f32_e64 0x3f400000, |v52|
; %bb.215:
	v_cmp_le_f32_e64 s10, 0x3e800000, |v52|
	s_delay_alu instid0(VALU_DEP_1)
	v_cndmask_b32_e64 v51, 0, 1, s10
; %bb.216:
	s_or_b32 exec_lo, exec_lo, s9
.LBB10_217:
	s_delay_alu instid0(SALU_CYCLE_1)
	s_or_b32 exec_lo, exec_lo, s8
.LBB10_218:
	s_delay_alu instid0(SALU_CYCLE_1)
	s_or_b32 exec_lo, exec_lo, s7
.LBB10_219:
	s_delay_alu instid0(SALU_CYCLE_1)
	s_or_b32 exec_lo, exec_lo, s6
.LBB10_220:
	s_delay_alu instid0(SALU_CYCLE_1)
	s_or_b32 exec_lo, exec_lo, s3
.LBB10_221:
	s_delay_alu instid0(SALU_CYCLE_1) | instskip(SKIP_3) | instid1(VALU_DEP_2)
	s_or_b32 exec_lo, exec_lo, s2
	v_dual_mul_f32 v56, v10, v48 :: v_dual_mov_b32 v55, 7
	v_mov_b32_e32 v48, 7
	s_mov_b32 s2, exec_lo
	v_cmpx_nle_f32_e64 0x40a00000, |v56|
	s_cbranch_execz .LBB10_233
; %bb.222:
	v_mov_b32_e32 v55, 6
	s_mov_b32 s3, exec_lo
	v_cmpx_nle_f32_e64 0x40600000, |v56|
	s_cbranch_execz .LBB10_232
; %bb.223:
	;; [unrolled: 5-line block ×5, first 2 shown]
	v_mov_b32_e32 v55, 2
	s_mov_b32 s9, exec_lo
	v_cmpx_nle_f32_e64 0x3f400000, |v56|
; %bb.227:
	v_cmp_le_f32_e64 s10, 0x3e800000, |v56|
	s_delay_alu instid0(VALU_DEP_1)
	v_cndmask_b32_e64 v55, 0, 1, s10
; %bb.228:
	s_or_b32 exec_lo, exec_lo, s9
.LBB10_229:
	s_delay_alu instid0(SALU_CYCLE_1)
	s_or_b32 exec_lo, exec_lo, s8
.LBB10_230:
	s_delay_alu instid0(SALU_CYCLE_1)
	s_or_b32 exec_lo, exec_lo, s7
.LBB10_231:
	s_delay_alu instid0(SALU_CYCLE_1)
	s_or_b32 exec_lo, exec_lo, s6
.LBB10_232:
	s_delay_alu instid0(SALU_CYCLE_1)
	s_or_b32 exec_lo, exec_lo, s3
.LBB10_233:
	s_delay_alu instid0(SALU_CYCLE_1) | instskip(SKIP_2) | instid1(VALU_DEP_1)
	s_or_b32 exec_lo, exec_lo, s2
	v_mul_f32_e32 v45, v10, v45
	s_mov_b32 s2, exec_lo
	v_cmpx_nle_f32_e64 0x40a00000, |v45|
	s_cbranch_execz .LBB10_245
; %bb.234:
	v_mov_b32_e32 v48, 6
	s_mov_b32 s3, exec_lo
	v_cmpx_nle_f32_e64 0x40600000, |v45|
	s_cbranch_execz .LBB10_244
; %bb.235:
	v_mov_b32_e32 v48, 5
	;; [unrolled: 5-line block ×5, first 2 shown]
	s_mov_b32 s9, exec_lo
	v_cmpx_nle_f32_e64 0x3f400000, |v45|
; %bb.239:
	v_cmp_le_f32_e64 s10, 0x3e800000, |v45|
	s_delay_alu instid0(VALU_DEP_1)
	v_cndmask_b32_e64 v48, 0, 1, s10
; %bb.240:
	s_or_b32 exec_lo, exec_lo, s9
.LBB10_241:
	s_delay_alu instid0(SALU_CYCLE_1)
	s_or_b32 exec_lo, exec_lo, s8
.LBB10_242:
	s_delay_alu instid0(SALU_CYCLE_1)
	s_or_b32 exec_lo, exec_lo, s7
.LBB10_243:
	s_delay_alu instid0(SALU_CYCLE_1)
	s_or_b32 exec_lo, exec_lo, s6
.LBB10_244:
	s_delay_alu instid0(SALU_CYCLE_1)
	s_or_b32 exec_lo, exec_lo, s3
.LBB10_245:
	s_delay_alu instid0(SALU_CYCLE_1) | instskip(SKIP_3) | instid1(VALU_DEP_2)
	s_or_b32 exec_lo, exec_lo, s2
	v_dual_mul_f32 v58, v10, v41 :: v_dual_mov_b32 v41, 7
	v_mov_b32_e32 v57, 7
	s_mov_b32 s2, exec_lo
	v_cmpx_nle_f32_e64 0x40a00000, |v58|
	s_cbranch_execz .LBB10_257
; %bb.246:
	v_mov_b32_e32 v57, 6
	s_mov_b32 s3, exec_lo
	v_cmpx_nle_f32_e64 0x40600000, |v58|
	s_cbranch_execz .LBB10_256
; %bb.247:
	;; [unrolled: 5-line block ×5, first 2 shown]
	v_mov_b32_e32 v57, 2
	s_mov_b32 s9, exec_lo
	v_cmpx_nle_f32_e64 0x3f400000, |v58|
; %bb.251:
	v_cmp_le_f32_e64 s10, 0x3e800000, |v58|
	s_delay_alu instid0(VALU_DEP_1)
	v_cndmask_b32_e64 v57, 0, 1, s10
; %bb.252:
	s_or_b32 exec_lo, exec_lo, s9
.LBB10_253:
	s_delay_alu instid0(SALU_CYCLE_1)
	s_or_b32 exec_lo, exec_lo, s8
.LBB10_254:
	s_delay_alu instid0(SALU_CYCLE_1)
	s_or_b32 exec_lo, exec_lo, s7
.LBB10_255:
	s_delay_alu instid0(SALU_CYCLE_1)
	s_or_b32 exec_lo, exec_lo, s6
.LBB10_256:
	s_delay_alu instid0(SALU_CYCLE_1)
	s_or_b32 exec_lo, exec_lo, s3
.LBB10_257:
	s_delay_alu instid0(SALU_CYCLE_1) | instskip(SKIP_2) | instid1(VALU_DEP_1)
	s_or_b32 exec_lo, exec_lo, s2
	v_mul_f32_e32 v39, v10, v39
	s_mov_b32 s2, exec_lo
	v_cmpx_nle_f32_e64 0x40a00000, |v39|
	s_cbranch_execz .LBB10_269
; %bb.258:
	v_mov_b32_e32 v41, 6
	s_mov_b32 s3, exec_lo
	v_cmpx_nle_f32_e64 0x40600000, |v39|
	s_cbranch_execz .LBB10_268
; %bb.259:
	v_mov_b32_e32 v41, 5
	;; [unrolled: 5-line block ×5, first 2 shown]
	s_mov_b32 s9, exec_lo
	v_cmpx_nle_f32_e64 0x3f400000, |v39|
; %bb.263:
	v_cmp_le_f32_e64 s10, 0x3e800000, |v39|
	s_delay_alu instid0(VALU_DEP_1)
	v_cndmask_b32_e64 v41, 0, 1, s10
; %bb.264:
	s_or_b32 exec_lo, exec_lo, s9
.LBB10_265:
	s_delay_alu instid0(SALU_CYCLE_1)
	s_or_b32 exec_lo, exec_lo, s8
.LBB10_266:
	s_delay_alu instid0(SALU_CYCLE_1)
	s_or_b32 exec_lo, exec_lo, s7
.LBB10_267:
	s_delay_alu instid0(SALU_CYCLE_1)
	s_or_b32 exec_lo, exec_lo, s6
.LBB10_268:
	s_delay_alu instid0(SALU_CYCLE_1)
	s_or_b32 exec_lo, exec_lo, s3
.LBB10_269:
	s_delay_alu instid0(SALU_CYCLE_1) | instskip(SKIP_3) | instid1(VALU_DEP_2)
	s_or_b32 exec_lo, exec_lo, s2
	v_dual_mul_f32 v59, v10, v36 :: v_dual_mov_b32 v36, 7
	v_mov_b32_e32 v60, 7
	s_mov_b32 s2, exec_lo
	v_cmpx_nle_f32_e64 0x40a00000, |v59|
	s_cbranch_execz .LBB10_281
; %bb.270:
	v_mov_b32_e32 v60, 6
	s_mov_b32 s3, exec_lo
	v_cmpx_nle_f32_e64 0x40600000, |v59|
	s_cbranch_execz .LBB10_280
; %bb.271:
	;; [unrolled: 5-line block ×5, first 2 shown]
	v_mov_b32_e32 v60, 2
	s_mov_b32 s9, exec_lo
	v_cmpx_nle_f32_e64 0x3f400000, |v59|
; %bb.275:
	v_cmp_le_f32_e64 s10, 0x3e800000, |v59|
	s_delay_alu instid0(VALU_DEP_1)
	v_cndmask_b32_e64 v60, 0, 1, s10
; %bb.276:
	s_or_b32 exec_lo, exec_lo, s9
.LBB10_277:
	s_delay_alu instid0(SALU_CYCLE_1)
	s_or_b32 exec_lo, exec_lo, s8
.LBB10_278:
	s_delay_alu instid0(SALU_CYCLE_1)
	s_or_b32 exec_lo, exec_lo, s7
.LBB10_279:
	s_delay_alu instid0(SALU_CYCLE_1)
	s_or_b32 exec_lo, exec_lo, s6
.LBB10_280:
	s_delay_alu instid0(SALU_CYCLE_1)
	s_or_b32 exec_lo, exec_lo, s3
.LBB10_281:
	s_delay_alu instid0(SALU_CYCLE_1) | instskip(SKIP_2) | instid1(VALU_DEP_1)
	s_or_b32 exec_lo, exec_lo, s2
	v_mul_f32_e32 v33, v10, v33
	s_mov_b32 s2, exec_lo
	v_cmpx_nle_f32_e64 0x40a00000, |v33|
	s_cbranch_execz .LBB10_293
; %bb.282:
	v_mov_b32_e32 v36, 6
	s_mov_b32 s3, exec_lo
	v_cmpx_nle_f32_e64 0x40600000, |v33|
	s_cbranch_execz .LBB10_292
; %bb.283:
	v_mov_b32_e32 v36, 5
	;; [unrolled: 5-line block ×5, first 2 shown]
	s_mov_b32 s9, exec_lo
	v_cmpx_nle_f32_e64 0x3f400000, |v33|
; %bb.287:
	v_cmp_le_f32_e64 s10, 0x3e800000, |v33|
	s_delay_alu instid0(VALU_DEP_1)
	v_cndmask_b32_e64 v36, 0, 1, s10
; %bb.288:
	s_or_b32 exec_lo, exec_lo, s9
.LBB10_289:
	s_delay_alu instid0(SALU_CYCLE_1)
	s_or_b32 exec_lo, exec_lo, s8
.LBB10_290:
	s_delay_alu instid0(SALU_CYCLE_1)
	s_or_b32 exec_lo, exec_lo, s7
.LBB10_291:
	s_delay_alu instid0(SALU_CYCLE_1)
	s_or_b32 exec_lo, exec_lo, s6
.LBB10_292:
	s_delay_alu instid0(SALU_CYCLE_1)
	s_or_b32 exec_lo, exec_lo, s3
.LBB10_293:
	s_delay_alu instid0(SALU_CYCLE_1) | instskip(SKIP_3) | instid1(VALU_DEP_2)
	s_or_b32 exec_lo, exec_lo, s2
	v_dual_mul_f32 v62, v10, v31 :: v_dual_mov_b32 v31, 7
	v_mov_b32_e32 v61, 7
	s_mov_b32 s2, exec_lo
	v_cmpx_nle_f32_e64 0x40a00000, |v62|
	s_cbranch_execz .LBB10_305
; %bb.294:
	v_mov_b32_e32 v61, 6
	s_mov_b32 s3, exec_lo
	v_cmpx_nle_f32_e64 0x40600000, |v62|
	s_cbranch_execz .LBB10_304
; %bb.295:
	;; [unrolled: 5-line block ×5, first 2 shown]
	v_mov_b32_e32 v61, 2
	s_mov_b32 s9, exec_lo
	v_cmpx_nle_f32_e64 0x3f400000, |v62|
; %bb.299:
	v_cmp_le_f32_e64 s10, 0x3e800000, |v62|
	s_delay_alu instid0(VALU_DEP_1)
	v_cndmask_b32_e64 v61, 0, 1, s10
; %bb.300:
	s_or_b32 exec_lo, exec_lo, s9
.LBB10_301:
	s_delay_alu instid0(SALU_CYCLE_1)
	s_or_b32 exec_lo, exec_lo, s8
.LBB10_302:
	s_delay_alu instid0(SALU_CYCLE_1)
	s_or_b32 exec_lo, exec_lo, s7
.LBB10_303:
	s_delay_alu instid0(SALU_CYCLE_1)
	s_or_b32 exec_lo, exec_lo, s6
.LBB10_304:
	s_delay_alu instid0(SALU_CYCLE_1)
	s_or_b32 exec_lo, exec_lo, s3
.LBB10_305:
	s_delay_alu instid0(SALU_CYCLE_1) | instskip(SKIP_2) | instid1(VALU_DEP_1)
	s_or_b32 exec_lo, exec_lo, s2
	v_mul_f32_e32 v27, v10, v27
	s_mov_b32 s2, exec_lo
	v_cmpx_nle_f32_e64 0x40a00000, |v27|
	s_cbranch_execz .LBB10_317
; %bb.306:
	v_mov_b32_e32 v31, 6
	s_mov_b32 s3, exec_lo
	v_cmpx_nle_f32_e64 0x40600000, |v27|
	s_cbranch_execz .LBB10_316
; %bb.307:
	v_mov_b32_e32 v31, 5
	;; [unrolled: 5-line block ×5, first 2 shown]
	s_mov_b32 s9, exec_lo
	v_cmpx_nle_f32_e64 0x3f400000, |v27|
; %bb.311:
	v_cmp_le_f32_e64 s10, 0x3e800000, |v27|
	s_delay_alu instid0(VALU_DEP_1)
	v_cndmask_b32_e64 v31, 0, 1, s10
; %bb.312:
	s_or_b32 exec_lo, exec_lo, s9
.LBB10_313:
	s_delay_alu instid0(SALU_CYCLE_1)
	s_or_b32 exec_lo, exec_lo, s8
.LBB10_314:
	s_delay_alu instid0(SALU_CYCLE_1)
	s_or_b32 exec_lo, exec_lo, s7
.LBB10_315:
	s_delay_alu instid0(SALU_CYCLE_1)
	s_or_b32 exec_lo, exec_lo, s6
.LBB10_316:
	s_delay_alu instid0(SALU_CYCLE_1)
	s_or_b32 exec_lo, exec_lo, s3
.LBB10_317:
	s_delay_alu instid0(SALU_CYCLE_1) | instskip(SKIP_3) | instid1(VALU_DEP_2)
	s_or_b32 exec_lo, exec_lo, s2
	v_dual_mul_f32 v64, v10, v25 :: v_dual_mov_b32 v25, 7
	v_mov_b32_e32 v63, 7
	s_mov_b32 s2, exec_lo
	v_cmpx_nle_f32_e64 0x40a00000, |v64|
	s_cbranch_execz .LBB10_329
; %bb.318:
	v_mov_b32_e32 v63, 6
	s_mov_b32 s3, exec_lo
	v_cmpx_nle_f32_e64 0x40600000, |v64|
	s_cbranch_execz .LBB10_328
; %bb.319:
	;; [unrolled: 5-line block ×5, first 2 shown]
	v_mov_b32_e32 v63, 2
	s_mov_b32 s9, exec_lo
	v_cmpx_nle_f32_e64 0x3f400000, |v64|
; %bb.323:
	v_cmp_le_f32_e64 s10, 0x3e800000, |v64|
	s_delay_alu instid0(VALU_DEP_1)
	v_cndmask_b32_e64 v63, 0, 1, s10
; %bb.324:
	s_or_b32 exec_lo, exec_lo, s9
.LBB10_325:
	s_delay_alu instid0(SALU_CYCLE_1)
	s_or_b32 exec_lo, exec_lo, s8
.LBB10_326:
	s_delay_alu instid0(SALU_CYCLE_1)
	s_or_b32 exec_lo, exec_lo, s7
.LBB10_327:
	s_delay_alu instid0(SALU_CYCLE_1)
	s_or_b32 exec_lo, exec_lo, s6
.LBB10_328:
	s_delay_alu instid0(SALU_CYCLE_1)
	s_or_b32 exec_lo, exec_lo, s3
.LBB10_329:
	s_delay_alu instid0(SALU_CYCLE_1) | instskip(SKIP_2) | instid1(VALU_DEP_1)
	s_or_b32 exec_lo, exec_lo, s2
	v_mul_f32_e32 v21, v10, v21
	s_mov_b32 s2, exec_lo
	v_cmpx_nle_f32_e64 0x40a00000, |v21|
	s_cbranch_execz .LBB10_341
; %bb.330:
	v_mov_b32_e32 v25, 6
	s_mov_b32 s3, exec_lo
	v_cmpx_nle_f32_e64 0x40600000, |v21|
	s_cbranch_execz .LBB10_340
; %bb.331:
	v_mov_b32_e32 v25, 5
	;; [unrolled: 5-line block ×5, first 2 shown]
	s_mov_b32 s9, exec_lo
	v_cmpx_nle_f32_e64 0x3f400000, |v21|
; %bb.335:
	v_cmp_le_f32_e64 s10, 0x3e800000, |v21|
	s_delay_alu instid0(VALU_DEP_1)
	v_cndmask_b32_e64 v25, 0, 1, s10
; %bb.336:
	s_or_b32 exec_lo, exec_lo, s9
.LBB10_337:
	s_delay_alu instid0(SALU_CYCLE_1)
	s_or_b32 exec_lo, exec_lo, s8
.LBB10_338:
	s_delay_alu instid0(SALU_CYCLE_1)
	s_or_b32 exec_lo, exec_lo, s7
.LBB10_339:
	s_delay_alu instid0(SALU_CYCLE_1)
	s_or_b32 exec_lo, exec_lo, s6
.LBB10_340:
	s_delay_alu instid0(SALU_CYCLE_1)
	s_or_b32 exec_lo, exec_lo, s3
.LBB10_341:
	s_delay_alu instid0(SALU_CYCLE_1) | instskip(SKIP_3) | instid1(VALU_DEP_2)
	s_or_b32 exec_lo, exec_lo, s2
	v_dual_mul_f32 v65, v10, v19 :: v_dual_mov_b32 v66, 7
	v_mov_b32_e32 v19, 7
	s_mov_b32 s2, exec_lo
	v_cmpx_nle_f32_e64 0x40a00000, |v65|
	s_cbranch_execz .LBB10_353
; %bb.342:
	v_mov_b32_e32 v66, 6
	s_mov_b32 s3, exec_lo
	v_cmpx_nle_f32_e64 0x40600000, |v65|
	s_cbranch_execz .LBB10_352
; %bb.343:
	;; [unrolled: 5-line block ×5, first 2 shown]
	v_mov_b32_e32 v66, 2
	s_mov_b32 s9, exec_lo
	v_cmpx_nle_f32_e64 0x3f400000, |v65|
; %bb.347:
	v_cmp_le_f32_e64 s10, 0x3e800000, |v65|
	s_delay_alu instid0(VALU_DEP_1)
	v_cndmask_b32_e64 v66, 0, 1, s10
; %bb.348:
	s_or_b32 exec_lo, exec_lo, s9
.LBB10_349:
	s_delay_alu instid0(SALU_CYCLE_1)
	s_or_b32 exec_lo, exec_lo, s8
.LBB10_350:
	s_delay_alu instid0(SALU_CYCLE_1)
	s_or_b32 exec_lo, exec_lo, s7
.LBB10_351:
	s_delay_alu instid0(SALU_CYCLE_1)
	s_or_b32 exec_lo, exec_lo, s6
.LBB10_352:
	s_delay_alu instid0(SALU_CYCLE_1)
	s_or_b32 exec_lo, exec_lo, s3
.LBB10_353:
	s_delay_alu instid0(SALU_CYCLE_1) | instskip(SKIP_2) | instid1(VALU_DEP_1)
	s_or_b32 exec_lo, exec_lo, s2
	v_mul_f32_e32 v15, v10, v15
	s_mov_b32 s2, exec_lo
	v_cmpx_nle_f32_e64 0x40a00000, |v15|
	s_cbranch_execz .LBB10_365
; %bb.354:
	v_mov_b32_e32 v19, 6
	s_mov_b32 s3, exec_lo
	v_cmpx_nle_f32_e64 0x40600000, |v15|
	s_cbranch_execz .LBB10_364
; %bb.355:
	v_mov_b32_e32 v19, 5
	;; [unrolled: 5-line block ×5, first 2 shown]
	s_mov_b32 s9, exec_lo
	v_cmpx_nle_f32_e64 0x3f400000, |v15|
; %bb.359:
	v_cmp_le_f32_e64 s10, 0x3e800000, |v15|
	s_delay_alu instid0(VALU_DEP_1)
	v_cndmask_b32_e64 v19, 0, 1, s10
; %bb.360:
	s_or_b32 exec_lo, exec_lo, s9
.LBB10_361:
	s_delay_alu instid0(SALU_CYCLE_1)
	s_or_b32 exec_lo, exec_lo, s8
.LBB10_362:
	s_delay_alu instid0(SALU_CYCLE_1)
	s_or_b32 exec_lo, exec_lo, s7
.LBB10_363:
	s_delay_alu instid0(SALU_CYCLE_1)
	s_or_b32 exec_lo, exec_lo, s6
.LBB10_364:
	s_delay_alu instid0(SALU_CYCLE_1)
	s_or_b32 exec_lo, exec_lo, s3
.LBB10_365:
	s_delay_alu instid0(SALU_CYCLE_1) | instskip(SKIP_4) | instid1(VALU_DEP_2)
	s_or_b32 exec_lo, exec_lo, s2
	s_load_b64 s[2:3], s[0:1], 0x10
	v_dual_mul_f32 v68, v10, v13 :: v_dual_mov_b32 v13, 7
	v_mov_b32_e32 v67, 7
	s_mov_b32 s6, exec_lo
	v_cmpx_nle_f32_e64 0x40a00000, |v68|
	s_cbranch_execz .LBB10_377
; %bb.366:
	v_mov_b32_e32 v67, 6
	s_mov_b32 s7, exec_lo
	v_cmpx_nle_f32_e64 0x40600000, |v68|
	s_cbranch_execz .LBB10_376
; %bb.367:
	;; [unrolled: 5-line block ×5, first 2 shown]
	v_mov_b32_e32 v67, 2
	s_mov_b32 s11, exec_lo
	v_cmpx_nle_f32_e64 0x3f400000, |v68|
; %bb.371:
	v_cmp_le_f32_e64 s12, 0x3e800000, |v68|
	s_delay_alu instid0(VALU_DEP_1)
	v_cndmask_b32_e64 v67, 0, 1, s12
; %bb.372:
	s_or_b32 exec_lo, exec_lo, s11
.LBB10_373:
	s_delay_alu instid0(SALU_CYCLE_1)
	s_or_b32 exec_lo, exec_lo, s10
.LBB10_374:
	s_delay_alu instid0(SALU_CYCLE_1)
	s_or_b32 exec_lo, exec_lo, s9
.LBB10_375:
	s_delay_alu instid0(SALU_CYCLE_1)
	s_or_b32 exec_lo, exec_lo, s8
.LBB10_376:
	s_delay_alu instid0(SALU_CYCLE_1)
	s_or_b32 exec_lo, exec_lo, s7
.LBB10_377:
	s_delay_alu instid0(SALU_CYCLE_1) | instskip(SKIP_3) | instid1(VALU_DEP_1)
	s_or_b32 exec_lo, exec_lo, s6
	s_load_b64 s[0:1], s[0:1], 0x8
	v_mul_f32_e32 v8, v10, v8
	s_mov_b32 s6, exec_lo
	v_cmpx_nle_f32_e64 0x40a00000, |v8|
	s_cbranch_execz .LBB10_389
; %bb.378:
	v_mov_b32_e32 v13, 6
	s_mov_b32 s7, exec_lo
	v_cmpx_nle_f32_e64 0x40600000, |v8|
	s_cbranch_execz .LBB10_388
; %bb.379:
	v_mov_b32_e32 v13, 5
	s_mov_b32 s8, exec_lo
	v_cmpx_nle_f32_e64 0x40200000, |v8|
	s_cbranch_execz .LBB10_387
; %bb.380:
	v_mov_b32_e32 v13, 4
	s_mov_b32 s9, exec_lo
	v_cmpx_nle_f32_e64 0x3fe00000, |v8|
	s_cbranch_execz .LBB10_386
; %bb.381:
	v_mov_b32_e32 v13, 3
	s_mov_b32 s10, exec_lo
	v_cmpx_nle_f32_e64 0x3fa00000, |v8|
	s_cbranch_execz .LBB10_385
; %bb.382:
	v_mov_b32_e32 v13, 2
	s_mov_b32 s11, exec_lo
	v_cmpx_nle_f32_e64 0x3f400000, |v8|
; %bb.383:
	v_cmp_le_f32_e64 s12, 0x3e800000, |v8|
	s_delay_alu instid0(VALU_DEP_1)
	v_cndmask_b32_e64 v13, 0, 1, s12
; %bb.384:
	s_or_b32 exec_lo, exec_lo, s11
.LBB10_385:
	s_delay_alu instid0(SALU_CYCLE_1)
	s_or_b32 exec_lo, exec_lo, s10
.LBB10_386:
	s_delay_alu instid0(SALU_CYCLE_1)
	s_or_b32 exec_lo, exec_lo, s9
.LBB10_387:
	s_delay_alu instid0(SALU_CYCLE_1)
	s_or_b32 exec_lo, exec_lo, s8
.LBB10_388:
	s_delay_alu instid0(SALU_CYCLE_1)
	s_or_b32 exec_lo, exec_lo, s7
.LBB10_389:
	s_delay_alu instid0(SALU_CYCLE_1)
	s_or_b32 exec_lo, exec_lo, s6
	v_cmp_gt_f32_e32 vcc_lo, 0, v68
	v_lshlrev_b16 v6, 4, v6
	v_lshlrev_b16 v9, 4, v9
	;; [unrolled: 1-line block ×4, first 2 shown]
	v_cndmask_b32_e64 v10, 0, 1, vcc_lo
	v_cmp_gt_f32_e32 vcc_lo, 0, v65
	v_lshlrev_b16 v19, 4, v19
	s_lshr_b32 s6, s4, 31
	s_delay_alu instid0(SALU_CYCLE_1) | instskip(SKIP_4) | instid1(VALU_DEP_3)
	s_add_i32 s4, s4, s6
	v_cndmask_b32_e64 v65, 0, 1, vcc_lo
	v_cmp_gt_f32_e32 vcc_lo, 0, v64
	v_lshlrev_b16 v10, 3, v10
	s_ashr_i32 s4, s4, 1
	v_lshlrev_b16 v65, 3, v65
	v_cndmask_b32_e64 v64, 0, 1, vcc_lo
	v_cmp_gt_f32_e32 vcc_lo, 0, v62
	v_or_b32_e32 v10, v10, v67
	s_ashr_i32 s6, s4, 31
	v_or_b32_e32 v65, v65, v66
	v_lshlrev_b16 v64, 3, v64
	v_cndmask_b32_e64 v62, 0, 1, vcc_lo
	v_cmp_gt_f32_e32 vcc_lo, 0, v59
	v_mul_lo_u32 v1, v1, s4
	s_delay_alu instid0(VALU_DEP_4) | instskip(NEXT) | instid1(VALU_DEP_4)
	v_or_b32_e32 v63, v64, v63
	v_lshlrev_b16 v62, 3, v62
	v_cndmask_b32_e64 v59, 0, 1, vcc_lo
	v_cmp_gt_f32_e32 vcc_lo, 0, v58
	s_delay_alu instid0(VALU_DEP_3) | instskip(NEXT) | instid1(VALU_DEP_3)
	v_or_b32_e32 v61, v62, v61
	v_lshlrev_b16 v59, 3, v59
	v_cndmask_b32_e64 v58, 0, 1, vcc_lo
	v_cmp_gt_f32_e32 vcc_lo, 0, v56
	s_delay_alu instid0(VALU_DEP_3) | instskip(NEXT) | instid1(VALU_DEP_3)
	;; [unrolled: 5-line block ×10, first 2 shown]
	v_or_b32_e32 v11, v11, v12
	v_lshlrev_b16 v24, 3, v24
	v_cndmask_b32_e64 v18, 0, 1, vcc_lo
	v_cmp_gt_f32_e32 vcc_lo, 0, v5
	s_delay_alu instid0(VALU_DEP_2) | instskip(SKIP_2) | instid1(VALU_DEP_2)
	v_lshlrev_b16 v18, 3, v18
	v_cndmask_b32_e64 v5, 0, 1, vcc_lo
	v_cmp_gt_f32_e32 vcc_lo, 0, v7
	v_lshlrev_b16 v5, 3, v5
	v_cndmask_b32_e64 v7, 0, 1, vcc_lo
	v_cmp_gt_f32_e32 vcc_lo, 0, v14
	s_delay_alu instid0(VALU_DEP_3) | instskip(NEXT) | instid1(VALU_DEP_3)
	v_or_b32_e32 v4, v5, v4
	v_lshlrev_b16 v7, 7, v7
	v_cndmask_b32_e64 v12, 0, 1, vcc_lo
	v_cmp_gt_f32_e32 vcc_lo, 0, v20
	s_delay_alu instid0(VALU_DEP_3) | instskip(NEXT) | instid1(VALU_DEP_3)
	v_or_b32_e32 v5, v7, v6
	v_lshlrev_b16 v12, 7, v12
	v_cndmask_b32_e64 v14, 0, 1, vcc_lo
	v_lshlrev_b16 v7, 4, v17
	v_cmp_gt_f32_e32 vcc_lo, 0, v26
	v_or_b32_e32 v4, v5, v4
	v_or_b32_e32 v6, v12, v9
	v_lshlrev_b16 v9, 7, v14
	v_or_b32_e32 v14, v18, v16
	v_lshlrev_b16 v17, 4, v28
	v_lshlrev_b16 v18, 4, v34
	v_or_b32_e32 v5, v6, v11
	v_or_b32_e32 v6, v9, v7
	v_cndmask_b32_e64 v9, 0, 1, vcc_lo
	v_cmp_gt_f32_e32 vcc_lo, 0, v32
	v_lshlrev_b16 v7, 4, v22
	v_or_b32_e32 v12, v24, v23
	v_or_b32_e32 v6, v6, v14
	v_lshlrev_b16 v9, 7, v9
	v_cndmask_b32_e64 v11, 0, 1, vcc_lo
	v_cmp_gt_f32_e32 vcc_lo, 0, v38
	v_lshlrev_b16 v14, 4, v46
	v_lshlrev_b16 v22, 4, v48
	v_or_b32_e32 v7, v9, v7
	v_lshlrev_b16 v11, 7, v11
	v_cndmask_b32_e64 v16, 0, 1, vcc_lo
	v_cmp_gt_f32_e32 vcc_lo, 0, v42
	v_lshlrev_b16 v5, 8, v5
	v_or_b32_e32 v7, v7, v12
	v_or_b32_e32 v9, v11, v17
	v_lshlrev_b16 v16, 7, v16
	v_cndmask_b32_e64 v20, 0, 1, vcc_lo
	v_cmp_gt_f32_e32 vcc_lo, 0, v47
	v_or_b32_e32 v4, v4, v5
	v_or_b32_e32 v9, v9, v29
	;; [unrolled: 1-line block ×3, first 2 shown]
	v_lshlrev_b16 v16, 4, v40
	v_lshlrev_b16 v17, 7, v20
	;; [unrolled: 1-line block ×4, first 2 shown]
	v_or_b32_e32 v11, v11, v35
	s_delay_alu instid0(VALU_DEP_4) | instskip(SKIP_2) | instid1(VALU_DEP_4)
	v_or_b32_e32 v12, v17, v16
	v_cndmask_b32_e64 v16, 0, 1, vcc_lo
	v_cmp_gt_f32_e32 vcc_lo, 0, v52
	v_lshlrev_b16 v11, 8, v11
	s_delay_alu instid0(VALU_DEP_4) | instskip(NEXT) | instid1(VALU_DEP_4)
	v_or_b32_e32 v12, v12, v43
	v_lshlrev_b16 v16, 7, v16
	v_cndmask_b32_e64 v17, 0, 1, vcc_lo
	v_cmp_gt_f32_e32 vcc_lo, 0, v45
	v_or_b32_e32 v9, v9, v11
	s_delay_alu instid0(VALU_DEP_4) | instskip(NEXT) | instid1(VALU_DEP_4)
	v_or_b32_e32 v14, v16, v14
	v_lshlrev_b16 v17, 7, v17
	v_cndmask_b32_e64 v18, 0, 1, vcc_lo
	v_cmp_gt_f32_e32 vcc_lo, 0, v39
	s_delay_alu instid0(VALU_DEP_4) | instskip(NEXT) | instid1(VALU_DEP_4)
	v_or_b32_e32 v14, v14, v49
	v_or_b32_e32 v16, v17, v20
	s_delay_alu instid0(VALU_DEP_4)
	v_lshlrev_b16 v18, 7, v18
	v_cndmask_b32_e64 v23, 0, 1, vcc_lo
	v_cmp_gt_f32_e32 vcc_lo, 0, v33
	v_lshlrev_b16 v11, 8, v14
	v_or_b32_e32 v16, v16, v53
	v_or_b32_e32 v17, v18, v22
	v_lshlrev_b16 v18, 4, v41
	v_cndmask_b32_e64 v22, 0, 1, vcc_lo
	v_cmp_gt_f32_e32 vcc_lo, 0, v21
	v_lshlrev_b16 v20, 7, v23
	v_lshlrev_b16 v23, 4, v31
	v_or_b32_e32 v17, v17, v55
	v_and_b32_e32 v14, 0xffff, v9
	v_cndmask_b32_e64 v21, 0, 1, vcc_lo
	v_cmp_gt_f32_e32 vcc_lo, 0, v27
	v_or_b32_e32 v18, v20, v18
	v_lshlrev_b16 v20, 4, v36
	s_delay_alu instid0(VALU_DEP_4) | instskip(SKIP_3) | instid1(VALU_DEP_4)
	v_lshlrev_b16 v21, 7, v21
	v_cndmask_b32_e64 v24, 0, 1, vcc_lo
	v_cmp_gt_f32_e32 vcc_lo, 0, v8
	v_or_b32_e32 v18, v18, v57
	v_or_b32_e32 v21, v21, v25
	s_delay_alu instid0(VALU_DEP_4) | instskip(SKIP_2) | instid1(VALU_DEP_2)
	v_lshlrev_b16 v24, 7, v24
	v_cndmask_b32_e64 v8, 0, 1, vcc_lo
	v_cmp_gt_f32_e32 vcc_lo, 0, v15
	v_lshlrev_b16 v8, 7, v8
	v_cndmask_b32_e64 v15, 0, 1, vcc_lo
	s_delay_alu instid0(VALU_DEP_2) | instskip(NEXT) | instid1(VALU_DEP_2)
	v_or_b32_e32 v8, v8, v13
	v_lshlrev_b16 v15, 7, v15
	v_lshlrev_b16 v13, 7, v22
	v_or_b32_e32 v22, v24, v23
	s_delay_alu instid0(VALU_DEP_4) | instskip(NEXT) | instid1(VALU_DEP_4)
	v_or_b32_e32 v8, v8, v10
	v_or_b32_e32 v15, v15, v19
	;; [unrolled: 1-line block ×5, first 2 shown]
	v_lshlrev_b16 v8, 8, v8
	v_or_b32_e32 v15, v15, v65
	v_lshlrev_b16 v19, 8, v19
	v_lshrrev_b32_e32 v20, 23, v3
	v_or_b32_e32 v10, v10, v59
	s_delay_alu instid0(VALU_DEP_4) | instskip(NEXT) | instid1(VALU_DEP_4)
	v_or_b32_e32 v8, v15, v8
	v_or_b32_e32 v3, v13, v19
	v_lshlrev_b16 v13, 8, v17
	s_delay_alu instid0(VALU_DEP_4) | instskip(NEXT) | instid1(VALU_DEP_4)
	v_lshlrev_b16 v10, 8, v10
	v_lshlrev_b32_e32 v15, 16, v8
	s_delay_alu instid0(VALU_DEP_4) | instskip(NEXT) | instid1(VALU_DEP_4)
	v_and_b32_e32 v3, 0xffff, v3
	v_or_b32_e32 v8, v16, v13
	v_mul_lo_u32 v16, v0, s6
	v_or_b32_e32 v10, v18, v10
	s_delay_alu instid0(VALU_DEP_3)
	v_and_b32_e32 v13, 0xffff, v8
	v_or_b32_e32 v8, v12, v11
	v_and_b32_e32 v12, 0xffff, v4
	v_or_b32_e32 v4, v6, v5
	s_waitcnt lgkmcnt(0)
	v_mad_u64_u32 v[6:7], null, v0, s4, s[0:1]
	v_lshlrev_b32_e32 v11, 16, v8
	v_mad_u64_u32 v[8:9], null, v0, s5, v[2:3]
	v_lshlrev_b32_e32 v0, 16, v4
	v_lshlrev_b32_e32 v9, 4, v2
	;; [unrolled: 1-line block ×3, first 2 shown]
	v_add3_u32 v1, v1, v7, v16
	v_or_b32_e32 v5, v3, v15
	v_or_b32_e32 v2, v12, v0
	v_ashrrev_i32_e32 v7, 31, v8
	v_add_co_u32 v0, vcc_lo, v6, v9
	v_add_co_ci_u32_e32 v1, vcc_lo, 0, v1, vcc_lo
	v_add_co_u32 v6, vcc_lo, s2, v8
	v_or_b32_e32 v4, v13, v10
	v_or_b32_e32 v3, v14, v11
	v_add_co_ci_u32_e32 v7, vcc_lo, s3, v7, vcc_lo
	global_store_b128 v[0:1], v[2:5], off
	global_store_b8 v[6:7], v20, off
.LBB10_390:
	s_nop 0
	s_sendmsg sendmsg(MSG_DEALLOC_VGPRS)
	s_endpgm
	.section	.rodata,"a",@progbits
	.p2align	6, 0x0
	.amdhsa_kernel _ZN5aiter18quant_mxfp4_kernelI6__halfLNS_16MxScaleRoundModeE1ELb0ELb0ELb0EEEvPKT_PhPfliiib
		.amdhsa_group_segment_fixed_size 0
		.amdhsa_private_segment_fixed_size 0
		.amdhsa_kernarg_size 304
		.amdhsa_user_sgpr_count 15
		.amdhsa_user_sgpr_dispatch_ptr 0
		.amdhsa_user_sgpr_queue_ptr 0
		.amdhsa_user_sgpr_kernarg_segment_ptr 1
		.amdhsa_user_sgpr_dispatch_id 0
		.amdhsa_user_sgpr_private_segment_size 0
		.amdhsa_wavefront_size32 1
		.amdhsa_uses_dynamic_stack 0
		.amdhsa_enable_private_segment 0
		.amdhsa_system_sgpr_workgroup_id_x 1
		.amdhsa_system_sgpr_workgroup_id_y 0
		.amdhsa_system_sgpr_workgroup_id_z 0
		.amdhsa_system_sgpr_workgroup_info 0
		.amdhsa_system_vgpr_workitem_id 0
		.amdhsa_next_free_vgpr 69
		.amdhsa_next_free_sgpr 16
		.amdhsa_reserve_vcc 1
		.amdhsa_float_round_mode_32 0
		.amdhsa_float_round_mode_16_64 0
		.amdhsa_float_denorm_mode_32 3
		.amdhsa_float_denorm_mode_16_64 3
		.amdhsa_dx10_clamp 1
		.amdhsa_ieee_mode 1
		.amdhsa_fp16_overflow 0
		.amdhsa_workgroup_processor_mode 1
		.amdhsa_memory_ordered 1
		.amdhsa_forward_progress 0
		.amdhsa_shared_vgpr_count 0
		.amdhsa_exception_fp_ieee_invalid_op 0
		.amdhsa_exception_fp_denorm_src 0
		.amdhsa_exception_fp_ieee_div_zero 0
		.amdhsa_exception_fp_ieee_overflow 0
		.amdhsa_exception_fp_ieee_underflow 0
		.amdhsa_exception_fp_ieee_inexact 0
		.amdhsa_exception_int_div_zero 0
	.end_amdhsa_kernel
	.section	.text._ZN5aiter18quant_mxfp4_kernelI6__halfLNS_16MxScaleRoundModeE1ELb0ELb0ELb0EEEvPKT_PhPfliiib,"axG",@progbits,_ZN5aiter18quant_mxfp4_kernelI6__halfLNS_16MxScaleRoundModeE1ELb0ELb0ELb0EEEvPKT_PhPfliiib,comdat
.Lfunc_end10:
	.size	_ZN5aiter18quant_mxfp4_kernelI6__halfLNS_16MxScaleRoundModeE1ELb0ELb0ELb0EEEvPKT_PhPfliiib, .Lfunc_end10-_ZN5aiter18quant_mxfp4_kernelI6__halfLNS_16MxScaleRoundModeE1ELb0ELb0ELb0EEEvPKT_PhPfliiib
                                        ; -- End function
	.section	.AMDGPU.csdata,"",@progbits
; Kernel info:
; codeLenInByte = 9948
; NumSgprs: 18
; NumVgprs: 69
; ScratchSize: 0
; MemoryBound: 0
; FloatMode: 240
; IeeeMode: 1
; LDSByteSize: 0 bytes/workgroup (compile time only)
; SGPRBlocks: 2
; VGPRBlocks: 8
; NumSGPRsForWavesPerEU: 18
; NumVGPRsForWavesPerEU: 69
; Occupancy: 16
; WaveLimiterHint : 0
; COMPUTE_PGM_RSRC2:SCRATCH_EN: 0
; COMPUTE_PGM_RSRC2:USER_SGPR: 15
; COMPUTE_PGM_RSRC2:TRAP_HANDLER: 0
; COMPUTE_PGM_RSRC2:TGID_X_EN: 1
; COMPUTE_PGM_RSRC2:TGID_Y_EN: 0
; COMPUTE_PGM_RSRC2:TGID_Z_EN: 0
; COMPUTE_PGM_RSRC2:TIDIG_COMP_CNT: 0
	.section	.text._ZN5aiter18quant_mxfp4_kernelI6__halfLNS_16MxScaleRoundModeE2ELb1ELb0ELb1EEEvPKT_PhPfliiib,"axG",@progbits,_ZN5aiter18quant_mxfp4_kernelI6__halfLNS_16MxScaleRoundModeE2ELb1ELb0ELb1EEEvPKT_PhPfliiib,comdat
	.protected	_ZN5aiter18quant_mxfp4_kernelI6__halfLNS_16MxScaleRoundModeE2ELb1ELb0ELb1EEEvPKT_PhPfliiib ; -- Begin function _ZN5aiter18quant_mxfp4_kernelI6__halfLNS_16MxScaleRoundModeE2ELb1ELb0ELb1EEEvPKT_PhPfliiib
	.globl	_ZN5aiter18quant_mxfp4_kernelI6__halfLNS_16MxScaleRoundModeE2ELb1ELb0ELb1EEEvPKT_PhPfliiib
	.p2align	8
	.type	_ZN5aiter18quant_mxfp4_kernelI6__halfLNS_16MxScaleRoundModeE2ELb1ELb0ELb1EEEvPKT_PhPfliiib,@function
_ZN5aiter18quant_mxfp4_kernelI6__halfLNS_16MxScaleRoundModeE2ELb1ELb0ELb1EEEvPKT_PhPfliiib: ; @_ZN5aiter18quant_mxfp4_kernelI6__halfLNS_16MxScaleRoundModeE2ELb1ELb0ELb1EEEvPKT_PhPfliiib
; %bb.0:
	s_clause 0x1
	s_load_b32 s2, s[0:1], 0x3c
	s_load_b128 s[4:7], s[0:1], 0x20
	v_mov_b32_e32 v1, 0
	s_mov_b32 s3, exec_lo
	s_delay_alu instid0(VALU_DEP_1) | instskip(SKIP_2) | instid1(SALU_CYCLE_1)
	v_mov_b32_e32 v4, v1
	s_waitcnt lgkmcnt(0)
	s_and_b32 s2, s2, 0xffff
	v_mad_u64_u32 v[2:3], null, s2, s15, v[0:1]
	s_ashr_i32 s2, s6, 31
                                        ; implicit-def: $vgpr0_vgpr1
	s_delay_alu instid0(VALU_DEP_1) | instid1(SALU_CYCLE_1)
	v_or_b32_e32 v5, s2, v3
	s_delay_alu instid0(VALU_DEP_1)
	v_cmpx_ne_u64_e32 0, v[4:5]
	s_xor_b32 s3, exec_lo, s3
	s_cbranch_execz .LBB11_2
; %bb.1:
	s_add_u32 s10, s6, s2
	s_mov_b32 s8, s2
	s_mov_b32 s9, s2
	s_addc_u32 s11, s2, s2
	s_delay_alu instid0(SALU_CYCLE_1) | instskip(NEXT) | instid1(SALU_CYCLE_1)
	s_xor_b64 s[10:11], s[10:11], s[8:9]
	v_cvt_f32_u32_e32 v0, s10
	v_cvt_f32_u32_e32 v1, s11
	s_sub_u32 s2, 0, s10
	s_subb_u32 s7, 0, s11
	s_delay_alu instid0(VALU_DEP_1) | instskip(NEXT) | instid1(VALU_DEP_1)
	v_fmamk_f32 v0, v1, 0x4f800000, v0
	v_rcp_f32_e32 v0, v0
	s_waitcnt_depctr 0xfff
	v_mul_f32_e32 v0, 0x5f7ffffc, v0
	s_delay_alu instid0(VALU_DEP_1) | instskip(NEXT) | instid1(VALU_DEP_1)
	v_mul_f32_e32 v1, 0x2f800000, v0
	v_trunc_f32_e32 v1, v1
	s_delay_alu instid0(VALU_DEP_1) | instskip(SKIP_1) | instid1(VALU_DEP_2)
	v_fmamk_f32 v0, v1, 0xcf800000, v0
	v_cvt_u32_f32_e32 v1, v1
	v_cvt_u32_f32_e32 v0, v0
	s_delay_alu instid0(VALU_DEP_2) | instskip(NEXT) | instid1(VALU_DEP_2)
	v_mul_lo_u32 v4, s2, v1
	v_mul_hi_u32 v5, s2, v0
	v_mul_lo_u32 v6, s7, v0
	s_delay_alu instid0(VALU_DEP_2) | instskip(SKIP_1) | instid1(VALU_DEP_2)
	v_add_nc_u32_e32 v4, v5, v4
	v_mul_lo_u32 v5, s2, v0
	v_add_nc_u32_e32 v4, v4, v6
	s_delay_alu instid0(VALU_DEP_2) | instskip(NEXT) | instid1(VALU_DEP_2)
	v_mul_hi_u32 v6, v0, v5
	v_mul_lo_u32 v7, v0, v4
	v_mul_hi_u32 v8, v0, v4
	v_mul_hi_u32 v9, v1, v5
	v_mul_lo_u32 v5, v1, v5
	v_mul_hi_u32 v10, v1, v4
	v_mul_lo_u32 v4, v1, v4
	v_add_co_u32 v6, vcc_lo, v6, v7
	v_add_co_ci_u32_e32 v7, vcc_lo, 0, v8, vcc_lo
	s_delay_alu instid0(VALU_DEP_2) | instskip(NEXT) | instid1(VALU_DEP_2)
	v_add_co_u32 v5, vcc_lo, v6, v5
	v_add_co_ci_u32_e32 v5, vcc_lo, v7, v9, vcc_lo
	v_add_co_ci_u32_e32 v6, vcc_lo, 0, v10, vcc_lo
	v_ashrrev_i32_e32 v9, 31, v3
	s_delay_alu instid0(VALU_DEP_3) | instskip(NEXT) | instid1(VALU_DEP_3)
	v_add_co_u32 v4, vcc_lo, v5, v4
	v_add_co_ci_u32_e32 v5, vcc_lo, 0, v6, vcc_lo
	s_delay_alu instid0(VALU_DEP_2) | instskip(NEXT) | instid1(VALU_DEP_2)
	v_add_co_u32 v0, vcc_lo, v0, v4
	v_add_co_ci_u32_e32 v1, vcc_lo, v1, v5, vcc_lo
	s_delay_alu instid0(VALU_DEP_2) | instskip(SKIP_1) | instid1(VALU_DEP_3)
	v_mul_hi_u32 v4, s2, v0
	v_mul_lo_u32 v6, s7, v0
	v_mul_lo_u32 v5, s2, v1
	s_delay_alu instid0(VALU_DEP_1) | instskip(SKIP_1) | instid1(VALU_DEP_2)
	v_add_nc_u32_e32 v4, v4, v5
	v_mul_lo_u32 v5, s2, v0
	v_add_nc_u32_e32 v4, v4, v6
	s_delay_alu instid0(VALU_DEP_2) | instskip(NEXT) | instid1(VALU_DEP_2)
	v_mul_hi_u32 v6, v0, v5
	v_mul_lo_u32 v7, v0, v4
	v_mul_hi_u32 v8, v0, v4
	v_mul_hi_u32 v10, v1, v5
	v_mul_lo_u32 v5, v1, v5
	v_mul_hi_u32 v11, v1, v4
	v_mul_lo_u32 v4, v1, v4
	v_add_co_u32 v6, vcc_lo, v6, v7
	v_add_co_ci_u32_e32 v7, vcc_lo, 0, v8, vcc_lo
	s_delay_alu instid0(VALU_DEP_2) | instskip(NEXT) | instid1(VALU_DEP_2)
	v_add_co_u32 v5, vcc_lo, v6, v5
	v_add_co_ci_u32_e32 v5, vcc_lo, v7, v10, vcc_lo
	v_add_co_ci_u32_e32 v6, vcc_lo, 0, v11, vcc_lo
	v_add_co_u32 v7, vcc_lo, v2, v9
	v_add_co_ci_u32_e32 v3, vcc_lo, v3, v9, vcc_lo
	s_delay_alu instid0(VALU_DEP_4) | instskip(NEXT) | instid1(VALU_DEP_4)
	v_add_co_u32 v4, vcc_lo, v5, v4
	v_add_co_ci_u32_e32 v5, vcc_lo, 0, v6, vcc_lo
	s_delay_alu instid0(VALU_DEP_4) | instskip(NEXT) | instid1(VALU_DEP_3)
	v_xor_b32_e32 v7, v7, v9
	v_add_co_u32 v6, vcc_lo, v0, v4
	s_delay_alu instid0(VALU_DEP_3) | instskip(SKIP_1) | instid1(VALU_DEP_3)
	v_add_co_ci_u32_e32 v8, vcc_lo, v1, v5, vcc_lo
	v_xor_b32_e32 v10, v3, v9
	v_mul_hi_u32 v11, v7, v6
	s_delay_alu instid0(VALU_DEP_3) | instskip(NEXT) | instid1(VALU_DEP_3)
	v_mad_u64_u32 v[0:1], null, v7, v8, 0
	v_mad_u64_u32 v[3:4], null, v10, v6, 0
	;; [unrolled: 1-line block ×3, first 2 shown]
	s_delay_alu instid0(VALU_DEP_3) | instskip(NEXT) | instid1(VALU_DEP_4)
	v_add_co_u32 v0, vcc_lo, v11, v0
	v_add_co_ci_u32_e32 v1, vcc_lo, 0, v1, vcc_lo
	s_delay_alu instid0(VALU_DEP_2) | instskip(NEXT) | instid1(VALU_DEP_2)
	v_add_co_u32 v0, vcc_lo, v0, v3
	v_add_co_ci_u32_e32 v0, vcc_lo, v1, v4, vcc_lo
	v_add_co_ci_u32_e32 v1, vcc_lo, 0, v6, vcc_lo
	s_delay_alu instid0(VALU_DEP_2) | instskip(NEXT) | instid1(VALU_DEP_2)
	v_add_co_u32 v3, vcc_lo, v0, v5
	v_add_co_ci_u32_e32 v4, vcc_lo, 0, v1, vcc_lo
	s_delay_alu instid0(VALU_DEP_2) | instskip(SKIP_1) | instid1(VALU_DEP_3)
	v_mul_lo_u32 v5, s11, v3
	v_mad_u64_u32 v[0:1], null, s10, v3, 0
	v_mul_lo_u32 v6, s10, v4
	s_delay_alu instid0(VALU_DEP_2) | instskip(NEXT) | instid1(VALU_DEP_2)
	v_sub_co_u32 v0, vcc_lo, v7, v0
	v_add3_u32 v1, v1, v6, v5
	s_delay_alu instid0(VALU_DEP_1) | instskip(NEXT) | instid1(VALU_DEP_1)
	v_sub_nc_u32_e32 v5, v10, v1
	v_subrev_co_ci_u32_e64 v5, s2, s11, v5, vcc_lo
	v_add_co_u32 v6, s2, v3, 2
	s_delay_alu instid0(VALU_DEP_1) | instskip(SKIP_3) | instid1(VALU_DEP_3)
	v_add_co_ci_u32_e64 v7, s2, 0, v4, s2
	v_sub_co_u32 v8, s2, v0, s10
	v_sub_co_ci_u32_e32 v1, vcc_lo, v10, v1, vcc_lo
	v_subrev_co_ci_u32_e64 v5, s2, 0, v5, s2
	v_cmp_le_u32_e32 vcc_lo, s10, v8
	s_delay_alu instid0(VALU_DEP_3) | instskip(SKIP_1) | instid1(VALU_DEP_4)
	v_cmp_eq_u32_e64 s2, s11, v1
	v_cndmask_b32_e64 v8, 0, -1, vcc_lo
	v_cmp_le_u32_e32 vcc_lo, s11, v5
	v_cndmask_b32_e64 v10, 0, -1, vcc_lo
	v_cmp_le_u32_e32 vcc_lo, s10, v0
	;; [unrolled: 2-line block ×3, first 2 shown]
	v_cndmask_b32_e64 v11, 0, -1, vcc_lo
	v_cmp_eq_u32_e32 vcc_lo, s11, v5
	s_delay_alu instid0(VALU_DEP_2) | instskip(SKIP_3) | instid1(VALU_DEP_3)
	v_cndmask_b32_e64 v0, v11, v0, s2
	v_cndmask_b32_e32 v5, v10, v8, vcc_lo
	v_add_co_u32 v8, vcc_lo, v3, 1
	v_add_co_ci_u32_e32 v10, vcc_lo, 0, v4, vcc_lo
	v_cmp_ne_u32_e32 vcc_lo, 0, v5
	s_delay_alu instid0(VALU_DEP_2) | instskip(NEXT) | instid1(VALU_DEP_4)
	v_cndmask_b32_e32 v1, v10, v7, vcc_lo
	v_cndmask_b32_e32 v5, v8, v6, vcc_lo
	v_cmp_ne_u32_e32 vcc_lo, 0, v0
	v_xor_b32_e32 v0, s8, v9
	s_delay_alu instid0(VALU_DEP_3) | instskip(SKIP_2) | instid1(VALU_DEP_3)
	v_cndmask_b32_e32 v3, v3, v5, vcc_lo
	v_cndmask_b32_e32 v1, v4, v1, vcc_lo
	v_xor_b32_e32 v4, s9, v9
	v_xor_b32_e32 v3, v3, v0
	s_delay_alu instid0(VALU_DEP_2) | instskip(NEXT) | instid1(VALU_DEP_2)
	v_xor_b32_e32 v1, v1, v4
	v_sub_co_u32 v0, vcc_lo, v3, v0
	s_delay_alu instid0(VALU_DEP_2)
	v_sub_co_ci_u32_e32 v1, vcc_lo, v1, v4, vcc_lo
.LBB11_2:
	s_and_not1_saveexec_b32 s2, s3
	s_cbranch_execz .LBB11_4
; %bb.3:
	v_cvt_f32_u32_e32 v0, s6
	s_sub_i32 s3, 0, s6
	s_delay_alu instid0(VALU_DEP_1) | instskip(SKIP_2) | instid1(VALU_DEP_1)
	v_rcp_iflag_f32_e32 v0, v0
	s_waitcnt_depctr 0xfff
	v_mul_f32_e32 v0, 0x4f7ffffe, v0
	v_cvt_u32_f32_e32 v0, v0
	s_delay_alu instid0(VALU_DEP_1) | instskip(NEXT) | instid1(VALU_DEP_1)
	v_mul_lo_u32 v1, s3, v0
	v_mul_hi_u32 v1, v0, v1
	s_delay_alu instid0(VALU_DEP_1) | instskip(NEXT) | instid1(VALU_DEP_1)
	v_add_nc_u32_e32 v0, v0, v1
	v_mul_hi_u32 v0, v2, v0
	s_delay_alu instid0(VALU_DEP_1) | instskip(SKIP_1) | instid1(VALU_DEP_2)
	v_mul_lo_u32 v1, v0, s6
	v_add_nc_u32_e32 v3, 1, v0
	v_sub_nc_u32_e32 v1, v2, v1
	s_delay_alu instid0(VALU_DEP_1) | instskip(SKIP_1) | instid1(VALU_DEP_2)
	v_subrev_nc_u32_e32 v4, s6, v1
	v_cmp_le_u32_e32 vcc_lo, s6, v1
	v_dual_cndmask_b32 v1, v1, v4 :: v_dual_cndmask_b32 v0, v0, v3
	s_delay_alu instid0(VALU_DEP_1) | instskip(NEXT) | instid1(VALU_DEP_2)
	v_cmp_le_u32_e32 vcc_lo, s6, v1
	v_add_nc_u32_e32 v3, 1, v0
	s_delay_alu instid0(VALU_DEP_1)
	v_dual_mov_b32 v1, 0 :: v_dual_cndmask_b32 v0, v0, v3
.LBB11_4:
	s_or_b32 exec_lo, exec_lo, s2
	s_load_b64 s[2:3], s[0:1], 0x18
	s_delay_alu instid0(VALU_DEP_1) | instskip(NEXT) | instid1(VALU_DEP_1)
	v_mad_u64_u32 v[3:4], null, v0, s6, 0
	v_sub_co_u32 v2, null, v2, v3
	s_waitcnt lgkmcnt(0)
	v_cmp_gt_i64_e32 vcc_lo, s[2:3], v[0:1]
	s_delay_alu instid0(VALU_DEP_2) | instskip(NEXT) | instid1(VALU_DEP_1)
	v_cmp_gt_i32_e64 s2, s5, v2
	s_and_b32 s2, vcc_lo, s2
	s_delay_alu instid0(SALU_CYCLE_1)
	s_and_saveexec_b32 s3, s2
	s_cbranch_execz .LBB11_390
; %bb.5:
	s_ashr_i32 s5, s4, 31
	s_load_b64 s[2:3], s[0:1], 0x0
	v_mul_lo_u32 v5, v1, s4
	v_mad_u64_u32 v[3:4], null, v0, s4, 0
	v_mul_lo_u32 v6, v0, s5
	s_delay_alu instid0(VALU_DEP_1) | instskip(SKIP_1) | instid1(VALU_DEP_2)
	v_add3_u32 v4, v4, v6, v5
	v_dual_mov_b32 v6, 0 :: v_dual_lshlrev_b32 v5, 5, v2
	v_lshlrev_b64 v[3:4], 1, v[3:4]
	s_delay_alu instid0(VALU_DEP_2) | instskip(SKIP_1) | instid1(VALU_DEP_2)
	v_lshlrev_b64 v[5:6], 1, v[5:6]
	s_waitcnt lgkmcnt(0)
	v_add_co_u32 v3, vcc_lo, s2, v3
	s_delay_alu instid0(VALU_DEP_3) | instskip(SKIP_1) | instid1(VALU_DEP_2)
	v_add_co_ci_u32_e32 v4, vcc_lo, s3, v4, vcc_lo
	s_mov_b32 s2, 0xc2fe0000
	v_add_co_u32 v7, vcc_lo, v3, v5
	s_delay_alu instid0(VALU_DEP_2)
	v_add_co_ci_u32_e32 v8, vcc_lo, v4, v6, vcc_lo
	s_clause 0x3
	global_load_b128 v[3:6], v[7:8], off
	global_load_b128 v[10:13], v[7:8], off offset:16
	global_load_b128 v[52:55], v[7:8], off offset:32
	;; [unrolled: 1-line block ×3, first 2 shown]
	s_waitcnt vmcnt(3)
	v_lshrrev_b32_e32 v7, 16, v3
	v_cvt_f32_f16_e32 v17, v3
	v_lshrrev_b32_e32 v3, 16, v4
	v_cvt_f32_f16_e32 v9, v4
	;; [unrolled: 2-line block ×3, first 2 shown]
	v_cvt_f32_f16_e32 v16, v5
	v_cvt_f32_f16_e32 v14, v3
	v_lshrrev_b32_e32 v5, 16, v6
	v_cvt_f32_f16_e32 v20, v4
	v_max3_f32 v3, |v17|, 0, |v7|
	v_cvt_f32_f16_e32 v22, v6
	s_waitcnt vmcnt(2)
	v_lshrrev_b32_e32 v4, 16, v10
	v_cvt_f32_f16_e32 v26, v5
	v_cvt_f32_f16_e32 v28, v10
	v_max3_f32 v3, v3, |v9|, |v14|
	v_lshrrev_b32_e32 v5, 16, v11
	v_cvt_f32_f16_e32 v32, v4
	v_cvt_f32_f16_e32 v34, v11
	v_lshrrev_b32_e32 v4, 16, v12
	v_max3_f32 v3, v3, |v16|, |v20|
	v_cvt_f32_f16_e32 v38, v5
	v_cvt_f32_f16_e32 v40, v12
	v_lshrrev_b32_e32 v5, 16, v13
	v_cvt_f32_f16_e32 v42, v4
	v_max3_f32 v3, v3, |v22|, |v26|
	v_cvt_f32_f16_e32 v46, v13
	s_waitcnt vmcnt(1)
	v_lshrrev_b32_e32 v4, 16, v52
	v_cvt_f32_f16_e32 v47, v5
	v_cvt_f32_f16_e32 v52, v52
	v_max3_f32 v3, v3, |v28|, |v32|
	v_lshrrev_b32_e32 v5, 16, v53
	v_cvt_f32_f16_e32 v51, v4
	v_cvt_f32_f16_e32 v48, v53
	v_lshrrev_b32_e32 v4, 16, v54
	v_max3_f32 v3, v3, |v34|, |v38|
	v_cvt_f32_f16_e32 v45, v5
	v_cvt_f32_f16_e32 v41, v54
	v_lshrrev_b32_e32 v5, 16, v55
	v_cvt_f32_f16_e32 v39, v4
	v_max3_f32 v3, v3, |v40|, |v42|
	;; [unrolled: 16-line block ×3, first 2 shown]
	v_cvt_f32_f16_e32 v13, v59
	s_delay_alu instid0(VALU_DEP_4) | instskip(NEXT) | instid1(VALU_DEP_3)
	v_cvt_f32_f16_e32 v8, v5
	v_max3_f32 v3, v3, |v41|, |v39|
	s_delay_alu instid0(VALU_DEP_1) | instskip(NEXT) | instid1(VALU_DEP_1)
	v_max3_f32 v3, v3, |v35|, |v33|
	v_max3_f32 v3, v3, |v29|, |v27|
	s_delay_alu instid0(VALU_DEP_1) | instskip(NEXT) | instid1(VALU_DEP_1)
	v_max3_f32 v3, v3, |v25|, |v21|
	;; [unrolled: 3-line block ×3, first 2 shown]
	v_add_nc_u32_e32 v3, 0x200000, v3
	s_delay_alu instid0(VALU_DEP_1) | instskip(NEXT) | instid1(VALU_DEP_1)
	v_and_b32_e32 v3, 0x7f800000, v3
	v_cmp_gt_f32_e32 vcc_lo, 0x800000, v3
	v_cndmask_b32_e64 v4, 1.0, 0x4f800000, vcc_lo
	s_delay_alu instid0(VALU_DEP_1) | instskip(SKIP_1) | instid1(VALU_DEP_2)
	v_mul_f32_e32 v3, v3, v4
	v_cndmask_b32_e64 v4, 0, 0x42000000, vcc_lo
	v_log_f32_e32 v3, v3
	s_waitcnt_depctr 0xfff
	v_sub_f32_e32 v3, v3, v4
	s_delay_alu instid0(VALU_DEP_1) | instskip(NEXT) | instid1(VALU_DEP_1)
	v_floor_f32_e32 v3, v3
	v_add_f32_e32 v3, -2.0, v3
	s_delay_alu instid0(VALU_DEP_1) | instskip(SKIP_1) | instid1(VALU_DEP_1)
	v_maxmin_f32 v3, v3, s2, 0x42fe0000
	s_mov_b32 s2, exec_lo
	v_cmp_gt_f32_e32 vcc_lo, 0xc2fc0000, v3
	v_cndmask_b32_e64 v4, 0, 0x42800000, vcc_lo
	s_delay_alu instid0(VALU_DEP_1) | instskip(SKIP_1) | instid1(VALU_DEP_2)
	v_add_f32_e32 v3, v3, v4
	v_cndmask_b32_e64 v4, 1.0, 0x1f800000, vcc_lo
	v_exp_f32_e32 v3, v3
	s_waitcnt_depctr 0xfff
	v_mul_f32_e32 v3, v3, v4
	s_delay_alu instid0(VALU_DEP_1) | instskip(SKIP_1) | instid1(VALU_DEP_2)
	v_div_scale_f32 v4, null, v3, v3, 1.0
	v_div_scale_f32 v10, vcc_lo, 1.0, v3, 1.0
	v_rcp_f32_e32 v5, v4
	s_waitcnt_depctr 0xfff
	v_fma_f32 v6, -v4, v5, 1.0
	s_delay_alu instid0(VALU_DEP_1) | instskip(NEXT) | instid1(VALU_DEP_1)
	v_fmac_f32_e32 v5, v6, v5
	v_mul_f32_e32 v6, v10, v5
	s_delay_alu instid0(VALU_DEP_1) | instskip(NEXT) | instid1(VALU_DEP_1)
	v_fma_f32 v11, -v4, v6, v10
	v_fmac_f32_e32 v6, v11, v5
	s_delay_alu instid0(VALU_DEP_1) | instskip(NEXT) | instid1(VALU_DEP_1)
	v_fma_f32 v4, -v4, v6, v10
	v_div_fmas_f32 v4, v4, v5, v6
	v_cmp_neq_f32_e32 vcc_lo, 0, v3
	v_mov_b32_e32 v6, 7
	s_delay_alu instid0(VALU_DEP_3) | instskip(NEXT) | instid1(VALU_DEP_1)
	v_div_fixup_f32 v4, v4, v3, 1.0
	v_cndmask_b32_e32 v12, 0, v4, vcc_lo
	s_delay_alu instid0(VALU_DEP_1) | instskip(NEXT) | instid1(VALU_DEP_1)
	v_dual_mov_b32 v4, 7 :: v_dual_mul_f32 v5, v12, v17
	v_cmpx_nle_f32_e64 0x40a00000, |v5|
	s_cbranch_execz .LBB11_17
; %bb.6:
	v_mov_b32_e32 v4, 6
	s_mov_b32 s3, exec_lo
	v_cmpx_nle_f32_e64 0x40600000, |v5|
	s_cbranch_execz .LBB11_16
; %bb.7:
	v_mov_b32_e32 v4, 5
	s_mov_b32 s5, exec_lo
	;; [unrolled: 5-line block ×5, first 2 shown]
	v_cmpx_nle_f32_e64 0x3f400000, |v5|
; %bb.11:
	v_cmp_le_f32_e64 s10, 0x3e800000, |v5|
	s_delay_alu instid0(VALU_DEP_1)
	v_cndmask_b32_e64 v4, 0, 1, s10
; %bb.12:
	s_or_b32 exec_lo, exec_lo, s9
.LBB11_13:
	s_delay_alu instid0(SALU_CYCLE_1)
	s_or_b32 exec_lo, exec_lo, s8
.LBB11_14:
	s_delay_alu instid0(SALU_CYCLE_1)
	s_or_b32 exec_lo, exec_lo, s7
.LBB11_15:
	s_delay_alu instid0(SALU_CYCLE_1)
	s_or_b32 exec_lo, exec_lo, s5
.LBB11_16:
	s_delay_alu instid0(SALU_CYCLE_1)
	s_or_b32 exec_lo, exec_lo, s3
.LBB11_17:
	s_delay_alu instid0(SALU_CYCLE_1) | instskip(SKIP_2) | instid1(VALU_DEP_1)
	s_or_b32 exec_lo, exec_lo, s2
	v_mul_f32_e32 v7, v12, v7
	s_mov_b32 s2, exec_lo
	v_cmpx_nle_f32_e64 0x40a00000, |v7|
	s_cbranch_execz .LBB11_29
; %bb.18:
	v_mov_b32_e32 v6, 6
	s_mov_b32 s3, exec_lo
	v_cmpx_nle_f32_e64 0x40600000, |v7|
	s_cbranch_execz .LBB11_28
; %bb.19:
	v_mov_b32_e32 v6, 5
	;; [unrolled: 5-line block ×5, first 2 shown]
	s_mov_b32 s9, exec_lo
	v_cmpx_nle_f32_e64 0x3f400000, |v7|
; %bb.23:
	v_cmp_le_f32_e64 s10, 0x3e800000, |v7|
	s_delay_alu instid0(VALU_DEP_1)
	v_cndmask_b32_e64 v6, 0, 1, s10
; %bb.24:
	s_or_b32 exec_lo, exec_lo, s9
.LBB11_25:
	s_delay_alu instid0(SALU_CYCLE_1)
	s_or_b32 exec_lo, exec_lo, s8
.LBB11_26:
	s_delay_alu instid0(SALU_CYCLE_1)
	s_or_b32 exec_lo, exec_lo, s7
.LBB11_27:
	s_delay_alu instid0(SALU_CYCLE_1)
	s_or_b32 exec_lo, exec_lo, s5
.LBB11_28:
	s_delay_alu instid0(SALU_CYCLE_1)
	s_or_b32 exec_lo, exec_lo, s3
.LBB11_29:
	s_delay_alu instid0(SALU_CYCLE_1) | instskip(SKIP_3) | instid1(VALU_DEP_2)
	s_or_b32 exec_lo, exec_lo, s2
	v_dual_mul_f32 v10, v12, v9 :: v_dual_mov_b32 v11, 7
	v_mov_b32_e32 v9, 7
	s_mov_b32 s2, exec_lo
	v_cmpx_nle_f32_e64 0x40a00000, |v10|
	s_cbranch_execz .LBB11_41
; %bb.30:
	v_mov_b32_e32 v9, 6
	s_mov_b32 s3, exec_lo
	v_cmpx_nle_f32_e64 0x40600000, |v10|
	s_cbranch_execz .LBB11_40
; %bb.31:
	;; [unrolled: 5-line block ×5, first 2 shown]
	v_mov_b32_e32 v9, 2
	s_mov_b32 s9, exec_lo
	v_cmpx_nle_f32_e64 0x3f400000, |v10|
; %bb.35:
	v_cmp_le_f32_e64 s10, 0x3e800000, |v10|
	s_delay_alu instid0(VALU_DEP_1)
	v_cndmask_b32_e64 v9, 0, 1, s10
; %bb.36:
	s_or_b32 exec_lo, exec_lo, s9
.LBB11_37:
	s_delay_alu instid0(SALU_CYCLE_1)
	s_or_b32 exec_lo, exec_lo, s8
.LBB11_38:
	s_delay_alu instid0(SALU_CYCLE_1)
	s_or_b32 exec_lo, exec_lo, s7
.LBB11_39:
	s_delay_alu instid0(SALU_CYCLE_1)
	s_or_b32 exec_lo, exec_lo, s5
.LBB11_40:
	s_delay_alu instid0(SALU_CYCLE_1)
	s_or_b32 exec_lo, exec_lo, s3
.LBB11_41:
	s_delay_alu instid0(SALU_CYCLE_1) | instskip(SKIP_2) | instid1(VALU_DEP_1)
	s_or_b32 exec_lo, exec_lo, s2
	v_mul_f32_e32 v14, v12, v14
	s_mov_b32 s2, exec_lo
	v_cmpx_nle_f32_e64 0x40a00000, |v14|
	s_cbranch_execz .LBB11_53
; %bb.42:
	v_mov_b32_e32 v11, 6
	s_mov_b32 s3, exec_lo
	v_cmpx_nle_f32_e64 0x40600000, |v14|
	s_cbranch_execz .LBB11_52
; %bb.43:
	v_mov_b32_e32 v11, 5
	;; [unrolled: 5-line block ×5, first 2 shown]
	s_mov_b32 s9, exec_lo
	v_cmpx_nle_f32_e64 0x3f400000, |v14|
; %bb.47:
	v_cmp_le_f32_e64 s10, 0x3e800000, |v14|
	s_delay_alu instid0(VALU_DEP_1)
	v_cndmask_b32_e64 v11, 0, 1, s10
; %bb.48:
	s_or_b32 exec_lo, exec_lo, s9
.LBB11_49:
	s_delay_alu instid0(SALU_CYCLE_1)
	s_or_b32 exec_lo, exec_lo, s8
.LBB11_50:
	s_delay_alu instid0(SALU_CYCLE_1)
	s_or_b32 exec_lo, exec_lo, s7
.LBB11_51:
	s_delay_alu instid0(SALU_CYCLE_1)
	s_or_b32 exec_lo, exec_lo, s5
.LBB11_52:
	s_delay_alu instid0(SALU_CYCLE_1)
	s_or_b32 exec_lo, exec_lo, s3
.LBB11_53:
	s_delay_alu instid0(SALU_CYCLE_1) | instskip(SKIP_3) | instid1(VALU_DEP_2)
	s_or_b32 exec_lo, exec_lo, s2
	v_dual_mul_f32 v18, v12, v16 :: v_dual_mov_b32 v17, 7
	v_mov_b32_e32 v16, 7
	s_mov_b32 s2, exec_lo
	v_cmpx_nle_f32_e64 0x40a00000, |v18|
	s_cbranch_execz .LBB11_65
; %bb.54:
	v_mov_b32_e32 v17, 6
	s_mov_b32 s3, exec_lo
	v_cmpx_nle_f32_e64 0x40600000, |v18|
	s_cbranch_execz .LBB11_64
; %bb.55:
	;; [unrolled: 5-line block ×5, first 2 shown]
	v_mov_b32_e32 v17, 2
	s_mov_b32 s9, exec_lo
	v_cmpx_nle_f32_e64 0x3f400000, |v18|
; %bb.59:
	v_cmp_le_f32_e64 s10, 0x3e800000, |v18|
	s_delay_alu instid0(VALU_DEP_1)
	v_cndmask_b32_e64 v17, 0, 1, s10
; %bb.60:
	s_or_b32 exec_lo, exec_lo, s9
.LBB11_61:
	s_delay_alu instid0(SALU_CYCLE_1)
	s_or_b32 exec_lo, exec_lo, s8
.LBB11_62:
	s_delay_alu instid0(SALU_CYCLE_1)
	s_or_b32 exec_lo, exec_lo, s7
.LBB11_63:
	s_delay_alu instid0(SALU_CYCLE_1)
	s_or_b32 exec_lo, exec_lo, s5
.LBB11_64:
	s_delay_alu instid0(SALU_CYCLE_1)
	s_or_b32 exec_lo, exec_lo, s3
.LBB11_65:
	s_delay_alu instid0(SALU_CYCLE_1) | instskip(SKIP_2) | instid1(VALU_DEP_1)
	s_or_b32 exec_lo, exec_lo, s2
	v_mul_f32_e32 v20, v12, v20
	s_mov_b32 s2, exec_lo
	v_cmpx_nle_f32_e64 0x40a00000, |v20|
	s_cbranch_execz .LBB11_77
; %bb.66:
	v_mov_b32_e32 v16, 6
	s_mov_b32 s3, exec_lo
	v_cmpx_nle_f32_e64 0x40600000, |v20|
	s_cbranch_execz .LBB11_76
; %bb.67:
	v_mov_b32_e32 v16, 5
	;; [unrolled: 5-line block ×5, first 2 shown]
	s_mov_b32 s9, exec_lo
	v_cmpx_nle_f32_e64 0x3f400000, |v20|
; %bb.71:
	v_cmp_le_f32_e64 s10, 0x3e800000, |v20|
	s_delay_alu instid0(VALU_DEP_1)
	v_cndmask_b32_e64 v16, 0, 1, s10
; %bb.72:
	s_or_b32 exec_lo, exec_lo, s9
.LBB11_73:
	s_delay_alu instid0(SALU_CYCLE_1)
	s_or_b32 exec_lo, exec_lo, s8
.LBB11_74:
	s_delay_alu instid0(SALU_CYCLE_1)
	s_or_b32 exec_lo, exec_lo, s7
.LBB11_75:
	s_delay_alu instid0(SALU_CYCLE_1)
	s_or_b32 exec_lo, exec_lo, s5
.LBB11_76:
	s_delay_alu instid0(SALU_CYCLE_1)
	s_or_b32 exec_lo, exec_lo, s3
.LBB11_77:
	s_delay_alu instid0(SALU_CYCLE_1) | instskip(SKIP_3) | instid1(VALU_DEP_2)
	s_or_b32 exec_lo, exec_lo, s2
	v_dual_mul_f32 v24, v12, v22 :: v_dual_mov_b32 v23, 7
	v_mov_b32_e32 v22, 7
	s_mov_b32 s2, exec_lo
	v_cmpx_nle_f32_e64 0x40a00000, |v24|
	s_cbranch_execz .LBB11_89
; %bb.78:
	v_mov_b32_e32 v23, 6
	s_mov_b32 s3, exec_lo
	v_cmpx_nle_f32_e64 0x40600000, |v24|
	s_cbranch_execz .LBB11_88
; %bb.79:
	v_mov_b32_e32 v23, 5
	s_mov_b32 s5, exec_lo
	v_cmpx_nle_f32_e64 0x40200000, |v24|
	s_cbranch_execz .LBB11_87
; %bb.80:
	v_mov_b32_e32 v23, 4
	s_mov_b32 s7, exec_lo
	v_cmpx_nle_f32_e64 0x3fe00000, |v24|
	s_cbranch_execz .LBB11_86
; %bb.81:
	v_mov_b32_e32 v23, 3
	s_mov_b32 s8, exec_lo
	v_cmpx_nle_f32_e64 0x3fa00000, |v24|
	s_cbranch_execz .LBB11_85
; %bb.82:
	v_mov_b32_e32 v23, 2
	s_mov_b32 s9, exec_lo
	v_cmpx_nle_f32_e64 0x3f400000, |v24|
; %bb.83:
	v_cmp_le_f32_e64 s10, 0x3e800000, |v24|
	s_delay_alu instid0(VALU_DEP_1)
	v_cndmask_b32_e64 v23, 0, 1, s10
; %bb.84:
	s_or_b32 exec_lo, exec_lo, s9
.LBB11_85:
	s_delay_alu instid0(SALU_CYCLE_1)
	s_or_b32 exec_lo, exec_lo, s8
.LBB11_86:
	s_delay_alu instid0(SALU_CYCLE_1)
	s_or_b32 exec_lo, exec_lo, s7
.LBB11_87:
	s_delay_alu instid0(SALU_CYCLE_1)
	s_or_b32 exec_lo, exec_lo, s5
.LBB11_88:
	s_delay_alu instid0(SALU_CYCLE_1)
	s_or_b32 exec_lo, exec_lo, s3
.LBB11_89:
	s_delay_alu instid0(SALU_CYCLE_1) | instskip(SKIP_2) | instid1(VALU_DEP_1)
	s_or_b32 exec_lo, exec_lo, s2
	v_mul_f32_e32 v26, v12, v26
	s_mov_b32 s2, exec_lo
	v_cmpx_nle_f32_e64 0x40a00000, |v26|
	s_cbranch_execz .LBB11_101
; %bb.90:
	v_mov_b32_e32 v22, 6
	s_mov_b32 s3, exec_lo
	v_cmpx_nle_f32_e64 0x40600000, |v26|
	s_cbranch_execz .LBB11_100
; %bb.91:
	v_mov_b32_e32 v22, 5
	;; [unrolled: 5-line block ×5, first 2 shown]
	s_mov_b32 s9, exec_lo
	v_cmpx_nle_f32_e64 0x3f400000, |v26|
; %bb.95:
	v_cmp_le_f32_e64 s10, 0x3e800000, |v26|
	s_delay_alu instid0(VALU_DEP_1)
	v_cndmask_b32_e64 v22, 0, 1, s10
; %bb.96:
	s_or_b32 exec_lo, exec_lo, s9
.LBB11_97:
	s_delay_alu instid0(SALU_CYCLE_1)
	s_or_b32 exec_lo, exec_lo, s8
.LBB11_98:
	s_delay_alu instid0(SALU_CYCLE_1)
	s_or_b32 exec_lo, exec_lo, s7
.LBB11_99:
	s_delay_alu instid0(SALU_CYCLE_1)
	s_or_b32 exec_lo, exec_lo, s5
.LBB11_100:
	s_delay_alu instid0(SALU_CYCLE_1)
	s_or_b32 exec_lo, exec_lo, s3
.LBB11_101:
	s_delay_alu instid0(SALU_CYCLE_1) | instskip(SKIP_3) | instid1(VALU_DEP_2)
	s_or_b32 exec_lo, exec_lo, s2
	v_dual_mul_f32 v30, v12, v28 :: v_dual_mov_b32 v31, 7
	v_mov_b32_e32 v28, 7
	s_mov_b32 s2, exec_lo
	v_cmpx_nle_f32_e64 0x40a00000, |v30|
	s_cbranch_execz .LBB11_113
; %bb.102:
	v_mov_b32_e32 v31, 6
	s_mov_b32 s3, exec_lo
	v_cmpx_nle_f32_e64 0x40600000, |v30|
	s_cbranch_execz .LBB11_112
; %bb.103:
	v_mov_b32_e32 v31, 5
	s_mov_b32 s5, exec_lo
	v_cmpx_nle_f32_e64 0x40200000, |v30|
	s_cbranch_execz .LBB11_111
; %bb.104:
	v_mov_b32_e32 v31, 4
	s_mov_b32 s7, exec_lo
	v_cmpx_nle_f32_e64 0x3fe00000, |v30|
	s_cbranch_execz .LBB11_110
; %bb.105:
	v_mov_b32_e32 v31, 3
	s_mov_b32 s8, exec_lo
	v_cmpx_nle_f32_e64 0x3fa00000, |v30|
	s_cbranch_execz .LBB11_109
; %bb.106:
	v_mov_b32_e32 v31, 2
	s_mov_b32 s9, exec_lo
	v_cmpx_nle_f32_e64 0x3f400000, |v30|
; %bb.107:
	v_cmp_le_f32_e64 s10, 0x3e800000, |v30|
	s_delay_alu instid0(VALU_DEP_1)
	v_cndmask_b32_e64 v31, 0, 1, s10
; %bb.108:
	s_or_b32 exec_lo, exec_lo, s9
.LBB11_109:
	s_delay_alu instid0(SALU_CYCLE_1)
	s_or_b32 exec_lo, exec_lo, s8
.LBB11_110:
	s_delay_alu instid0(SALU_CYCLE_1)
	s_or_b32 exec_lo, exec_lo, s7
.LBB11_111:
	s_delay_alu instid0(SALU_CYCLE_1)
	s_or_b32 exec_lo, exec_lo, s5
.LBB11_112:
	s_delay_alu instid0(SALU_CYCLE_1)
	s_or_b32 exec_lo, exec_lo, s3
.LBB11_113:
	s_delay_alu instid0(SALU_CYCLE_1) | instskip(SKIP_2) | instid1(VALU_DEP_1)
	s_or_b32 exec_lo, exec_lo, s2
	v_mul_f32_e32 v32, v12, v32
	s_mov_b32 s2, exec_lo
	v_cmpx_nle_f32_e64 0x40a00000, |v32|
	s_cbranch_execz .LBB11_125
; %bb.114:
	v_mov_b32_e32 v28, 6
	s_mov_b32 s3, exec_lo
	v_cmpx_nle_f32_e64 0x40600000, |v32|
	s_cbranch_execz .LBB11_124
; %bb.115:
	v_mov_b32_e32 v28, 5
	;; [unrolled: 5-line block ×5, first 2 shown]
	s_mov_b32 s9, exec_lo
	v_cmpx_nle_f32_e64 0x3f400000, |v32|
; %bb.119:
	v_cmp_le_f32_e64 s10, 0x3e800000, |v32|
	s_delay_alu instid0(VALU_DEP_1)
	v_cndmask_b32_e64 v28, 0, 1, s10
; %bb.120:
	s_or_b32 exec_lo, exec_lo, s9
.LBB11_121:
	s_delay_alu instid0(SALU_CYCLE_1)
	s_or_b32 exec_lo, exec_lo, s8
.LBB11_122:
	s_delay_alu instid0(SALU_CYCLE_1)
	s_or_b32 exec_lo, exec_lo, s7
.LBB11_123:
	s_delay_alu instid0(SALU_CYCLE_1)
	s_or_b32 exec_lo, exec_lo, s5
.LBB11_124:
	s_delay_alu instid0(SALU_CYCLE_1)
	s_or_b32 exec_lo, exec_lo, s3
.LBB11_125:
	s_delay_alu instid0(SALU_CYCLE_1) | instskip(SKIP_3) | instid1(VALU_DEP_2)
	s_or_b32 exec_lo, exec_lo, s2
	v_dual_mul_f32 v37, v12, v34 :: v_dual_mov_b32 v34, 7
	v_mov_b32_e32 v36, 7
	s_mov_b32 s2, exec_lo
	v_cmpx_nle_f32_e64 0x40a00000, |v37|
	s_cbranch_execz .LBB11_137
; %bb.126:
	v_mov_b32_e32 v36, 6
	s_mov_b32 s3, exec_lo
	v_cmpx_nle_f32_e64 0x40600000, |v37|
	s_cbranch_execz .LBB11_136
; %bb.127:
	;; [unrolled: 5-line block ×5, first 2 shown]
	v_mov_b32_e32 v36, 2
	s_mov_b32 s9, exec_lo
	v_cmpx_nle_f32_e64 0x3f400000, |v37|
; %bb.131:
	v_cmp_le_f32_e64 s10, 0x3e800000, |v37|
	s_delay_alu instid0(VALU_DEP_1)
	v_cndmask_b32_e64 v36, 0, 1, s10
; %bb.132:
	s_or_b32 exec_lo, exec_lo, s9
.LBB11_133:
	s_delay_alu instid0(SALU_CYCLE_1)
	s_or_b32 exec_lo, exec_lo, s8
.LBB11_134:
	s_delay_alu instid0(SALU_CYCLE_1)
	s_or_b32 exec_lo, exec_lo, s7
.LBB11_135:
	s_delay_alu instid0(SALU_CYCLE_1)
	s_or_b32 exec_lo, exec_lo, s5
.LBB11_136:
	s_delay_alu instid0(SALU_CYCLE_1)
	s_or_b32 exec_lo, exec_lo, s3
.LBB11_137:
	s_delay_alu instid0(SALU_CYCLE_1) | instskip(SKIP_2) | instid1(VALU_DEP_1)
	s_or_b32 exec_lo, exec_lo, s2
	v_mul_f32_e32 v38, v12, v38
	s_mov_b32 s2, exec_lo
	v_cmpx_nle_f32_e64 0x40a00000, |v38|
	s_cbranch_execz .LBB11_149
; %bb.138:
	v_mov_b32_e32 v34, 6
	s_mov_b32 s3, exec_lo
	v_cmpx_nle_f32_e64 0x40600000, |v38|
	s_cbranch_execz .LBB11_148
; %bb.139:
	v_mov_b32_e32 v34, 5
	s_mov_b32 s5, exec_lo
	v_cmpx_nle_f32_e64 0x40200000, |v38|
	s_cbranch_execz .LBB11_147
; %bb.140:
	v_mov_b32_e32 v34, 4
	s_mov_b32 s7, exec_lo
	v_cmpx_nle_f32_e64 0x3fe00000, |v38|
	s_cbranch_execz .LBB11_146
; %bb.141:
	v_mov_b32_e32 v34, 3
	s_mov_b32 s8, exec_lo
	v_cmpx_nle_f32_e64 0x3fa00000, |v38|
	s_cbranch_execz .LBB11_145
; %bb.142:
	v_mov_b32_e32 v34, 2
	s_mov_b32 s9, exec_lo
	v_cmpx_nle_f32_e64 0x3f400000, |v38|
; %bb.143:
	v_cmp_le_f32_e64 s10, 0x3e800000, |v38|
	s_delay_alu instid0(VALU_DEP_1)
	v_cndmask_b32_e64 v34, 0, 1, s10
; %bb.144:
	s_or_b32 exec_lo, exec_lo, s9
.LBB11_145:
	s_delay_alu instid0(SALU_CYCLE_1)
	s_or_b32 exec_lo, exec_lo, s8
.LBB11_146:
	s_delay_alu instid0(SALU_CYCLE_1)
	s_or_b32 exec_lo, exec_lo, s7
.LBB11_147:
	s_delay_alu instid0(SALU_CYCLE_1)
	s_or_b32 exec_lo, exec_lo, s5
.LBB11_148:
	s_delay_alu instid0(SALU_CYCLE_1)
	s_or_b32 exec_lo, exec_lo, s3
.LBB11_149:
	s_delay_alu instid0(SALU_CYCLE_1) | instskip(SKIP_3) | instid1(VALU_DEP_2)
	s_or_b32 exec_lo, exec_lo, s2
	v_dual_mul_f32 v44, v12, v40 :: v_dual_mov_b32 v43, 7
	v_mov_b32_e32 v40, 7
	s_mov_b32 s2, exec_lo
	v_cmpx_nle_f32_e64 0x40a00000, |v44|
	s_cbranch_execz .LBB11_161
; %bb.150:
	v_mov_b32_e32 v43, 6
	s_mov_b32 s3, exec_lo
	v_cmpx_nle_f32_e64 0x40600000, |v44|
	s_cbranch_execz .LBB11_160
; %bb.151:
	;; [unrolled: 5-line block ×5, first 2 shown]
	v_mov_b32_e32 v43, 2
	s_mov_b32 s9, exec_lo
	v_cmpx_nle_f32_e64 0x3f400000, |v44|
; %bb.155:
	v_cmp_le_f32_e64 s10, 0x3e800000, |v44|
	s_delay_alu instid0(VALU_DEP_1)
	v_cndmask_b32_e64 v43, 0, 1, s10
; %bb.156:
	s_or_b32 exec_lo, exec_lo, s9
.LBB11_157:
	s_delay_alu instid0(SALU_CYCLE_1)
	s_or_b32 exec_lo, exec_lo, s8
.LBB11_158:
	s_delay_alu instid0(SALU_CYCLE_1)
	s_or_b32 exec_lo, exec_lo, s7
.LBB11_159:
	s_delay_alu instid0(SALU_CYCLE_1)
	s_or_b32 exec_lo, exec_lo, s5
.LBB11_160:
	s_delay_alu instid0(SALU_CYCLE_1)
	s_or_b32 exec_lo, exec_lo, s3
.LBB11_161:
	s_delay_alu instid0(SALU_CYCLE_1) | instskip(SKIP_2) | instid1(VALU_DEP_1)
	s_or_b32 exec_lo, exec_lo, s2
	v_mul_f32_e32 v42, v12, v42
	s_mov_b32 s2, exec_lo
	v_cmpx_nle_f32_e64 0x40a00000, |v42|
	s_cbranch_execz .LBB11_173
; %bb.162:
	v_mov_b32_e32 v40, 6
	s_mov_b32 s3, exec_lo
	v_cmpx_nle_f32_e64 0x40600000, |v42|
	s_cbranch_execz .LBB11_172
; %bb.163:
	v_mov_b32_e32 v40, 5
	;; [unrolled: 5-line block ×5, first 2 shown]
	s_mov_b32 s9, exec_lo
	v_cmpx_nle_f32_e64 0x3f400000, |v42|
; %bb.167:
	v_cmp_le_f32_e64 s10, 0x3e800000, |v42|
	s_delay_alu instid0(VALU_DEP_1)
	v_cndmask_b32_e64 v40, 0, 1, s10
; %bb.168:
	s_or_b32 exec_lo, exec_lo, s9
.LBB11_169:
	s_delay_alu instid0(SALU_CYCLE_1)
	s_or_b32 exec_lo, exec_lo, s8
.LBB11_170:
	s_delay_alu instid0(SALU_CYCLE_1)
	s_or_b32 exec_lo, exec_lo, s7
.LBB11_171:
	s_delay_alu instid0(SALU_CYCLE_1)
	s_or_b32 exec_lo, exec_lo, s5
.LBB11_172:
	s_delay_alu instid0(SALU_CYCLE_1)
	s_or_b32 exec_lo, exec_lo, s3
.LBB11_173:
	s_delay_alu instid0(SALU_CYCLE_1) | instskip(SKIP_3) | instid1(VALU_DEP_2)
	s_or_b32 exec_lo, exec_lo, s2
	v_dual_mul_f32 v50, v12, v46 :: v_dual_mov_b32 v49, 7
	v_mov_b32_e32 v46, 7
	s_mov_b32 s2, exec_lo
	v_cmpx_nle_f32_e64 0x40a00000, |v50|
	s_cbranch_execz .LBB11_185
; %bb.174:
	v_mov_b32_e32 v49, 6
	s_mov_b32 s3, exec_lo
	v_cmpx_nle_f32_e64 0x40600000, |v50|
	s_cbranch_execz .LBB11_184
; %bb.175:
	;; [unrolled: 5-line block ×5, first 2 shown]
	v_mov_b32_e32 v49, 2
	s_mov_b32 s9, exec_lo
	v_cmpx_nle_f32_e64 0x3f400000, |v50|
; %bb.179:
	v_cmp_le_f32_e64 s10, 0x3e800000, |v50|
	s_delay_alu instid0(VALU_DEP_1)
	v_cndmask_b32_e64 v49, 0, 1, s10
; %bb.180:
	s_or_b32 exec_lo, exec_lo, s9
.LBB11_181:
	s_delay_alu instid0(SALU_CYCLE_1)
	s_or_b32 exec_lo, exec_lo, s8
.LBB11_182:
	s_delay_alu instid0(SALU_CYCLE_1)
	s_or_b32 exec_lo, exec_lo, s7
.LBB11_183:
	s_delay_alu instid0(SALU_CYCLE_1)
	s_or_b32 exec_lo, exec_lo, s5
.LBB11_184:
	s_delay_alu instid0(SALU_CYCLE_1)
	s_or_b32 exec_lo, exec_lo, s3
.LBB11_185:
	s_delay_alu instid0(SALU_CYCLE_1) | instskip(SKIP_2) | instid1(VALU_DEP_1)
	s_or_b32 exec_lo, exec_lo, s2
	v_mul_f32_e32 v47, v12, v47
	s_mov_b32 s2, exec_lo
	v_cmpx_nle_f32_e64 0x40a00000, |v47|
	s_cbranch_execz .LBB11_197
; %bb.186:
	v_mov_b32_e32 v46, 6
	s_mov_b32 s3, exec_lo
	v_cmpx_nle_f32_e64 0x40600000, |v47|
	s_cbranch_execz .LBB11_196
; %bb.187:
	v_mov_b32_e32 v46, 5
	;; [unrolled: 5-line block ×5, first 2 shown]
	s_mov_b32 s9, exec_lo
	v_cmpx_nle_f32_e64 0x3f400000, |v47|
; %bb.191:
	v_cmp_le_f32_e64 s10, 0x3e800000, |v47|
	s_delay_alu instid0(VALU_DEP_1)
	v_cndmask_b32_e64 v46, 0, 1, s10
; %bb.192:
	s_or_b32 exec_lo, exec_lo, s9
.LBB11_193:
	s_delay_alu instid0(SALU_CYCLE_1)
	s_or_b32 exec_lo, exec_lo, s8
.LBB11_194:
	s_delay_alu instid0(SALU_CYCLE_1)
	s_or_b32 exec_lo, exec_lo, s7
.LBB11_195:
	s_delay_alu instid0(SALU_CYCLE_1)
	s_or_b32 exec_lo, exec_lo, s5
.LBB11_196:
	s_delay_alu instid0(SALU_CYCLE_1)
	s_or_b32 exec_lo, exec_lo, s3
.LBB11_197:
	s_delay_alu instid0(SALU_CYCLE_1) | instskip(SKIP_3) | instid1(VALU_DEP_2)
	s_or_b32 exec_lo, exec_lo, s2
	v_dual_mul_f32 v54, v12, v52 :: v_dual_mov_b32 v53, 7
	v_mov_b32_e32 v52, 7
	s_mov_b32 s2, exec_lo
	v_cmpx_nle_f32_e64 0x40a00000, |v54|
	s_cbranch_execz .LBB11_209
; %bb.198:
	v_mov_b32_e32 v53, 6
	s_mov_b32 s3, exec_lo
	v_cmpx_nle_f32_e64 0x40600000, |v54|
	s_cbranch_execz .LBB11_208
; %bb.199:
	;; [unrolled: 5-line block ×5, first 2 shown]
	v_mov_b32_e32 v53, 2
	s_mov_b32 s9, exec_lo
	v_cmpx_nle_f32_e64 0x3f400000, |v54|
; %bb.203:
	v_cmp_le_f32_e64 s10, 0x3e800000, |v54|
	s_delay_alu instid0(VALU_DEP_1)
	v_cndmask_b32_e64 v53, 0, 1, s10
; %bb.204:
	s_or_b32 exec_lo, exec_lo, s9
.LBB11_205:
	s_delay_alu instid0(SALU_CYCLE_1)
	s_or_b32 exec_lo, exec_lo, s8
.LBB11_206:
	s_delay_alu instid0(SALU_CYCLE_1)
	s_or_b32 exec_lo, exec_lo, s7
.LBB11_207:
	s_delay_alu instid0(SALU_CYCLE_1)
	s_or_b32 exec_lo, exec_lo, s5
.LBB11_208:
	s_delay_alu instid0(SALU_CYCLE_1)
	s_or_b32 exec_lo, exec_lo, s3
.LBB11_209:
	s_delay_alu instid0(SALU_CYCLE_1) | instskip(SKIP_2) | instid1(VALU_DEP_1)
	s_or_b32 exec_lo, exec_lo, s2
	v_mul_f32_e32 v51, v12, v51
	s_mov_b32 s2, exec_lo
	v_cmpx_nle_f32_e64 0x40a00000, |v51|
	s_cbranch_execz .LBB11_221
; %bb.210:
	v_mov_b32_e32 v52, 6
	s_mov_b32 s3, exec_lo
	v_cmpx_nle_f32_e64 0x40600000, |v51|
	s_cbranch_execz .LBB11_220
; %bb.211:
	v_mov_b32_e32 v52, 5
	;; [unrolled: 5-line block ×5, first 2 shown]
	s_mov_b32 s9, exec_lo
	v_cmpx_nle_f32_e64 0x3f400000, |v51|
; %bb.215:
	v_cmp_le_f32_e64 s10, 0x3e800000, |v51|
	s_delay_alu instid0(VALU_DEP_1)
	v_cndmask_b32_e64 v52, 0, 1, s10
; %bb.216:
	s_or_b32 exec_lo, exec_lo, s9
.LBB11_217:
	s_delay_alu instid0(SALU_CYCLE_1)
	s_or_b32 exec_lo, exec_lo, s8
.LBB11_218:
	s_delay_alu instid0(SALU_CYCLE_1)
	s_or_b32 exec_lo, exec_lo, s7
.LBB11_219:
	s_delay_alu instid0(SALU_CYCLE_1)
	s_or_b32 exec_lo, exec_lo, s5
.LBB11_220:
	s_delay_alu instid0(SALU_CYCLE_1)
	s_or_b32 exec_lo, exec_lo, s3
.LBB11_221:
	s_delay_alu instid0(SALU_CYCLE_1) | instskip(SKIP_3) | instid1(VALU_DEP_2)
	s_or_b32 exec_lo, exec_lo, s2
	v_dual_mul_f32 v55, v12, v48 :: v_dual_mov_b32 v48, 7
	v_mov_b32_e32 v56, 7
	s_mov_b32 s2, exec_lo
	v_cmpx_nle_f32_e64 0x40a00000, |v55|
	s_cbranch_execz .LBB11_233
; %bb.222:
	v_mov_b32_e32 v56, 6
	s_mov_b32 s3, exec_lo
	v_cmpx_nle_f32_e64 0x40600000, |v55|
	s_cbranch_execz .LBB11_232
; %bb.223:
	;; [unrolled: 5-line block ×5, first 2 shown]
	v_mov_b32_e32 v56, 2
	s_mov_b32 s9, exec_lo
	v_cmpx_nle_f32_e64 0x3f400000, |v55|
; %bb.227:
	v_cmp_le_f32_e64 s10, 0x3e800000, |v55|
	s_delay_alu instid0(VALU_DEP_1)
	v_cndmask_b32_e64 v56, 0, 1, s10
; %bb.228:
	s_or_b32 exec_lo, exec_lo, s9
.LBB11_229:
	s_delay_alu instid0(SALU_CYCLE_1)
	s_or_b32 exec_lo, exec_lo, s8
.LBB11_230:
	s_delay_alu instid0(SALU_CYCLE_1)
	s_or_b32 exec_lo, exec_lo, s7
.LBB11_231:
	s_delay_alu instid0(SALU_CYCLE_1)
	s_or_b32 exec_lo, exec_lo, s5
.LBB11_232:
	s_delay_alu instid0(SALU_CYCLE_1)
	s_or_b32 exec_lo, exec_lo, s3
.LBB11_233:
	s_delay_alu instid0(SALU_CYCLE_1) | instskip(SKIP_2) | instid1(VALU_DEP_1)
	s_or_b32 exec_lo, exec_lo, s2
	v_mul_f32_e32 v45, v12, v45
	s_mov_b32 s2, exec_lo
	v_cmpx_nle_f32_e64 0x40a00000, |v45|
	s_cbranch_execz .LBB11_245
; %bb.234:
	v_mov_b32_e32 v48, 6
	s_mov_b32 s3, exec_lo
	v_cmpx_nle_f32_e64 0x40600000, |v45|
	s_cbranch_execz .LBB11_244
; %bb.235:
	v_mov_b32_e32 v48, 5
	;; [unrolled: 5-line block ×5, first 2 shown]
	s_mov_b32 s9, exec_lo
	v_cmpx_nle_f32_e64 0x3f400000, |v45|
; %bb.239:
	v_cmp_le_f32_e64 s10, 0x3e800000, |v45|
	s_delay_alu instid0(VALU_DEP_1)
	v_cndmask_b32_e64 v48, 0, 1, s10
; %bb.240:
	s_or_b32 exec_lo, exec_lo, s9
.LBB11_241:
	s_delay_alu instid0(SALU_CYCLE_1)
	s_or_b32 exec_lo, exec_lo, s8
.LBB11_242:
	s_delay_alu instid0(SALU_CYCLE_1)
	s_or_b32 exec_lo, exec_lo, s7
.LBB11_243:
	s_delay_alu instid0(SALU_CYCLE_1)
	s_or_b32 exec_lo, exec_lo, s5
.LBB11_244:
	s_delay_alu instid0(SALU_CYCLE_1)
	s_or_b32 exec_lo, exec_lo, s3
.LBB11_245:
	s_delay_alu instid0(SALU_CYCLE_1) | instskip(SKIP_3) | instid1(VALU_DEP_2)
	s_or_b32 exec_lo, exec_lo, s2
	v_dual_mul_f32 v58, v12, v41 :: v_dual_mov_b32 v41, 7
	v_mov_b32_e32 v57, 7
	s_mov_b32 s2, exec_lo
	v_cmpx_nle_f32_e64 0x40a00000, |v58|
	s_cbranch_execz .LBB11_257
; %bb.246:
	v_mov_b32_e32 v57, 6
	s_mov_b32 s3, exec_lo
	v_cmpx_nle_f32_e64 0x40600000, |v58|
	s_cbranch_execz .LBB11_256
; %bb.247:
	;; [unrolled: 5-line block ×5, first 2 shown]
	v_mov_b32_e32 v57, 2
	s_mov_b32 s9, exec_lo
	v_cmpx_nle_f32_e64 0x3f400000, |v58|
; %bb.251:
	v_cmp_le_f32_e64 s10, 0x3e800000, |v58|
	s_delay_alu instid0(VALU_DEP_1)
	v_cndmask_b32_e64 v57, 0, 1, s10
; %bb.252:
	s_or_b32 exec_lo, exec_lo, s9
.LBB11_253:
	s_delay_alu instid0(SALU_CYCLE_1)
	s_or_b32 exec_lo, exec_lo, s8
.LBB11_254:
	s_delay_alu instid0(SALU_CYCLE_1)
	s_or_b32 exec_lo, exec_lo, s7
.LBB11_255:
	s_delay_alu instid0(SALU_CYCLE_1)
	s_or_b32 exec_lo, exec_lo, s5
.LBB11_256:
	s_delay_alu instid0(SALU_CYCLE_1)
	s_or_b32 exec_lo, exec_lo, s3
.LBB11_257:
	s_delay_alu instid0(SALU_CYCLE_1) | instskip(SKIP_2) | instid1(VALU_DEP_1)
	s_or_b32 exec_lo, exec_lo, s2
	v_mul_f32_e32 v39, v12, v39
	s_mov_b32 s2, exec_lo
	v_cmpx_nle_f32_e64 0x40a00000, |v39|
	s_cbranch_execz .LBB11_269
; %bb.258:
	v_mov_b32_e32 v41, 6
	s_mov_b32 s3, exec_lo
	v_cmpx_nle_f32_e64 0x40600000, |v39|
	s_cbranch_execz .LBB11_268
; %bb.259:
	v_mov_b32_e32 v41, 5
	;; [unrolled: 5-line block ×5, first 2 shown]
	s_mov_b32 s9, exec_lo
	v_cmpx_nle_f32_e64 0x3f400000, |v39|
; %bb.263:
	v_cmp_le_f32_e64 s10, 0x3e800000, |v39|
	s_delay_alu instid0(VALU_DEP_1)
	v_cndmask_b32_e64 v41, 0, 1, s10
; %bb.264:
	s_or_b32 exec_lo, exec_lo, s9
.LBB11_265:
	s_delay_alu instid0(SALU_CYCLE_1)
	s_or_b32 exec_lo, exec_lo, s8
.LBB11_266:
	s_delay_alu instid0(SALU_CYCLE_1)
	s_or_b32 exec_lo, exec_lo, s7
.LBB11_267:
	s_delay_alu instid0(SALU_CYCLE_1)
	s_or_b32 exec_lo, exec_lo, s5
.LBB11_268:
	s_delay_alu instid0(SALU_CYCLE_1)
	s_or_b32 exec_lo, exec_lo, s3
.LBB11_269:
	s_delay_alu instid0(SALU_CYCLE_1) | instskip(SKIP_3) | instid1(VALU_DEP_2)
	s_or_b32 exec_lo, exec_lo, s2
	v_dual_mul_f32 v60, v12, v35 :: v_dual_mov_b32 v35, 7
	v_mov_b32_e32 v59, 7
	s_mov_b32 s2, exec_lo
	v_cmpx_nle_f32_e64 0x40a00000, |v60|
	s_cbranch_execz .LBB11_281
; %bb.270:
	v_mov_b32_e32 v59, 6
	s_mov_b32 s3, exec_lo
	v_cmpx_nle_f32_e64 0x40600000, |v60|
	s_cbranch_execz .LBB11_280
; %bb.271:
	;; [unrolled: 5-line block ×5, first 2 shown]
	v_mov_b32_e32 v59, 2
	s_mov_b32 s9, exec_lo
	v_cmpx_nle_f32_e64 0x3f400000, |v60|
; %bb.275:
	v_cmp_le_f32_e64 s10, 0x3e800000, |v60|
	s_delay_alu instid0(VALU_DEP_1)
	v_cndmask_b32_e64 v59, 0, 1, s10
; %bb.276:
	s_or_b32 exec_lo, exec_lo, s9
.LBB11_277:
	s_delay_alu instid0(SALU_CYCLE_1)
	s_or_b32 exec_lo, exec_lo, s8
.LBB11_278:
	s_delay_alu instid0(SALU_CYCLE_1)
	s_or_b32 exec_lo, exec_lo, s7
.LBB11_279:
	s_delay_alu instid0(SALU_CYCLE_1)
	s_or_b32 exec_lo, exec_lo, s5
.LBB11_280:
	s_delay_alu instid0(SALU_CYCLE_1)
	s_or_b32 exec_lo, exec_lo, s3
.LBB11_281:
	s_delay_alu instid0(SALU_CYCLE_1) | instskip(SKIP_2) | instid1(VALU_DEP_1)
	s_or_b32 exec_lo, exec_lo, s2
	v_mul_f32_e32 v33, v12, v33
	s_mov_b32 s2, exec_lo
	v_cmpx_nle_f32_e64 0x40a00000, |v33|
	s_cbranch_execz .LBB11_293
; %bb.282:
	v_mov_b32_e32 v35, 6
	s_mov_b32 s3, exec_lo
	v_cmpx_nle_f32_e64 0x40600000, |v33|
	s_cbranch_execz .LBB11_292
; %bb.283:
	v_mov_b32_e32 v35, 5
	;; [unrolled: 5-line block ×5, first 2 shown]
	s_mov_b32 s9, exec_lo
	v_cmpx_nle_f32_e64 0x3f400000, |v33|
; %bb.287:
	v_cmp_le_f32_e64 s10, 0x3e800000, |v33|
	s_delay_alu instid0(VALU_DEP_1)
	v_cndmask_b32_e64 v35, 0, 1, s10
; %bb.288:
	s_or_b32 exec_lo, exec_lo, s9
.LBB11_289:
	s_delay_alu instid0(SALU_CYCLE_1)
	s_or_b32 exec_lo, exec_lo, s8
.LBB11_290:
	s_delay_alu instid0(SALU_CYCLE_1)
	s_or_b32 exec_lo, exec_lo, s7
.LBB11_291:
	s_delay_alu instid0(SALU_CYCLE_1)
	s_or_b32 exec_lo, exec_lo, s5
.LBB11_292:
	s_delay_alu instid0(SALU_CYCLE_1)
	s_or_b32 exec_lo, exec_lo, s3
.LBB11_293:
	s_delay_alu instid0(SALU_CYCLE_1) | instskip(SKIP_3) | instid1(VALU_DEP_2)
	s_or_b32 exec_lo, exec_lo, s2
	v_dual_mul_f32 v62, v12, v29 :: v_dual_mov_b32 v29, 7
	v_mov_b32_e32 v61, 7
	s_mov_b32 s2, exec_lo
	v_cmpx_nle_f32_e64 0x40a00000, |v62|
	s_cbranch_execz .LBB11_305
; %bb.294:
	v_mov_b32_e32 v61, 6
	s_mov_b32 s3, exec_lo
	v_cmpx_nle_f32_e64 0x40600000, |v62|
	s_cbranch_execz .LBB11_304
; %bb.295:
	;; [unrolled: 5-line block ×5, first 2 shown]
	v_mov_b32_e32 v61, 2
	s_mov_b32 s9, exec_lo
	v_cmpx_nle_f32_e64 0x3f400000, |v62|
; %bb.299:
	v_cmp_le_f32_e64 s10, 0x3e800000, |v62|
	s_delay_alu instid0(VALU_DEP_1)
	v_cndmask_b32_e64 v61, 0, 1, s10
; %bb.300:
	s_or_b32 exec_lo, exec_lo, s9
.LBB11_301:
	s_delay_alu instid0(SALU_CYCLE_1)
	s_or_b32 exec_lo, exec_lo, s8
.LBB11_302:
	s_delay_alu instid0(SALU_CYCLE_1)
	s_or_b32 exec_lo, exec_lo, s7
.LBB11_303:
	s_delay_alu instid0(SALU_CYCLE_1)
	s_or_b32 exec_lo, exec_lo, s5
.LBB11_304:
	s_delay_alu instid0(SALU_CYCLE_1)
	s_or_b32 exec_lo, exec_lo, s3
.LBB11_305:
	s_delay_alu instid0(SALU_CYCLE_1) | instskip(SKIP_2) | instid1(VALU_DEP_1)
	s_or_b32 exec_lo, exec_lo, s2
	v_mul_f32_e32 v27, v12, v27
	s_mov_b32 s2, exec_lo
	v_cmpx_nle_f32_e64 0x40a00000, |v27|
	s_cbranch_execz .LBB11_317
; %bb.306:
	v_mov_b32_e32 v29, 6
	s_mov_b32 s3, exec_lo
	v_cmpx_nle_f32_e64 0x40600000, |v27|
	s_cbranch_execz .LBB11_316
; %bb.307:
	v_mov_b32_e32 v29, 5
	s_mov_b32 s5, exec_lo
	v_cmpx_nle_f32_e64 0x40200000, |v27|
	s_cbranch_execz .LBB11_315
; %bb.308:
	v_mov_b32_e32 v29, 4
	s_mov_b32 s7, exec_lo
	v_cmpx_nle_f32_e64 0x3fe00000, |v27|
	s_cbranch_execz .LBB11_314
; %bb.309:
	v_mov_b32_e32 v29, 3
	s_mov_b32 s8, exec_lo
	v_cmpx_nle_f32_e64 0x3fa00000, |v27|
	s_cbranch_execz .LBB11_313
; %bb.310:
	v_mov_b32_e32 v29, 2
	s_mov_b32 s9, exec_lo
	v_cmpx_nle_f32_e64 0x3f400000, |v27|
; %bb.311:
	v_cmp_le_f32_e64 s10, 0x3e800000, |v27|
	s_delay_alu instid0(VALU_DEP_1)
	v_cndmask_b32_e64 v29, 0, 1, s10
; %bb.312:
	s_or_b32 exec_lo, exec_lo, s9
.LBB11_313:
	s_delay_alu instid0(SALU_CYCLE_1)
	s_or_b32 exec_lo, exec_lo, s8
.LBB11_314:
	s_delay_alu instid0(SALU_CYCLE_1)
	s_or_b32 exec_lo, exec_lo, s7
.LBB11_315:
	s_delay_alu instid0(SALU_CYCLE_1)
	s_or_b32 exec_lo, exec_lo, s5
.LBB11_316:
	s_delay_alu instid0(SALU_CYCLE_1)
	s_or_b32 exec_lo, exec_lo, s3
.LBB11_317:
	s_delay_alu instid0(SALU_CYCLE_1) | instskip(SKIP_3) | instid1(VALU_DEP_2)
	s_or_b32 exec_lo, exec_lo, s2
	v_dual_mul_f32 v64, v12, v25 :: v_dual_mov_b32 v25, 7
	v_mov_b32_e32 v63, 7
	s_mov_b32 s2, exec_lo
	v_cmpx_nle_f32_e64 0x40a00000, |v64|
	s_cbranch_execz .LBB11_329
; %bb.318:
	v_mov_b32_e32 v63, 6
	s_mov_b32 s3, exec_lo
	v_cmpx_nle_f32_e64 0x40600000, |v64|
	s_cbranch_execz .LBB11_328
; %bb.319:
	;; [unrolled: 5-line block ×5, first 2 shown]
	v_mov_b32_e32 v63, 2
	s_mov_b32 s9, exec_lo
	v_cmpx_nle_f32_e64 0x3f400000, |v64|
; %bb.323:
	v_cmp_le_f32_e64 s10, 0x3e800000, |v64|
	s_delay_alu instid0(VALU_DEP_1)
	v_cndmask_b32_e64 v63, 0, 1, s10
; %bb.324:
	s_or_b32 exec_lo, exec_lo, s9
.LBB11_325:
	s_delay_alu instid0(SALU_CYCLE_1)
	s_or_b32 exec_lo, exec_lo, s8
.LBB11_326:
	s_delay_alu instid0(SALU_CYCLE_1)
	s_or_b32 exec_lo, exec_lo, s7
.LBB11_327:
	s_delay_alu instid0(SALU_CYCLE_1)
	s_or_b32 exec_lo, exec_lo, s5
.LBB11_328:
	s_delay_alu instid0(SALU_CYCLE_1)
	s_or_b32 exec_lo, exec_lo, s3
.LBB11_329:
	s_delay_alu instid0(SALU_CYCLE_1) | instskip(SKIP_2) | instid1(VALU_DEP_1)
	s_or_b32 exec_lo, exec_lo, s2
	v_mul_f32_e32 v21, v12, v21
	s_mov_b32 s2, exec_lo
	v_cmpx_nle_f32_e64 0x40a00000, |v21|
	s_cbranch_execz .LBB11_341
; %bb.330:
	v_mov_b32_e32 v25, 6
	s_mov_b32 s3, exec_lo
	v_cmpx_nle_f32_e64 0x40600000, |v21|
	s_cbranch_execz .LBB11_340
; %bb.331:
	v_mov_b32_e32 v25, 5
	;; [unrolled: 5-line block ×5, first 2 shown]
	s_mov_b32 s9, exec_lo
	v_cmpx_nle_f32_e64 0x3f400000, |v21|
; %bb.335:
	v_cmp_le_f32_e64 s10, 0x3e800000, |v21|
	s_delay_alu instid0(VALU_DEP_1)
	v_cndmask_b32_e64 v25, 0, 1, s10
; %bb.336:
	s_or_b32 exec_lo, exec_lo, s9
.LBB11_337:
	s_delay_alu instid0(SALU_CYCLE_1)
	s_or_b32 exec_lo, exec_lo, s8
.LBB11_338:
	s_delay_alu instid0(SALU_CYCLE_1)
	s_or_b32 exec_lo, exec_lo, s7
.LBB11_339:
	s_delay_alu instid0(SALU_CYCLE_1)
	s_or_b32 exec_lo, exec_lo, s5
.LBB11_340:
	s_delay_alu instid0(SALU_CYCLE_1)
	s_or_b32 exec_lo, exec_lo, s3
.LBB11_341:
	s_delay_alu instid0(SALU_CYCLE_1) | instskip(SKIP_3) | instid1(VALU_DEP_2)
	s_or_b32 exec_lo, exec_lo, s2
	v_dual_mul_f32 v65, v12, v19 :: v_dual_mov_b32 v66, 7
	v_mov_b32_e32 v19, 7
	s_mov_b32 s2, exec_lo
	v_cmpx_nle_f32_e64 0x40a00000, |v65|
	s_cbranch_execz .LBB11_353
; %bb.342:
	v_mov_b32_e32 v66, 6
	s_mov_b32 s3, exec_lo
	v_cmpx_nle_f32_e64 0x40600000, |v65|
	s_cbranch_execz .LBB11_352
; %bb.343:
	;; [unrolled: 5-line block ×5, first 2 shown]
	v_mov_b32_e32 v66, 2
	s_mov_b32 s9, exec_lo
	v_cmpx_nle_f32_e64 0x3f400000, |v65|
; %bb.347:
	v_cmp_le_f32_e64 s10, 0x3e800000, |v65|
	s_delay_alu instid0(VALU_DEP_1)
	v_cndmask_b32_e64 v66, 0, 1, s10
; %bb.348:
	s_or_b32 exec_lo, exec_lo, s9
.LBB11_349:
	s_delay_alu instid0(SALU_CYCLE_1)
	s_or_b32 exec_lo, exec_lo, s8
.LBB11_350:
	s_delay_alu instid0(SALU_CYCLE_1)
	s_or_b32 exec_lo, exec_lo, s7
.LBB11_351:
	s_delay_alu instid0(SALU_CYCLE_1)
	s_or_b32 exec_lo, exec_lo, s5
.LBB11_352:
	s_delay_alu instid0(SALU_CYCLE_1)
	s_or_b32 exec_lo, exec_lo, s3
.LBB11_353:
	s_delay_alu instid0(SALU_CYCLE_1) | instskip(SKIP_2) | instid1(VALU_DEP_1)
	s_or_b32 exec_lo, exec_lo, s2
	v_mul_f32_e32 v15, v12, v15
	s_mov_b32 s2, exec_lo
	v_cmpx_nle_f32_e64 0x40a00000, |v15|
	s_cbranch_execz .LBB11_365
; %bb.354:
	v_mov_b32_e32 v19, 6
	s_mov_b32 s3, exec_lo
	v_cmpx_nle_f32_e64 0x40600000, |v15|
	s_cbranch_execz .LBB11_364
; %bb.355:
	v_mov_b32_e32 v19, 5
	;; [unrolled: 5-line block ×5, first 2 shown]
	s_mov_b32 s9, exec_lo
	v_cmpx_nle_f32_e64 0x3f400000, |v15|
; %bb.359:
	v_cmp_le_f32_e64 s10, 0x3e800000, |v15|
	s_delay_alu instid0(VALU_DEP_1)
	v_cndmask_b32_e64 v19, 0, 1, s10
; %bb.360:
	s_or_b32 exec_lo, exec_lo, s9
.LBB11_361:
	s_delay_alu instid0(SALU_CYCLE_1)
	s_or_b32 exec_lo, exec_lo, s8
.LBB11_362:
	s_delay_alu instid0(SALU_CYCLE_1)
	s_or_b32 exec_lo, exec_lo, s7
.LBB11_363:
	s_delay_alu instid0(SALU_CYCLE_1)
	s_or_b32 exec_lo, exec_lo, s5
.LBB11_364:
	s_delay_alu instid0(SALU_CYCLE_1)
	s_or_b32 exec_lo, exec_lo, s3
.LBB11_365:
	s_delay_alu instid0(SALU_CYCLE_1) | instskip(SKIP_4) | instid1(VALU_DEP_2)
	s_or_b32 exec_lo, exec_lo, s2
	s_load_b64 s[2:3], s[0:1], 0x10
	v_dual_mul_f32 v67, v12, v13 :: v_dual_mov_b32 v68, 7
	v_mov_b32_e32 v13, 7
	s_mov_b32 s5, exec_lo
	v_cmpx_nle_f32_e64 0x40a00000, |v67|
	s_cbranch_execz .LBB11_377
; %bb.366:
	v_mov_b32_e32 v68, 6
	s_mov_b32 s7, exec_lo
	v_cmpx_nle_f32_e64 0x40600000, |v67|
	s_cbranch_execz .LBB11_376
; %bb.367:
	;; [unrolled: 5-line block ×5, first 2 shown]
	v_mov_b32_e32 v68, 2
	s_mov_b32 s11, exec_lo
	v_cmpx_nle_f32_e64 0x3f400000, |v67|
; %bb.371:
	v_cmp_le_f32_e64 s12, 0x3e800000, |v67|
	s_delay_alu instid0(VALU_DEP_1)
	v_cndmask_b32_e64 v68, 0, 1, s12
; %bb.372:
	s_or_b32 exec_lo, exec_lo, s11
.LBB11_373:
	s_delay_alu instid0(SALU_CYCLE_1)
	s_or_b32 exec_lo, exec_lo, s10
.LBB11_374:
	s_delay_alu instid0(SALU_CYCLE_1)
	s_or_b32 exec_lo, exec_lo, s9
.LBB11_375:
	s_delay_alu instid0(SALU_CYCLE_1)
	s_or_b32 exec_lo, exec_lo, s8
.LBB11_376:
	s_delay_alu instid0(SALU_CYCLE_1)
	s_or_b32 exec_lo, exec_lo, s7
.LBB11_377:
	s_delay_alu instid0(SALU_CYCLE_1) | instskip(SKIP_3) | instid1(VALU_DEP_1)
	s_or_b32 exec_lo, exec_lo, s5
	s_load_b64 s[0:1], s[0:1], 0x8
	v_mul_f32_e32 v8, v12, v8
	s_mov_b32 s5, exec_lo
	v_cmpx_nle_f32_e64 0x40a00000, |v8|
	s_cbranch_execz .LBB11_389
; %bb.378:
	v_mov_b32_e32 v13, 6
	s_mov_b32 s7, exec_lo
	v_cmpx_nle_f32_e64 0x40600000, |v8|
	s_cbranch_execz .LBB11_388
; %bb.379:
	v_mov_b32_e32 v13, 5
	;; [unrolled: 5-line block ×5, first 2 shown]
	s_mov_b32 s11, exec_lo
	v_cmpx_nle_f32_e64 0x3f400000, |v8|
; %bb.383:
	v_cmp_le_f32_e64 s12, 0x3e800000, |v8|
	s_delay_alu instid0(VALU_DEP_1)
	v_cndmask_b32_e64 v13, 0, 1, s12
; %bb.384:
	s_or_b32 exec_lo, exec_lo, s11
.LBB11_385:
	s_delay_alu instid0(SALU_CYCLE_1)
	s_or_b32 exec_lo, exec_lo, s10
.LBB11_386:
	s_delay_alu instid0(SALU_CYCLE_1)
	s_or_b32 exec_lo, exec_lo, s9
.LBB11_387:
	s_delay_alu instid0(SALU_CYCLE_1)
	s_or_b32 exec_lo, exec_lo, s8
.LBB11_388:
	s_delay_alu instid0(SALU_CYCLE_1)
	s_or_b32 exec_lo, exec_lo, s7
.LBB11_389:
	s_delay_alu instid0(SALU_CYCLE_1)
	s_or_b32 exec_lo, exec_lo, s5
	v_cmp_gt_f32_e32 vcc_lo, 0, v67
	v_lshlrev_b16 v6, 4, v6
	v_lshlrev_b16 v25, 4, v25
	;; [unrolled: 1-line block ×4, first 2 shown]
	v_cndmask_b32_e64 v12, 0, 1, vcc_lo
	v_cmp_gt_f32_e32 vcc_lo, 0, v65
	s_lshr_b32 s5, s4, 31
	s_delay_alu instid0(SALU_CYCLE_1) | instskip(NEXT) | instid1(VALU_DEP_2)
	s_add_i32 s4, s4, s5
	v_lshlrev_b16 v12, 3, v12
	v_cndmask_b32_e64 v65, 0, 1, vcc_lo
	v_cmp_gt_f32_e32 vcc_lo, 0, v64
	s_ashr_i32 s4, s4, 1
	s_delay_alu instid0(SALU_CYCLE_1) | instskip(NEXT) | instid1(VALU_DEP_2)
	s_ashr_i32 s5, s4, 31
	v_lshlrev_b16 v65, 3, v65
	v_cndmask_b32_e64 v64, 0, 1, vcc_lo
	v_cmp_gt_f32_e32 vcc_lo, 0, v62
	v_or_b32_e32 v12, v12, v68
	v_mul_lo_u32 v1, v1, s4
	v_or_b32_e32 v65, v65, v66
	v_lshlrev_b16 v64, 3, v64
	v_cndmask_b32_e64 v62, 0, 1, vcc_lo
	v_cmp_gt_f32_e32 vcc_lo, 0, v60
	s_delay_alu instid0(VALU_DEP_3) | instskip(NEXT) | instid1(VALU_DEP_3)
	v_or_b32_e32 v63, v64, v63
	v_lshlrev_b16 v62, 3, v62
	v_cndmask_b32_e64 v60, 0, 1, vcc_lo
	v_cmp_gt_f32_e32 vcc_lo, 0, v58
	s_delay_alu instid0(VALU_DEP_3) | instskip(NEXT) | instid1(VALU_DEP_3)
	;; [unrolled: 5-line block ×10, first 2 shown]
	v_or_b32_e32 v30, v30, v31
	v_lshlrev_b16 v24, 3, v24
	v_cndmask_b32_e64 v18, 0, 1, vcc_lo
	v_cmp_gt_f32_e32 vcc_lo, 0, v5
	s_delay_alu instid0(VALU_DEP_2) | instskip(SKIP_2) | instid1(VALU_DEP_2)
	v_lshlrev_b16 v18, 3, v18
	v_cndmask_b32_e64 v5, 0, 1, vcc_lo
	v_cmp_gt_f32_e32 vcc_lo, 0, v7
	v_lshlrev_b16 v5, 3, v5
	v_cndmask_b32_e64 v7, 0, 1, vcc_lo
	v_cmp_gt_f32_e32 vcc_lo, 0, v10
	s_delay_alu instid0(VALU_DEP_3) | instskip(NEXT) | instid1(VALU_DEP_3)
	v_or_b32_e32 v4, v5, v4
	v_lshlrev_b16 v7, 7, v7
	v_cndmask_b32_e64 v10, 0, 1, vcc_lo
	v_cmp_gt_f32_e32 vcc_lo, 0, v14
	s_delay_alu instid0(VALU_DEP_3)
	v_or_b32_e32 v5, v7, v6
	v_lshlrev_b16 v6, 4, v11
	v_cndmask_b32_e64 v14, 0, 1, vcc_lo
	v_cmp_gt_f32_e32 vcc_lo, 0, v20
	v_lshlrev_b16 v10, 3, v10
	v_or_b32_e32 v4, v5, v4
	v_or_b32_e32 v11, v24, v23
	v_lshlrev_b16 v7, 7, v14
	v_or_b32_e32 v14, v18, v17
	v_or_b32_e32 v9, v10, v9
	v_lshlrev_b16 v10, 4, v22
	v_lshlrev_b16 v22, 4, v34
	v_or_b32_e32 v5, v7, v6
	v_cndmask_b32_e64 v6, 0, 1, vcc_lo
	v_cmp_gt_f32_e32 vcc_lo, 0, v26
	v_lshlrev_b16 v23, 4, v40
	s_delay_alu instid0(VALU_DEP_4)
	v_or_b32_e32 v9, v5, v9
	v_lshlrev_b16 v5, 4, v16
	v_cndmask_b32_e64 v7, 0, 1, vcc_lo
	v_cmp_gt_f32_e32 vcc_lo, 0, v32
	v_lshlrev_b16 v6, 7, v6
	v_lshlrev_b16 v16, 4, v28
	;; [unrolled: 1-line block ×4, first 2 shown]
	v_cndmask_b32_e64 v17, 0, 1, vcc_lo
	v_cmp_gt_f32_e32 vcc_lo, 0, v38
	v_or_b32_e32 v5, v6, v5
	v_or_b32_e32 v4, v4, v9
	;; [unrolled: 1-line block ×3, first 2 shown]
	v_lshlrev_b16 v17, 7, v17
	v_cndmask_b32_e64 v18, 0, 1, vcc_lo
	v_cmp_gt_f32_e32 vcc_lo, 0, v42
	v_or_b32_e32 v14, v5, v14
	v_or_b32_e32 v11, v6, v11
	;; [unrolled: 1-line block ×3, first 2 shown]
	v_lshlrev_b16 v18, 7, v18
	v_cndmask_b32_e64 v20, 0, 1, vcc_lo
	v_cmp_gt_f32_e32 vcc_lo, 0, v51
	v_lshlrev_b16 v6, 4, v52
	v_lshlrev_b16 v5, 4, v46
	v_or_b32_e32 v10, v18, v22
	v_lshlrev_b16 v20, 7, v20
	v_cndmask_b32_e64 v17, 0, 1, vcc_lo
	v_cmp_gt_f32_e32 vcc_lo, 0, v45
	v_lshlrev_b16 v22, 4, v48
	v_or_b32_e32 v10, v10, v36
	v_or_b32_e32 v16, v20, v23
	v_lshlrev_b16 v17, 7, v17
	v_cndmask_b32_e64 v18, 0, 1, vcc_lo
	v_cmp_gt_f32_e32 vcc_lo, 0, v39
	v_lshlrev_b16 v23, 4, v41
	v_or_b32_e32 v7, v7, v30
	v_or_b32_e32 v6, v17, v6
	v_lshlrev_b16 v18, 7, v18
	v_cndmask_b32_e64 v20, 0, 1, vcc_lo
	v_cmp_gt_f32_e32 vcc_lo, 0, v47
	v_or_b32_e32 v16, v16, v43
	v_or_b32_e32 v6, v6, v53
	;; [unrolled: 1-line block ×3, first 2 shown]
	v_lshlrev_b16 v20, 7, v20
	v_cndmask_b32_e64 v24, 0, 1, vcc_lo
	v_cmp_gt_f32_e32 vcc_lo, 0, v33
	v_lshlrev_b16 v22, 4, v35
	v_or_b32_e32 v17, v17, v55
	v_or_b32_e32 v18, v20, v23
	v_lshlrev_b16 v23, 4, v29
	v_cndmask_b32_e64 v20, 0, 1, vcc_lo
	v_cmp_gt_f32_e32 vcc_lo, 0, v21
	v_lshlrev_b16 v17, 8, v17
	v_or_b32_e32 v18, v18, v57
	v_lshlrev_b16 v11, 8, v11
	v_lshlrev_b16 v20, 7, v20
	v_cndmask_b32_e64 v21, 0, 1, vcc_lo
	v_cmp_gt_f32_e32 vcc_lo, 0, v27
	v_or_b32_e32 v6, v6, v17
	s_delay_alu instid0(VALU_DEP_3) | instskip(SKIP_2) | instid1(VALU_DEP_3)
	v_lshlrev_b16 v21, 7, v21
	v_cndmask_b32_e64 v26, 0, 1, vcc_lo
	v_cmp_gt_f32_e32 vcc_lo, 0, v8
	v_or_b32_e32 v21, v21, v25
	s_delay_alu instid0(VALU_DEP_3) | instskip(SKIP_2) | instid1(VALU_DEP_2)
	v_lshlrev_b16 v26, 7, v26
	v_cndmask_b32_e64 v8, 0, 1, vcc_lo
	v_cmp_gt_f32_e32 vcc_lo, 0, v15
	v_lshlrev_b16 v8, 7, v8
	v_cndmask_b32_e64 v15, 0, 1, vcc_lo
	s_delay_alu instid0(VALU_DEP_2) | instskip(NEXT) | instid1(VALU_DEP_2)
	v_or_b32_e32 v8, v8, v13
	v_lshlrev_b16 v15, 7, v15
	v_or_b32_e32 v13, v20, v22
	v_or_b32_e32 v20, v26, v23
	s_delay_alu instid0(VALU_DEP_4) | instskip(NEXT) | instid1(VALU_DEP_4)
	v_or_b32_e32 v8, v8, v12
	v_or_b32_e32 v15, v15, v19
	;; [unrolled: 1-line block ×5, first 2 shown]
	v_lshlrev_b16 v8, 8, v8
	v_or_b32_e32 v15, v15, v65
	v_lshlrev_b16 v19, 8, v19
	v_lshlrev_b16 v12, 8, v12
	;; [unrolled: 1-line block ×3, first 2 shown]
	s_delay_alu instid0(VALU_DEP_4) | instskip(NEXT) | instid1(VALU_DEP_4)
	v_or_b32_e32 v8, v15, v8
	v_or_b32_e32 v13, v13, v19
	s_delay_alu instid0(VALU_DEP_4) | instskip(NEXT) | instid1(VALU_DEP_4)
	v_or_b32_e32 v12, v18, v12
	v_or_b32_e32 v5, v20, v5
	v_ashrrev_i32_e32 v18, 31, v0
	v_lshlrev_b32_e32 v8, 16, v8
	v_and_b32_e32 v13, 0xffff, v13
	v_and_b32_e32 v15, 0xffff, v6
	v_lshlrev_b32_e32 v12, 16, v12
	v_or_b32_e32 v17, v5, v49
	v_lshrrev_b32_e32 v19, 23, v3
	v_or_b32_e32 v6, v13, v8
	v_lshrrev_b32_e32 v8, 27, v18
	v_or_b32_e32 v5, v15, v12
	v_lshlrev_b16 v3, 8, v10
	v_lshlrev_b16 v10, 8, v17
	s_delay_alu instid0(VALU_DEP_4) | instskip(SKIP_1) | instid1(VALU_DEP_4)
	v_add_nc_u32_e32 v12, v0, v8
	v_or_b32_e32 v8, v14, v11
	v_or_b32_e32 v3, v7, v3
	s_delay_alu instid0(VALU_DEP_4)
	v_or_b32_e32 v7, v16, v10
	v_and_b32_e32 v10, 0xffff, v4
	v_and_b32_e32 v9, 0xffe0, v12
	v_lshlrev_b32_e32 v8, 16, v8
	v_and_b32_e32 v3, 0xffff, v3
	v_lshlrev_b32_e32 v7, 16, v7
	v_lshrrev_b32_e32 v11, 28, v18
	v_sub_nc_u32_e32 v9, v0, v9
	v_lshlrev_b32_e32 v14, 8, v2
	s_delay_alu instid0(VALU_DEP_4) | instskip(SKIP_1) | instid1(VALU_DEP_4)
	v_or_b32_e32 v4, v3, v7
	v_or_b32_e32 v3, v10, v8
	v_bfe_i32 v7, v9, 0, 8
	v_lshlrev_b32_e32 v8, 4, v0
	v_and_b32_e32 v10, -16, v0
	v_add_nc_u32_e32 v11, v0, v11
	s_delay_alu instid0(VALU_DEP_4) | instskip(NEXT) | instid1(VALU_DEP_4)
	v_lshrrev_b16 v7, 11, v7
	v_and_b32_e32 v13, 0xf0, v8
	s_delay_alu instid0(VALU_DEP_4) | instskip(NEXT) | instid1(VALU_DEP_4)
	v_mul_lo_u32 v15, v10, s5
	v_and_b32_e32 v11, 0x3ffffff0, v11
	s_delay_alu instid0(VALU_DEP_4)
	v_and_b32_e32 v16, 15, v7
	s_waitcnt lgkmcnt(0)
	v_mad_u64_u32 v[7:8], null, v10, s4, s[0:1]
	v_lshrrev_b32_e32 v10, 5, v12
	v_lshlrev_b32_e32 v12, 6, v2
	v_add_nc_u16 v9, v9, v16
	v_sub_nc_u32_e32 v0, v0, v11
	v_and_b32_e32 v16, 0x3fffff8, v2
	v_mul_lo_u32 v10, v10, s6
	v_and_b32_e32 v12, 0xc0, v12
	v_bfe_i32 v9, v9, 0, 8
	v_lshrrev_b32_e32 v2, 1, v2
	v_add3_u32 v1, v1, v8, v15
	v_and_b32_e32 v11, 0x7ffffe00, v14
	v_lshl_add_u32 v0, v0, 2, v12
	v_ashrrev_i16 v9, 4, v9
	v_add_lshl_u32 v8, v10, v16, 5
	v_and_b32_e32 v12, 0x100, v14
	s_delay_alu instid0(VALU_DEP_4) | instskip(NEXT) | instid1(VALU_DEP_4)
	v_and_or_b32 v0, v2, 2, v0
	v_bfe_i32 v9, v9, 0, 16
	v_add_co_u32 v2, vcc_lo, v7, v13
	v_add_co_ci_u32_e32 v1, vcc_lo, 0, v1, vcc_lo
	s_delay_alu instid0(VALU_DEP_3) | instskip(NEXT) | instid1(VALU_DEP_3)
	v_add3_u32 v7, v0, v8, v9
	v_add_co_u32 v0, vcc_lo, v2, v11
	s_delay_alu instid0(VALU_DEP_3) | instskip(NEXT) | instid1(VALU_DEP_3)
	v_add_co_ci_u32_e32 v1, vcc_lo, 0, v1, vcc_lo
	v_ashrrev_i32_e32 v2, 31, v7
	s_delay_alu instid0(VALU_DEP_3) | instskip(NEXT) | instid1(VALU_DEP_3)
	v_add_co_u32 v0, vcc_lo, v0, v12
	v_add_co_ci_u32_e32 v1, vcc_lo, 0, v1, vcc_lo
	v_add_co_u32 v7, vcc_lo, s2, v7
	s_delay_alu instid0(VALU_DEP_4)
	v_add_co_ci_u32_e32 v8, vcc_lo, s3, v2, vcc_lo
	global_store_b128 v[0:1], v[3:6], off
	global_store_b8 v[7:8], v19, off
.LBB11_390:
	s_nop 0
	s_sendmsg sendmsg(MSG_DEALLOC_VGPRS)
	s_endpgm
	.section	.rodata,"a",@progbits
	.p2align	6, 0x0
	.amdhsa_kernel _ZN5aiter18quant_mxfp4_kernelI6__halfLNS_16MxScaleRoundModeE2ELb1ELb0ELb1EEEvPKT_PhPfliiib
		.amdhsa_group_segment_fixed_size 0
		.amdhsa_private_segment_fixed_size 0
		.amdhsa_kernarg_size 304
		.amdhsa_user_sgpr_count 15
		.amdhsa_user_sgpr_dispatch_ptr 0
		.amdhsa_user_sgpr_queue_ptr 0
		.amdhsa_user_sgpr_kernarg_segment_ptr 1
		.amdhsa_user_sgpr_dispatch_id 0
		.amdhsa_user_sgpr_private_segment_size 0
		.amdhsa_wavefront_size32 1
		.amdhsa_uses_dynamic_stack 0
		.amdhsa_enable_private_segment 0
		.amdhsa_system_sgpr_workgroup_id_x 1
		.amdhsa_system_sgpr_workgroup_id_y 0
		.amdhsa_system_sgpr_workgroup_id_z 0
		.amdhsa_system_sgpr_workgroup_info 0
		.amdhsa_system_vgpr_workitem_id 0
		.amdhsa_next_free_vgpr 69
		.amdhsa_next_free_sgpr 16
		.amdhsa_reserve_vcc 1
		.amdhsa_float_round_mode_32 0
		.amdhsa_float_round_mode_16_64 0
		.amdhsa_float_denorm_mode_32 3
		.amdhsa_float_denorm_mode_16_64 3
		.amdhsa_dx10_clamp 1
		.amdhsa_ieee_mode 1
		.amdhsa_fp16_overflow 0
		.amdhsa_workgroup_processor_mode 1
		.amdhsa_memory_ordered 1
		.amdhsa_forward_progress 0
		.amdhsa_shared_vgpr_count 0
		.amdhsa_exception_fp_ieee_invalid_op 0
		.amdhsa_exception_fp_denorm_src 0
		.amdhsa_exception_fp_ieee_div_zero 0
		.amdhsa_exception_fp_ieee_overflow 0
		.amdhsa_exception_fp_ieee_underflow 0
		.amdhsa_exception_fp_ieee_inexact 0
		.amdhsa_exception_int_div_zero 0
	.end_amdhsa_kernel
	.section	.text._ZN5aiter18quant_mxfp4_kernelI6__halfLNS_16MxScaleRoundModeE2ELb1ELb0ELb1EEEvPKT_PhPfliiib,"axG",@progbits,_ZN5aiter18quant_mxfp4_kernelI6__halfLNS_16MxScaleRoundModeE2ELb1ELb0ELb1EEEvPKT_PhPfliiib,comdat
.Lfunc_end11:
	.size	_ZN5aiter18quant_mxfp4_kernelI6__halfLNS_16MxScaleRoundModeE2ELb1ELb0ELb1EEEvPKT_PhPfliiib, .Lfunc_end11-_ZN5aiter18quant_mxfp4_kernelI6__halfLNS_16MxScaleRoundModeE2ELb1ELb0ELb1EEEvPKT_PhPfliiib
                                        ; -- End function
	.section	.AMDGPU.csdata,"",@progbits
; Kernel info:
; codeLenInByte = 10276
; NumSgprs: 18
; NumVgprs: 69
; ScratchSize: 0
; MemoryBound: 0
; FloatMode: 240
; IeeeMode: 1
; LDSByteSize: 0 bytes/workgroup (compile time only)
; SGPRBlocks: 2
; VGPRBlocks: 8
; NumSGPRsForWavesPerEU: 18
; NumVGPRsForWavesPerEU: 69
; Occupancy: 16
; WaveLimiterHint : 0
; COMPUTE_PGM_RSRC2:SCRATCH_EN: 0
; COMPUTE_PGM_RSRC2:USER_SGPR: 15
; COMPUTE_PGM_RSRC2:TRAP_HANDLER: 0
; COMPUTE_PGM_RSRC2:TGID_X_EN: 1
; COMPUTE_PGM_RSRC2:TGID_Y_EN: 0
; COMPUTE_PGM_RSRC2:TGID_Z_EN: 0
; COMPUTE_PGM_RSRC2:TIDIG_COMP_CNT: 0
	.section	.text._ZN5aiter18quant_mxfp4_kernelI6__halfLNS_16MxScaleRoundModeE2ELb1ELb0ELb0EEEvPKT_PhPfliiib,"axG",@progbits,_ZN5aiter18quant_mxfp4_kernelI6__halfLNS_16MxScaleRoundModeE2ELb1ELb0ELb0EEEvPKT_PhPfliiib,comdat
	.protected	_ZN5aiter18quant_mxfp4_kernelI6__halfLNS_16MxScaleRoundModeE2ELb1ELb0ELb0EEEvPKT_PhPfliiib ; -- Begin function _ZN5aiter18quant_mxfp4_kernelI6__halfLNS_16MxScaleRoundModeE2ELb1ELb0ELb0EEEvPKT_PhPfliiib
	.globl	_ZN5aiter18quant_mxfp4_kernelI6__halfLNS_16MxScaleRoundModeE2ELb1ELb0ELb0EEEvPKT_PhPfliiib
	.p2align	8
	.type	_ZN5aiter18quant_mxfp4_kernelI6__halfLNS_16MxScaleRoundModeE2ELb1ELb0ELb0EEEvPKT_PhPfliiib,@function
_ZN5aiter18quant_mxfp4_kernelI6__halfLNS_16MxScaleRoundModeE2ELb1ELb0ELb0EEEvPKT_PhPfliiib: ; @_ZN5aiter18quant_mxfp4_kernelI6__halfLNS_16MxScaleRoundModeE2ELb1ELb0ELb0EEEvPKT_PhPfliiib
; %bb.0:
	s_clause 0x1
	s_load_b32 s2, s[0:1], 0x3c
	s_load_b128 s[4:7], s[0:1], 0x20
	v_mov_b32_e32 v1, 0
	s_mov_b32 s3, exec_lo
	s_delay_alu instid0(VALU_DEP_1) | instskip(SKIP_2) | instid1(SALU_CYCLE_1)
	v_mov_b32_e32 v4, v1
	s_waitcnt lgkmcnt(0)
	s_and_b32 s2, s2, 0xffff
	v_mad_u64_u32 v[2:3], null, s2, s15, v[0:1]
	s_ashr_i32 s2, s6, 31
                                        ; implicit-def: $vgpr0_vgpr1
	s_delay_alu instid0(VALU_DEP_1) | instid1(SALU_CYCLE_1)
	v_or_b32_e32 v5, s2, v3
	s_delay_alu instid0(VALU_DEP_1)
	v_cmpx_ne_u64_e32 0, v[4:5]
	s_xor_b32 s3, exec_lo, s3
	s_cbranch_execz .LBB12_2
; %bb.1:
	s_add_u32 s10, s6, s2
	s_mov_b32 s8, s2
	s_mov_b32 s9, s2
	s_addc_u32 s11, s2, s2
	s_delay_alu instid0(SALU_CYCLE_1) | instskip(NEXT) | instid1(SALU_CYCLE_1)
	s_xor_b64 s[10:11], s[10:11], s[8:9]
	v_cvt_f32_u32_e32 v0, s10
	v_cvt_f32_u32_e32 v1, s11
	s_sub_u32 s2, 0, s10
	s_subb_u32 s7, 0, s11
	s_delay_alu instid0(VALU_DEP_1) | instskip(NEXT) | instid1(VALU_DEP_1)
	v_fmamk_f32 v0, v1, 0x4f800000, v0
	v_rcp_f32_e32 v0, v0
	s_waitcnt_depctr 0xfff
	v_mul_f32_e32 v0, 0x5f7ffffc, v0
	s_delay_alu instid0(VALU_DEP_1) | instskip(NEXT) | instid1(VALU_DEP_1)
	v_mul_f32_e32 v1, 0x2f800000, v0
	v_trunc_f32_e32 v1, v1
	s_delay_alu instid0(VALU_DEP_1) | instskip(SKIP_1) | instid1(VALU_DEP_2)
	v_fmamk_f32 v0, v1, 0xcf800000, v0
	v_cvt_u32_f32_e32 v1, v1
	v_cvt_u32_f32_e32 v0, v0
	s_delay_alu instid0(VALU_DEP_2) | instskip(NEXT) | instid1(VALU_DEP_2)
	v_mul_lo_u32 v4, s2, v1
	v_mul_hi_u32 v5, s2, v0
	v_mul_lo_u32 v6, s7, v0
	s_delay_alu instid0(VALU_DEP_2) | instskip(SKIP_1) | instid1(VALU_DEP_2)
	v_add_nc_u32_e32 v4, v5, v4
	v_mul_lo_u32 v5, s2, v0
	v_add_nc_u32_e32 v4, v4, v6
	s_delay_alu instid0(VALU_DEP_2) | instskip(NEXT) | instid1(VALU_DEP_2)
	v_mul_hi_u32 v6, v0, v5
	v_mul_lo_u32 v7, v0, v4
	v_mul_hi_u32 v8, v0, v4
	v_mul_hi_u32 v9, v1, v5
	v_mul_lo_u32 v5, v1, v5
	v_mul_hi_u32 v10, v1, v4
	v_mul_lo_u32 v4, v1, v4
	v_add_co_u32 v6, vcc_lo, v6, v7
	v_add_co_ci_u32_e32 v7, vcc_lo, 0, v8, vcc_lo
	s_delay_alu instid0(VALU_DEP_2) | instskip(NEXT) | instid1(VALU_DEP_2)
	v_add_co_u32 v5, vcc_lo, v6, v5
	v_add_co_ci_u32_e32 v5, vcc_lo, v7, v9, vcc_lo
	v_add_co_ci_u32_e32 v6, vcc_lo, 0, v10, vcc_lo
	v_ashrrev_i32_e32 v9, 31, v3
	s_delay_alu instid0(VALU_DEP_3) | instskip(NEXT) | instid1(VALU_DEP_3)
	v_add_co_u32 v4, vcc_lo, v5, v4
	v_add_co_ci_u32_e32 v5, vcc_lo, 0, v6, vcc_lo
	s_delay_alu instid0(VALU_DEP_2) | instskip(NEXT) | instid1(VALU_DEP_2)
	v_add_co_u32 v0, vcc_lo, v0, v4
	v_add_co_ci_u32_e32 v1, vcc_lo, v1, v5, vcc_lo
	s_delay_alu instid0(VALU_DEP_2) | instskip(SKIP_1) | instid1(VALU_DEP_3)
	v_mul_hi_u32 v4, s2, v0
	v_mul_lo_u32 v6, s7, v0
	v_mul_lo_u32 v5, s2, v1
	s_delay_alu instid0(VALU_DEP_1) | instskip(SKIP_1) | instid1(VALU_DEP_2)
	v_add_nc_u32_e32 v4, v4, v5
	v_mul_lo_u32 v5, s2, v0
	v_add_nc_u32_e32 v4, v4, v6
	s_delay_alu instid0(VALU_DEP_2) | instskip(NEXT) | instid1(VALU_DEP_2)
	v_mul_hi_u32 v6, v0, v5
	v_mul_lo_u32 v7, v0, v4
	v_mul_hi_u32 v8, v0, v4
	v_mul_hi_u32 v10, v1, v5
	v_mul_lo_u32 v5, v1, v5
	v_mul_hi_u32 v11, v1, v4
	v_mul_lo_u32 v4, v1, v4
	v_add_co_u32 v6, vcc_lo, v6, v7
	v_add_co_ci_u32_e32 v7, vcc_lo, 0, v8, vcc_lo
	s_delay_alu instid0(VALU_DEP_2) | instskip(NEXT) | instid1(VALU_DEP_2)
	v_add_co_u32 v5, vcc_lo, v6, v5
	v_add_co_ci_u32_e32 v5, vcc_lo, v7, v10, vcc_lo
	v_add_co_ci_u32_e32 v6, vcc_lo, 0, v11, vcc_lo
	v_add_co_u32 v7, vcc_lo, v2, v9
	v_add_co_ci_u32_e32 v3, vcc_lo, v3, v9, vcc_lo
	s_delay_alu instid0(VALU_DEP_4) | instskip(NEXT) | instid1(VALU_DEP_4)
	v_add_co_u32 v4, vcc_lo, v5, v4
	v_add_co_ci_u32_e32 v5, vcc_lo, 0, v6, vcc_lo
	s_delay_alu instid0(VALU_DEP_4) | instskip(NEXT) | instid1(VALU_DEP_3)
	v_xor_b32_e32 v7, v7, v9
	v_add_co_u32 v6, vcc_lo, v0, v4
	s_delay_alu instid0(VALU_DEP_3) | instskip(SKIP_1) | instid1(VALU_DEP_3)
	v_add_co_ci_u32_e32 v8, vcc_lo, v1, v5, vcc_lo
	v_xor_b32_e32 v10, v3, v9
	v_mul_hi_u32 v11, v7, v6
	s_delay_alu instid0(VALU_DEP_3) | instskip(NEXT) | instid1(VALU_DEP_3)
	v_mad_u64_u32 v[0:1], null, v7, v8, 0
	v_mad_u64_u32 v[3:4], null, v10, v6, 0
	;; [unrolled: 1-line block ×3, first 2 shown]
	s_delay_alu instid0(VALU_DEP_3) | instskip(NEXT) | instid1(VALU_DEP_4)
	v_add_co_u32 v0, vcc_lo, v11, v0
	v_add_co_ci_u32_e32 v1, vcc_lo, 0, v1, vcc_lo
	s_delay_alu instid0(VALU_DEP_2) | instskip(NEXT) | instid1(VALU_DEP_2)
	v_add_co_u32 v0, vcc_lo, v0, v3
	v_add_co_ci_u32_e32 v0, vcc_lo, v1, v4, vcc_lo
	v_add_co_ci_u32_e32 v1, vcc_lo, 0, v6, vcc_lo
	s_delay_alu instid0(VALU_DEP_2) | instskip(NEXT) | instid1(VALU_DEP_2)
	v_add_co_u32 v3, vcc_lo, v0, v5
	v_add_co_ci_u32_e32 v4, vcc_lo, 0, v1, vcc_lo
	s_delay_alu instid0(VALU_DEP_2) | instskip(SKIP_1) | instid1(VALU_DEP_3)
	v_mul_lo_u32 v5, s11, v3
	v_mad_u64_u32 v[0:1], null, s10, v3, 0
	v_mul_lo_u32 v6, s10, v4
	s_delay_alu instid0(VALU_DEP_2) | instskip(NEXT) | instid1(VALU_DEP_2)
	v_sub_co_u32 v0, vcc_lo, v7, v0
	v_add3_u32 v1, v1, v6, v5
	s_delay_alu instid0(VALU_DEP_1) | instskip(NEXT) | instid1(VALU_DEP_1)
	v_sub_nc_u32_e32 v5, v10, v1
	v_subrev_co_ci_u32_e64 v5, s2, s11, v5, vcc_lo
	v_add_co_u32 v6, s2, v3, 2
	s_delay_alu instid0(VALU_DEP_1) | instskip(SKIP_3) | instid1(VALU_DEP_3)
	v_add_co_ci_u32_e64 v7, s2, 0, v4, s2
	v_sub_co_u32 v8, s2, v0, s10
	v_sub_co_ci_u32_e32 v1, vcc_lo, v10, v1, vcc_lo
	v_subrev_co_ci_u32_e64 v5, s2, 0, v5, s2
	v_cmp_le_u32_e32 vcc_lo, s10, v8
	s_delay_alu instid0(VALU_DEP_3) | instskip(SKIP_1) | instid1(VALU_DEP_4)
	v_cmp_eq_u32_e64 s2, s11, v1
	v_cndmask_b32_e64 v8, 0, -1, vcc_lo
	v_cmp_le_u32_e32 vcc_lo, s11, v5
	v_cndmask_b32_e64 v10, 0, -1, vcc_lo
	v_cmp_le_u32_e32 vcc_lo, s10, v0
	;; [unrolled: 2-line block ×3, first 2 shown]
	v_cndmask_b32_e64 v11, 0, -1, vcc_lo
	v_cmp_eq_u32_e32 vcc_lo, s11, v5
	s_delay_alu instid0(VALU_DEP_2) | instskip(SKIP_3) | instid1(VALU_DEP_3)
	v_cndmask_b32_e64 v0, v11, v0, s2
	v_cndmask_b32_e32 v5, v10, v8, vcc_lo
	v_add_co_u32 v8, vcc_lo, v3, 1
	v_add_co_ci_u32_e32 v10, vcc_lo, 0, v4, vcc_lo
	v_cmp_ne_u32_e32 vcc_lo, 0, v5
	s_delay_alu instid0(VALU_DEP_2) | instskip(NEXT) | instid1(VALU_DEP_4)
	v_cndmask_b32_e32 v1, v10, v7, vcc_lo
	v_cndmask_b32_e32 v5, v8, v6, vcc_lo
	v_cmp_ne_u32_e32 vcc_lo, 0, v0
	v_xor_b32_e32 v0, s8, v9
	s_delay_alu instid0(VALU_DEP_3) | instskip(SKIP_2) | instid1(VALU_DEP_3)
	v_cndmask_b32_e32 v3, v3, v5, vcc_lo
	v_cndmask_b32_e32 v1, v4, v1, vcc_lo
	v_xor_b32_e32 v4, s9, v9
	v_xor_b32_e32 v3, v3, v0
	s_delay_alu instid0(VALU_DEP_2) | instskip(NEXT) | instid1(VALU_DEP_2)
	v_xor_b32_e32 v1, v1, v4
	v_sub_co_u32 v0, vcc_lo, v3, v0
	s_delay_alu instid0(VALU_DEP_2)
	v_sub_co_ci_u32_e32 v1, vcc_lo, v1, v4, vcc_lo
.LBB12_2:
	s_and_not1_saveexec_b32 s2, s3
	s_cbranch_execz .LBB12_4
; %bb.3:
	v_cvt_f32_u32_e32 v0, s6
	s_sub_i32 s3, 0, s6
	s_delay_alu instid0(VALU_DEP_1) | instskip(SKIP_2) | instid1(VALU_DEP_1)
	v_rcp_iflag_f32_e32 v0, v0
	s_waitcnt_depctr 0xfff
	v_mul_f32_e32 v0, 0x4f7ffffe, v0
	v_cvt_u32_f32_e32 v0, v0
	s_delay_alu instid0(VALU_DEP_1) | instskip(NEXT) | instid1(VALU_DEP_1)
	v_mul_lo_u32 v1, s3, v0
	v_mul_hi_u32 v1, v0, v1
	s_delay_alu instid0(VALU_DEP_1) | instskip(NEXT) | instid1(VALU_DEP_1)
	v_add_nc_u32_e32 v0, v0, v1
	v_mul_hi_u32 v0, v2, v0
	s_delay_alu instid0(VALU_DEP_1) | instskip(SKIP_1) | instid1(VALU_DEP_2)
	v_mul_lo_u32 v1, v0, s6
	v_add_nc_u32_e32 v3, 1, v0
	v_sub_nc_u32_e32 v1, v2, v1
	s_delay_alu instid0(VALU_DEP_1) | instskip(SKIP_1) | instid1(VALU_DEP_2)
	v_subrev_nc_u32_e32 v4, s6, v1
	v_cmp_le_u32_e32 vcc_lo, s6, v1
	v_dual_cndmask_b32 v1, v1, v4 :: v_dual_cndmask_b32 v0, v0, v3
	s_delay_alu instid0(VALU_DEP_1) | instskip(NEXT) | instid1(VALU_DEP_2)
	v_cmp_le_u32_e32 vcc_lo, s6, v1
	v_add_nc_u32_e32 v3, 1, v0
	s_delay_alu instid0(VALU_DEP_1)
	v_dual_mov_b32 v1, 0 :: v_dual_cndmask_b32 v0, v0, v3
.LBB12_4:
	s_or_b32 exec_lo, exec_lo, s2
	s_load_b64 s[2:3], s[0:1], 0x18
	s_delay_alu instid0(VALU_DEP_1) | instskip(NEXT) | instid1(VALU_DEP_1)
	v_mad_u64_u32 v[3:4], null, v0, s6, 0
	v_sub_co_u32 v2, null, v2, v3
	s_waitcnt lgkmcnt(0)
	v_cmp_gt_i64_e32 vcc_lo, s[2:3], v[0:1]
	s_delay_alu instid0(VALU_DEP_2) | instskip(NEXT) | instid1(VALU_DEP_1)
	v_cmp_gt_i32_e64 s2, s5, v2
	s_and_b32 s2, vcc_lo, s2
	s_delay_alu instid0(SALU_CYCLE_1)
	s_and_saveexec_b32 s3, s2
	s_cbranch_execz .LBB12_390
; %bb.5:
	s_ashr_i32 s5, s4, 31
	s_load_b64 s[2:3], s[0:1], 0x0
	v_mul_lo_u32 v5, v1, s4
	v_mad_u64_u32 v[3:4], null, v0, s4, 0
	v_mul_lo_u32 v6, v0, s5
	s_delay_alu instid0(VALU_DEP_1) | instskip(SKIP_1) | instid1(VALU_DEP_2)
	v_add3_u32 v4, v4, v6, v5
	v_dual_mov_b32 v6, 0 :: v_dual_lshlrev_b32 v5, 5, v2
	v_lshlrev_b64 v[3:4], 1, v[3:4]
	s_delay_alu instid0(VALU_DEP_2) | instskip(SKIP_1) | instid1(VALU_DEP_2)
	v_lshlrev_b64 v[5:6], 1, v[5:6]
	s_waitcnt lgkmcnt(0)
	v_add_co_u32 v3, vcc_lo, s2, v3
	s_delay_alu instid0(VALU_DEP_3) | instskip(SKIP_1) | instid1(VALU_DEP_2)
	v_add_co_ci_u32_e32 v4, vcc_lo, s3, v4, vcc_lo
	s_mov_b32 s2, 0xc2fe0000
	v_add_co_u32 v7, vcc_lo, v3, v5
	s_delay_alu instid0(VALU_DEP_2)
	v_add_co_ci_u32_e32 v8, vcc_lo, v4, v6, vcc_lo
	s_clause 0x3
	global_load_b128 v[3:6], v[7:8], off
	global_load_b128 v[10:13], v[7:8], off offset:16
	global_load_b128 v[52:55], v[7:8], off offset:32
	;; [unrolled: 1-line block ×3, first 2 shown]
	s_waitcnt vmcnt(3)
	v_lshrrev_b32_e32 v7, 16, v3
	v_cvt_f32_f16_e32 v17, v3
	v_lshrrev_b32_e32 v3, 16, v4
	v_cvt_f32_f16_e32 v9, v4
	;; [unrolled: 2-line block ×3, first 2 shown]
	v_cvt_f32_f16_e32 v16, v5
	v_cvt_f32_f16_e32 v14, v3
	v_lshrrev_b32_e32 v5, 16, v6
	v_cvt_f32_f16_e32 v20, v4
	v_max3_f32 v3, |v17|, 0, |v7|
	v_cvt_f32_f16_e32 v22, v6
	s_waitcnt vmcnt(2)
	v_lshrrev_b32_e32 v4, 16, v10
	v_cvt_f32_f16_e32 v26, v5
	v_cvt_f32_f16_e32 v28, v10
	v_max3_f32 v3, v3, |v9|, |v14|
	v_lshrrev_b32_e32 v5, 16, v11
	v_cvt_f32_f16_e32 v32, v4
	v_cvt_f32_f16_e32 v34, v11
	v_lshrrev_b32_e32 v4, 16, v12
	v_max3_f32 v3, v3, |v16|, |v20|
	v_cvt_f32_f16_e32 v37, v5
	v_cvt_f32_f16_e32 v40, v12
	v_lshrrev_b32_e32 v5, 16, v13
	v_cvt_f32_f16_e32 v42, v4
	v_max3_f32 v3, v3, |v22|, |v26|
	v_cvt_f32_f16_e32 v46, v13
	s_waitcnt vmcnt(1)
	v_lshrrev_b32_e32 v4, 16, v52
	v_cvt_f32_f16_e32 v48, v5
	v_cvt_f32_f16_e32 v52, v52
	v_max3_f32 v3, v3, |v28|, |v32|
	v_lshrrev_b32_e32 v5, 16, v53
	v_cvt_f32_f16_e32 v51, v4
	v_cvt_f32_f16_e32 v47, v53
	v_lshrrev_b32_e32 v4, 16, v54
	v_max3_f32 v3, v3, |v34|, |v37|
	v_cvt_f32_f16_e32 v45, v5
	v_cvt_f32_f16_e32 v41, v54
	v_lshrrev_b32_e32 v5, 16, v55
	v_cvt_f32_f16_e32 v39, v4
	v_max3_f32 v3, v3, |v40|, |v42|
	;; [unrolled: 16-line block ×3, first 2 shown]
	v_cvt_f32_f16_e32 v13, v59
	s_delay_alu instid0(VALU_DEP_4) | instskip(NEXT) | instid1(VALU_DEP_3)
	v_cvt_f32_f16_e32 v8, v5
	v_max3_f32 v3, v3, |v41|, |v39|
	s_delay_alu instid0(VALU_DEP_1) | instskip(NEXT) | instid1(VALU_DEP_1)
	v_max3_f32 v3, v3, |v35|, |v33|
	v_max3_f32 v3, v3, |v29|, |v27|
	s_delay_alu instid0(VALU_DEP_1) | instskip(NEXT) | instid1(VALU_DEP_1)
	v_max3_f32 v3, v3, |v25|, |v21|
	;; [unrolled: 3-line block ×3, first 2 shown]
	v_add_nc_u32_e32 v3, 0x200000, v3
	s_delay_alu instid0(VALU_DEP_1) | instskip(NEXT) | instid1(VALU_DEP_1)
	v_and_b32_e32 v3, 0x7f800000, v3
	v_cmp_gt_f32_e32 vcc_lo, 0x800000, v3
	v_cndmask_b32_e64 v4, 1.0, 0x4f800000, vcc_lo
	s_delay_alu instid0(VALU_DEP_1) | instskip(SKIP_1) | instid1(VALU_DEP_2)
	v_mul_f32_e32 v3, v3, v4
	v_cndmask_b32_e64 v4, 0, 0x42000000, vcc_lo
	v_log_f32_e32 v3, v3
	s_waitcnt_depctr 0xfff
	v_sub_f32_e32 v3, v3, v4
	s_delay_alu instid0(VALU_DEP_1) | instskip(NEXT) | instid1(VALU_DEP_1)
	v_floor_f32_e32 v3, v3
	v_add_f32_e32 v3, -2.0, v3
	s_delay_alu instid0(VALU_DEP_1) | instskip(SKIP_1) | instid1(VALU_DEP_1)
	v_maxmin_f32 v3, v3, s2, 0x42fe0000
	s_mov_b32 s2, exec_lo
	v_cmp_gt_f32_e32 vcc_lo, 0xc2fc0000, v3
	v_cndmask_b32_e64 v4, 0, 0x42800000, vcc_lo
	s_delay_alu instid0(VALU_DEP_1) | instskip(SKIP_1) | instid1(VALU_DEP_2)
	v_add_f32_e32 v3, v3, v4
	v_cndmask_b32_e64 v4, 1.0, 0x1f800000, vcc_lo
	v_exp_f32_e32 v3, v3
	s_waitcnt_depctr 0xfff
	v_mul_f32_e32 v3, v3, v4
	s_delay_alu instid0(VALU_DEP_1) | instskip(SKIP_1) | instid1(VALU_DEP_2)
	v_div_scale_f32 v4, null, v3, v3, 1.0
	v_div_scale_f32 v10, vcc_lo, 1.0, v3, 1.0
	v_rcp_f32_e32 v5, v4
	s_waitcnt_depctr 0xfff
	v_fma_f32 v6, -v4, v5, 1.0
	s_delay_alu instid0(VALU_DEP_1) | instskip(NEXT) | instid1(VALU_DEP_1)
	v_fmac_f32_e32 v5, v6, v5
	v_mul_f32_e32 v6, v10, v5
	s_delay_alu instid0(VALU_DEP_1) | instskip(NEXT) | instid1(VALU_DEP_1)
	v_fma_f32 v11, -v4, v6, v10
	v_fmac_f32_e32 v6, v11, v5
	s_delay_alu instid0(VALU_DEP_1) | instskip(NEXT) | instid1(VALU_DEP_1)
	v_fma_f32 v4, -v4, v6, v10
	v_div_fmas_f32 v4, v4, v5, v6
	v_cmp_neq_f32_e32 vcc_lo, 0, v3
	v_dual_mov_b32 v6, 7 :: v_dual_mov_b32 v5, 7
	s_delay_alu instid0(VALU_DEP_3) | instskip(NEXT) | instid1(VALU_DEP_1)
	v_div_fixup_f32 v4, v4, v3, 1.0
	v_cndmask_b32_e32 v12, 0, v4, vcc_lo
	s_delay_alu instid0(VALU_DEP_1) | instskip(NEXT) | instid1(VALU_DEP_1)
	v_mul_f32_e32 v4, v12, v17
	v_cmpx_nle_f32_e64 0x40a00000, |v4|
	s_cbranch_execz .LBB12_17
; %bb.6:
	v_mov_b32_e32 v5, 6
	s_mov_b32 s3, exec_lo
	v_cmpx_nle_f32_e64 0x40600000, |v4|
	s_cbranch_execz .LBB12_16
; %bb.7:
	v_mov_b32_e32 v5, 5
	s_mov_b32 s5, exec_lo
	;; [unrolled: 5-line block ×5, first 2 shown]
	v_cmpx_nle_f32_e64 0x3f400000, |v4|
; %bb.11:
	v_cmp_le_f32_e64 s10, 0x3e800000, |v4|
	s_delay_alu instid0(VALU_DEP_1)
	v_cndmask_b32_e64 v5, 0, 1, s10
; %bb.12:
	s_or_b32 exec_lo, exec_lo, s9
.LBB12_13:
	s_delay_alu instid0(SALU_CYCLE_1)
	s_or_b32 exec_lo, exec_lo, s8
.LBB12_14:
	s_delay_alu instid0(SALU_CYCLE_1)
	s_or_b32 exec_lo, exec_lo, s7
.LBB12_15:
	s_delay_alu instid0(SALU_CYCLE_1)
	s_or_b32 exec_lo, exec_lo, s5
.LBB12_16:
	s_delay_alu instid0(SALU_CYCLE_1)
	s_or_b32 exec_lo, exec_lo, s3
.LBB12_17:
	s_delay_alu instid0(SALU_CYCLE_1) | instskip(SKIP_2) | instid1(VALU_DEP_1)
	s_or_b32 exec_lo, exec_lo, s2
	v_mul_f32_e32 v7, v12, v7
	s_mov_b32 s2, exec_lo
	v_cmpx_nle_f32_e64 0x40a00000, |v7|
	s_cbranch_execz .LBB12_29
; %bb.18:
	v_mov_b32_e32 v6, 6
	s_mov_b32 s3, exec_lo
	v_cmpx_nle_f32_e64 0x40600000, |v7|
	s_cbranch_execz .LBB12_28
; %bb.19:
	v_mov_b32_e32 v6, 5
	;; [unrolled: 5-line block ×5, first 2 shown]
	s_mov_b32 s9, exec_lo
	v_cmpx_nle_f32_e64 0x3f400000, |v7|
; %bb.23:
	v_cmp_le_f32_e64 s10, 0x3e800000, |v7|
	s_delay_alu instid0(VALU_DEP_1)
	v_cndmask_b32_e64 v6, 0, 1, s10
; %bb.24:
	s_or_b32 exec_lo, exec_lo, s9
.LBB12_25:
	s_delay_alu instid0(SALU_CYCLE_1)
	s_or_b32 exec_lo, exec_lo, s8
.LBB12_26:
	s_delay_alu instid0(SALU_CYCLE_1)
	s_or_b32 exec_lo, exec_lo, s7
.LBB12_27:
	s_delay_alu instid0(SALU_CYCLE_1)
	s_or_b32 exec_lo, exec_lo, s5
.LBB12_28:
	s_delay_alu instid0(SALU_CYCLE_1)
	s_or_b32 exec_lo, exec_lo, s3
.LBB12_29:
	s_delay_alu instid0(SALU_CYCLE_1) | instskip(SKIP_3) | instid1(VALU_DEP_2)
	s_or_b32 exec_lo, exec_lo, s2
	v_dual_mul_f32 v10, v12, v9 :: v_dual_mov_b32 v9, 7
	v_mov_b32_e32 v11, 7
	s_mov_b32 s2, exec_lo
	v_cmpx_nle_f32_e64 0x40a00000, |v10|
	s_cbranch_execz .LBB12_41
; %bb.30:
	v_mov_b32_e32 v11, 6
	s_mov_b32 s3, exec_lo
	v_cmpx_nle_f32_e64 0x40600000, |v10|
	s_cbranch_execz .LBB12_40
; %bb.31:
	;; [unrolled: 5-line block ×5, first 2 shown]
	v_mov_b32_e32 v11, 2
	s_mov_b32 s9, exec_lo
	v_cmpx_nle_f32_e64 0x3f400000, |v10|
; %bb.35:
	v_cmp_le_f32_e64 s10, 0x3e800000, |v10|
	s_delay_alu instid0(VALU_DEP_1)
	v_cndmask_b32_e64 v11, 0, 1, s10
; %bb.36:
	s_or_b32 exec_lo, exec_lo, s9
.LBB12_37:
	s_delay_alu instid0(SALU_CYCLE_1)
	s_or_b32 exec_lo, exec_lo, s8
.LBB12_38:
	s_delay_alu instid0(SALU_CYCLE_1)
	s_or_b32 exec_lo, exec_lo, s7
.LBB12_39:
	s_delay_alu instid0(SALU_CYCLE_1)
	s_or_b32 exec_lo, exec_lo, s5
.LBB12_40:
	s_delay_alu instid0(SALU_CYCLE_1)
	s_or_b32 exec_lo, exec_lo, s3
.LBB12_41:
	s_delay_alu instid0(SALU_CYCLE_1) | instskip(SKIP_2) | instid1(VALU_DEP_1)
	s_or_b32 exec_lo, exec_lo, s2
	v_mul_f32_e32 v14, v12, v14
	s_mov_b32 s2, exec_lo
	v_cmpx_nle_f32_e64 0x40a00000, |v14|
	s_cbranch_execz .LBB12_53
; %bb.42:
	v_mov_b32_e32 v9, 6
	s_mov_b32 s3, exec_lo
	v_cmpx_nle_f32_e64 0x40600000, |v14|
	s_cbranch_execz .LBB12_52
; %bb.43:
	v_mov_b32_e32 v9, 5
	;; [unrolled: 5-line block ×5, first 2 shown]
	s_mov_b32 s9, exec_lo
	v_cmpx_nle_f32_e64 0x3f400000, |v14|
; %bb.47:
	v_cmp_le_f32_e64 s10, 0x3e800000, |v14|
	s_delay_alu instid0(VALU_DEP_1)
	v_cndmask_b32_e64 v9, 0, 1, s10
; %bb.48:
	s_or_b32 exec_lo, exec_lo, s9
.LBB12_49:
	s_delay_alu instid0(SALU_CYCLE_1)
	s_or_b32 exec_lo, exec_lo, s8
.LBB12_50:
	s_delay_alu instid0(SALU_CYCLE_1)
	s_or_b32 exec_lo, exec_lo, s7
.LBB12_51:
	s_delay_alu instid0(SALU_CYCLE_1)
	s_or_b32 exec_lo, exec_lo, s5
.LBB12_52:
	s_delay_alu instid0(SALU_CYCLE_1)
	s_or_b32 exec_lo, exec_lo, s3
.LBB12_53:
	s_delay_alu instid0(SALU_CYCLE_1) | instskip(SKIP_3) | instid1(VALU_DEP_2)
	s_or_b32 exec_lo, exec_lo, s2
	v_dual_mul_f32 v18, v12, v16 :: v_dual_mov_b32 v17, 7
	v_mov_b32_e32 v16, 7
	s_mov_b32 s2, exec_lo
	v_cmpx_nle_f32_e64 0x40a00000, |v18|
	s_cbranch_execz .LBB12_65
; %bb.54:
	v_mov_b32_e32 v17, 6
	s_mov_b32 s3, exec_lo
	v_cmpx_nle_f32_e64 0x40600000, |v18|
	s_cbranch_execz .LBB12_64
; %bb.55:
	;; [unrolled: 5-line block ×5, first 2 shown]
	v_mov_b32_e32 v17, 2
	s_mov_b32 s9, exec_lo
	v_cmpx_nle_f32_e64 0x3f400000, |v18|
; %bb.59:
	v_cmp_le_f32_e64 s10, 0x3e800000, |v18|
	s_delay_alu instid0(VALU_DEP_1)
	v_cndmask_b32_e64 v17, 0, 1, s10
; %bb.60:
	s_or_b32 exec_lo, exec_lo, s9
.LBB12_61:
	s_delay_alu instid0(SALU_CYCLE_1)
	s_or_b32 exec_lo, exec_lo, s8
.LBB12_62:
	s_delay_alu instid0(SALU_CYCLE_1)
	s_or_b32 exec_lo, exec_lo, s7
.LBB12_63:
	s_delay_alu instid0(SALU_CYCLE_1)
	s_or_b32 exec_lo, exec_lo, s5
.LBB12_64:
	s_delay_alu instid0(SALU_CYCLE_1)
	s_or_b32 exec_lo, exec_lo, s3
.LBB12_65:
	s_delay_alu instid0(SALU_CYCLE_1) | instskip(SKIP_2) | instid1(VALU_DEP_1)
	s_or_b32 exec_lo, exec_lo, s2
	v_mul_f32_e32 v20, v12, v20
	s_mov_b32 s2, exec_lo
	v_cmpx_nle_f32_e64 0x40a00000, |v20|
	s_cbranch_execz .LBB12_77
; %bb.66:
	v_mov_b32_e32 v16, 6
	s_mov_b32 s3, exec_lo
	v_cmpx_nle_f32_e64 0x40600000, |v20|
	s_cbranch_execz .LBB12_76
; %bb.67:
	v_mov_b32_e32 v16, 5
	;; [unrolled: 5-line block ×5, first 2 shown]
	s_mov_b32 s9, exec_lo
	v_cmpx_nle_f32_e64 0x3f400000, |v20|
; %bb.71:
	v_cmp_le_f32_e64 s10, 0x3e800000, |v20|
	s_delay_alu instid0(VALU_DEP_1)
	v_cndmask_b32_e64 v16, 0, 1, s10
; %bb.72:
	s_or_b32 exec_lo, exec_lo, s9
.LBB12_73:
	s_delay_alu instid0(SALU_CYCLE_1)
	s_or_b32 exec_lo, exec_lo, s8
.LBB12_74:
	s_delay_alu instid0(SALU_CYCLE_1)
	s_or_b32 exec_lo, exec_lo, s7
.LBB12_75:
	s_delay_alu instid0(SALU_CYCLE_1)
	s_or_b32 exec_lo, exec_lo, s5
.LBB12_76:
	s_delay_alu instid0(SALU_CYCLE_1)
	s_or_b32 exec_lo, exec_lo, s3
.LBB12_77:
	s_delay_alu instid0(SALU_CYCLE_1) | instskip(SKIP_3) | instid1(VALU_DEP_2)
	s_or_b32 exec_lo, exec_lo, s2
	v_dual_mul_f32 v24, v12, v22 :: v_dual_mov_b32 v23, 7
	v_mov_b32_e32 v22, 7
	s_mov_b32 s2, exec_lo
	v_cmpx_nle_f32_e64 0x40a00000, |v24|
	s_cbranch_execz .LBB12_89
; %bb.78:
	v_mov_b32_e32 v23, 6
	s_mov_b32 s3, exec_lo
	v_cmpx_nle_f32_e64 0x40600000, |v24|
	s_cbranch_execz .LBB12_88
; %bb.79:
	;; [unrolled: 5-line block ×5, first 2 shown]
	v_mov_b32_e32 v23, 2
	s_mov_b32 s9, exec_lo
	v_cmpx_nle_f32_e64 0x3f400000, |v24|
; %bb.83:
	v_cmp_le_f32_e64 s10, 0x3e800000, |v24|
	s_delay_alu instid0(VALU_DEP_1)
	v_cndmask_b32_e64 v23, 0, 1, s10
; %bb.84:
	s_or_b32 exec_lo, exec_lo, s9
.LBB12_85:
	s_delay_alu instid0(SALU_CYCLE_1)
	s_or_b32 exec_lo, exec_lo, s8
.LBB12_86:
	s_delay_alu instid0(SALU_CYCLE_1)
	s_or_b32 exec_lo, exec_lo, s7
.LBB12_87:
	s_delay_alu instid0(SALU_CYCLE_1)
	s_or_b32 exec_lo, exec_lo, s5
.LBB12_88:
	s_delay_alu instid0(SALU_CYCLE_1)
	s_or_b32 exec_lo, exec_lo, s3
.LBB12_89:
	s_delay_alu instid0(SALU_CYCLE_1) | instskip(SKIP_2) | instid1(VALU_DEP_1)
	s_or_b32 exec_lo, exec_lo, s2
	v_mul_f32_e32 v26, v12, v26
	s_mov_b32 s2, exec_lo
	v_cmpx_nle_f32_e64 0x40a00000, |v26|
	s_cbranch_execz .LBB12_101
; %bb.90:
	v_mov_b32_e32 v22, 6
	s_mov_b32 s3, exec_lo
	v_cmpx_nle_f32_e64 0x40600000, |v26|
	s_cbranch_execz .LBB12_100
; %bb.91:
	v_mov_b32_e32 v22, 5
	;; [unrolled: 5-line block ×5, first 2 shown]
	s_mov_b32 s9, exec_lo
	v_cmpx_nle_f32_e64 0x3f400000, |v26|
; %bb.95:
	v_cmp_le_f32_e64 s10, 0x3e800000, |v26|
	s_delay_alu instid0(VALU_DEP_1)
	v_cndmask_b32_e64 v22, 0, 1, s10
; %bb.96:
	s_or_b32 exec_lo, exec_lo, s9
.LBB12_97:
	s_delay_alu instid0(SALU_CYCLE_1)
	s_or_b32 exec_lo, exec_lo, s8
.LBB12_98:
	s_delay_alu instid0(SALU_CYCLE_1)
	s_or_b32 exec_lo, exec_lo, s7
.LBB12_99:
	s_delay_alu instid0(SALU_CYCLE_1)
	s_or_b32 exec_lo, exec_lo, s5
.LBB12_100:
	s_delay_alu instid0(SALU_CYCLE_1)
	s_or_b32 exec_lo, exec_lo, s3
.LBB12_101:
	s_delay_alu instid0(SALU_CYCLE_1) | instskip(SKIP_3) | instid1(VALU_DEP_2)
	s_or_b32 exec_lo, exec_lo, s2
	v_dual_mul_f32 v30, v12, v28 :: v_dual_mov_b32 v31, 7
	v_mov_b32_e32 v28, 7
	s_mov_b32 s2, exec_lo
	v_cmpx_nle_f32_e64 0x40a00000, |v30|
	s_cbranch_execz .LBB12_113
; %bb.102:
	v_mov_b32_e32 v31, 6
	s_mov_b32 s3, exec_lo
	v_cmpx_nle_f32_e64 0x40600000, |v30|
	s_cbranch_execz .LBB12_112
; %bb.103:
	;; [unrolled: 5-line block ×5, first 2 shown]
	v_mov_b32_e32 v31, 2
	s_mov_b32 s9, exec_lo
	v_cmpx_nle_f32_e64 0x3f400000, |v30|
; %bb.107:
	v_cmp_le_f32_e64 s10, 0x3e800000, |v30|
	s_delay_alu instid0(VALU_DEP_1)
	v_cndmask_b32_e64 v31, 0, 1, s10
; %bb.108:
	s_or_b32 exec_lo, exec_lo, s9
.LBB12_109:
	s_delay_alu instid0(SALU_CYCLE_1)
	s_or_b32 exec_lo, exec_lo, s8
.LBB12_110:
	s_delay_alu instid0(SALU_CYCLE_1)
	s_or_b32 exec_lo, exec_lo, s7
.LBB12_111:
	s_delay_alu instid0(SALU_CYCLE_1)
	s_or_b32 exec_lo, exec_lo, s5
.LBB12_112:
	s_delay_alu instid0(SALU_CYCLE_1)
	s_or_b32 exec_lo, exec_lo, s3
.LBB12_113:
	s_delay_alu instid0(SALU_CYCLE_1) | instskip(SKIP_2) | instid1(VALU_DEP_1)
	s_or_b32 exec_lo, exec_lo, s2
	v_mul_f32_e32 v32, v12, v32
	s_mov_b32 s2, exec_lo
	v_cmpx_nle_f32_e64 0x40a00000, |v32|
	s_cbranch_execz .LBB12_125
; %bb.114:
	v_mov_b32_e32 v28, 6
	s_mov_b32 s3, exec_lo
	v_cmpx_nle_f32_e64 0x40600000, |v32|
	s_cbranch_execz .LBB12_124
; %bb.115:
	v_mov_b32_e32 v28, 5
	;; [unrolled: 5-line block ×5, first 2 shown]
	s_mov_b32 s9, exec_lo
	v_cmpx_nle_f32_e64 0x3f400000, |v32|
; %bb.119:
	v_cmp_le_f32_e64 s10, 0x3e800000, |v32|
	s_delay_alu instid0(VALU_DEP_1)
	v_cndmask_b32_e64 v28, 0, 1, s10
; %bb.120:
	s_or_b32 exec_lo, exec_lo, s9
.LBB12_121:
	s_delay_alu instid0(SALU_CYCLE_1)
	s_or_b32 exec_lo, exec_lo, s8
.LBB12_122:
	s_delay_alu instid0(SALU_CYCLE_1)
	s_or_b32 exec_lo, exec_lo, s7
.LBB12_123:
	s_delay_alu instid0(SALU_CYCLE_1)
	s_or_b32 exec_lo, exec_lo, s5
.LBB12_124:
	s_delay_alu instid0(SALU_CYCLE_1)
	s_or_b32 exec_lo, exec_lo, s3
.LBB12_125:
	s_delay_alu instid0(SALU_CYCLE_1) | instskip(SKIP_4) | instid1(VALU_DEP_3)
	s_or_b32 exec_lo, exec_lo, s2
	v_mul_f32_e32 v36, v12, v34
	v_mov_b32_e32 v34, 7
	v_mov_b32_e32 v38, 7
	s_mov_b32 s2, exec_lo
	v_cmpx_nle_f32_e64 0x40a00000, |v36|
	s_cbranch_execz .LBB12_137
; %bb.126:
	v_mov_b32_e32 v38, 6
	s_mov_b32 s3, exec_lo
	v_cmpx_nle_f32_e64 0x40600000, |v36|
	s_cbranch_execz .LBB12_136
; %bb.127:
	;; [unrolled: 5-line block ×5, first 2 shown]
	v_mov_b32_e32 v38, 2
	s_mov_b32 s9, exec_lo
	v_cmpx_nle_f32_e64 0x3f400000, |v36|
; %bb.131:
	v_cmp_le_f32_e64 s10, 0x3e800000, |v36|
	s_delay_alu instid0(VALU_DEP_1)
	v_cndmask_b32_e64 v38, 0, 1, s10
; %bb.132:
	s_or_b32 exec_lo, exec_lo, s9
.LBB12_133:
	s_delay_alu instid0(SALU_CYCLE_1)
	s_or_b32 exec_lo, exec_lo, s8
.LBB12_134:
	s_delay_alu instid0(SALU_CYCLE_1)
	s_or_b32 exec_lo, exec_lo, s7
.LBB12_135:
	s_delay_alu instid0(SALU_CYCLE_1)
	s_or_b32 exec_lo, exec_lo, s5
.LBB12_136:
	s_delay_alu instid0(SALU_CYCLE_1)
	s_or_b32 exec_lo, exec_lo, s3
.LBB12_137:
	s_delay_alu instid0(SALU_CYCLE_1) | instskip(SKIP_2) | instid1(VALU_DEP_1)
	s_or_b32 exec_lo, exec_lo, s2
	v_mul_f32_e32 v37, v12, v37
	s_mov_b32 s2, exec_lo
	v_cmpx_nle_f32_e64 0x40a00000, |v37|
	s_cbranch_execz .LBB12_149
; %bb.138:
	v_mov_b32_e32 v34, 6
	s_mov_b32 s3, exec_lo
	v_cmpx_nle_f32_e64 0x40600000, |v37|
	s_cbranch_execz .LBB12_148
; %bb.139:
	v_mov_b32_e32 v34, 5
	;; [unrolled: 5-line block ×5, first 2 shown]
	s_mov_b32 s9, exec_lo
	v_cmpx_nle_f32_e64 0x3f400000, |v37|
; %bb.143:
	v_cmp_le_f32_e64 s10, 0x3e800000, |v37|
	s_delay_alu instid0(VALU_DEP_1)
	v_cndmask_b32_e64 v34, 0, 1, s10
; %bb.144:
	s_or_b32 exec_lo, exec_lo, s9
.LBB12_145:
	s_delay_alu instid0(SALU_CYCLE_1)
	s_or_b32 exec_lo, exec_lo, s8
.LBB12_146:
	s_delay_alu instid0(SALU_CYCLE_1)
	s_or_b32 exec_lo, exec_lo, s7
.LBB12_147:
	s_delay_alu instid0(SALU_CYCLE_1)
	s_or_b32 exec_lo, exec_lo, s5
.LBB12_148:
	s_delay_alu instid0(SALU_CYCLE_1)
	s_or_b32 exec_lo, exec_lo, s3
.LBB12_149:
	s_delay_alu instid0(SALU_CYCLE_1) | instskip(SKIP_3) | instid1(VALU_DEP_2)
	s_or_b32 exec_lo, exec_lo, s2
	v_dual_mul_f32 v44, v12, v40 :: v_dual_mov_b32 v43, 7
	v_mov_b32_e32 v40, 7
	s_mov_b32 s2, exec_lo
	v_cmpx_nle_f32_e64 0x40a00000, |v44|
	s_cbranch_execz .LBB12_161
; %bb.150:
	v_mov_b32_e32 v43, 6
	s_mov_b32 s3, exec_lo
	v_cmpx_nle_f32_e64 0x40600000, |v44|
	s_cbranch_execz .LBB12_160
; %bb.151:
	;; [unrolled: 5-line block ×5, first 2 shown]
	v_mov_b32_e32 v43, 2
	s_mov_b32 s9, exec_lo
	v_cmpx_nle_f32_e64 0x3f400000, |v44|
; %bb.155:
	v_cmp_le_f32_e64 s10, 0x3e800000, |v44|
	s_delay_alu instid0(VALU_DEP_1)
	v_cndmask_b32_e64 v43, 0, 1, s10
; %bb.156:
	s_or_b32 exec_lo, exec_lo, s9
.LBB12_157:
	s_delay_alu instid0(SALU_CYCLE_1)
	s_or_b32 exec_lo, exec_lo, s8
.LBB12_158:
	s_delay_alu instid0(SALU_CYCLE_1)
	s_or_b32 exec_lo, exec_lo, s7
.LBB12_159:
	s_delay_alu instid0(SALU_CYCLE_1)
	s_or_b32 exec_lo, exec_lo, s5
.LBB12_160:
	s_delay_alu instid0(SALU_CYCLE_1)
	s_or_b32 exec_lo, exec_lo, s3
.LBB12_161:
	s_delay_alu instid0(SALU_CYCLE_1) | instskip(SKIP_2) | instid1(VALU_DEP_1)
	s_or_b32 exec_lo, exec_lo, s2
	v_mul_f32_e32 v42, v12, v42
	s_mov_b32 s2, exec_lo
	v_cmpx_nle_f32_e64 0x40a00000, |v42|
	s_cbranch_execz .LBB12_173
; %bb.162:
	v_mov_b32_e32 v40, 6
	s_mov_b32 s3, exec_lo
	v_cmpx_nle_f32_e64 0x40600000, |v42|
	s_cbranch_execz .LBB12_172
; %bb.163:
	v_mov_b32_e32 v40, 5
	s_mov_b32 s5, exec_lo
	v_cmpx_nle_f32_e64 0x40200000, |v42|
	s_cbranch_execz .LBB12_171
; %bb.164:
	v_mov_b32_e32 v40, 4
	s_mov_b32 s7, exec_lo
	v_cmpx_nle_f32_e64 0x3fe00000, |v42|
	s_cbranch_execz .LBB12_170
; %bb.165:
	v_mov_b32_e32 v40, 3
	s_mov_b32 s8, exec_lo
	v_cmpx_nle_f32_e64 0x3fa00000, |v42|
	s_cbranch_execz .LBB12_169
; %bb.166:
	v_mov_b32_e32 v40, 2
	s_mov_b32 s9, exec_lo
	v_cmpx_nle_f32_e64 0x3f400000, |v42|
; %bb.167:
	v_cmp_le_f32_e64 s10, 0x3e800000, |v42|
	s_delay_alu instid0(VALU_DEP_1)
	v_cndmask_b32_e64 v40, 0, 1, s10
; %bb.168:
	s_or_b32 exec_lo, exec_lo, s9
.LBB12_169:
	s_delay_alu instid0(SALU_CYCLE_1)
	s_or_b32 exec_lo, exec_lo, s8
.LBB12_170:
	s_delay_alu instid0(SALU_CYCLE_1)
	s_or_b32 exec_lo, exec_lo, s7
.LBB12_171:
	s_delay_alu instid0(SALU_CYCLE_1)
	s_or_b32 exec_lo, exec_lo, s5
.LBB12_172:
	s_delay_alu instid0(SALU_CYCLE_1)
	s_or_b32 exec_lo, exec_lo, s3
.LBB12_173:
	s_delay_alu instid0(SALU_CYCLE_1) | instskip(SKIP_3) | instid1(VALU_DEP_2)
	s_or_b32 exec_lo, exec_lo, s2
	v_dual_mul_f32 v50, v12, v46 :: v_dual_mov_b32 v49, 7
	v_mov_b32_e32 v46, 7
	s_mov_b32 s2, exec_lo
	v_cmpx_nle_f32_e64 0x40a00000, |v50|
	s_cbranch_execz .LBB12_185
; %bb.174:
	v_mov_b32_e32 v49, 6
	s_mov_b32 s3, exec_lo
	v_cmpx_nle_f32_e64 0x40600000, |v50|
	s_cbranch_execz .LBB12_184
; %bb.175:
	v_mov_b32_e32 v49, 5
	s_mov_b32 s5, exec_lo
	v_cmpx_nle_f32_e64 0x40200000, |v50|
	s_cbranch_execz .LBB12_183
; %bb.176:
	v_mov_b32_e32 v49, 4
	s_mov_b32 s7, exec_lo
	v_cmpx_nle_f32_e64 0x3fe00000, |v50|
	s_cbranch_execz .LBB12_182
; %bb.177:
	v_mov_b32_e32 v49, 3
	s_mov_b32 s8, exec_lo
	v_cmpx_nle_f32_e64 0x3fa00000, |v50|
	s_cbranch_execz .LBB12_181
; %bb.178:
	v_mov_b32_e32 v49, 2
	s_mov_b32 s9, exec_lo
	v_cmpx_nle_f32_e64 0x3f400000, |v50|
; %bb.179:
	v_cmp_le_f32_e64 s10, 0x3e800000, |v50|
	s_delay_alu instid0(VALU_DEP_1)
	v_cndmask_b32_e64 v49, 0, 1, s10
; %bb.180:
	s_or_b32 exec_lo, exec_lo, s9
.LBB12_181:
	s_delay_alu instid0(SALU_CYCLE_1)
	s_or_b32 exec_lo, exec_lo, s8
.LBB12_182:
	s_delay_alu instid0(SALU_CYCLE_1)
	s_or_b32 exec_lo, exec_lo, s7
.LBB12_183:
	s_delay_alu instid0(SALU_CYCLE_1)
	s_or_b32 exec_lo, exec_lo, s5
.LBB12_184:
	s_delay_alu instid0(SALU_CYCLE_1)
	s_or_b32 exec_lo, exec_lo, s3
.LBB12_185:
	s_delay_alu instid0(SALU_CYCLE_1) | instskip(SKIP_2) | instid1(VALU_DEP_1)
	s_or_b32 exec_lo, exec_lo, s2
	v_mul_f32_e32 v48, v12, v48
	s_mov_b32 s2, exec_lo
	v_cmpx_nle_f32_e64 0x40a00000, |v48|
	s_cbranch_execz .LBB12_197
; %bb.186:
	v_mov_b32_e32 v46, 6
	s_mov_b32 s3, exec_lo
	v_cmpx_nle_f32_e64 0x40600000, |v48|
	s_cbranch_execz .LBB12_196
; %bb.187:
	v_mov_b32_e32 v46, 5
	;; [unrolled: 5-line block ×5, first 2 shown]
	s_mov_b32 s9, exec_lo
	v_cmpx_nle_f32_e64 0x3f400000, |v48|
; %bb.191:
	v_cmp_le_f32_e64 s10, 0x3e800000, |v48|
	s_delay_alu instid0(VALU_DEP_1)
	v_cndmask_b32_e64 v46, 0, 1, s10
; %bb.192:
	s_or_b32 exec_lo, exec_lo, s9
.LBB12_193:
	s_delay_alu instid0(SALU_CYCLE_1)
	s_or_b32 exec_lo, exec_lo, s8
.LBB12_194:
	s_delay_alu instid0(SALU_CYCLE_1)
	s_or_b32 exec_lo, exec_lo, s7
.LBB12_195:
	s_delay_alu instid0(SALU_CYCLE_1)
	s_or_b32 exec_lo, exec_lo, s5
.LBB12_196:
	s_delay_alu instid0(SALU_CYCLE_1)
	s_or_b32 exec_lo, exec_lo, s3
.LBB12_197:
	s_delay_alu instid0(SALU_CYCLE_1) | instskip(SKIP_3) | instid1(VALU_DEP_2)
	s_or_b32 exec_lo, exec_lo, s2
	v_dual_mul_f32 v54, v12, v52 :: v_dual_mov_b32 v53, 7
	v_mov_b32_e32 v52, 7
	s_mov_b32 s2, exec_lo
	v_cmpx_nle_f32_e64 0x40a00000, |v54|
	s_cbranch_execz .LBB12_209
; %bb.198:
	v_mov_b32_e32 v53, 6
	s_mov_b32 s3, exec_lo
	v_cmpx_nle_f32_e64 0x40600000, |v54|
	s_cbranch_execz .LBB12_208
; %bb.199:
	;; [unrolled: 5-line block ×5, first 2 shown]
	v_mov_b32_e32 v53, 2
	s_mov_b32 s9, exec_lo
	v_cmpx_nle_f32_e64 0x3f400000, |v54|
; %bb.203:
	v_cmp_le_f32_e64 s10, 0x3e800000, |v54|
	s_delay_alu instid0(VALU_DEP_1)
	v_cndmask_b32_e64 v53, 0, 1, s10
; %bb.204:
	s_or_b32 exec_lo, exec_lo, s9
.LBB12_205:
	s_delay_alu instid0(SALU_CYCLE_1)
	s_or_b32 exec_lo, exec_lo, s8
.LBB12_206:
	s_delay_alu instid0(SALU_CYCLE_1)
	s_or_b32 exec_lo, exec_lo, s7
.LBB12_207:
	s_delay_alu instid0(SALU_CYCLE_1)
	s_or_b32 exec_lo, exec_lo, s5
.LBB12_208:
	s_delay_alu instid0(SALU_CYCLE_1)
	s_or_b32 exec_lo, exec_lo, s3
.LBB12_209:
	s_delay_alu instid0(SALU_CYCLE_1) | instskip(SKIP_2) | instid1(VALU_DEP_1)
	s_or_b32 exec_lo, exec_lo, s2
	v_mul_f32_e32 v51, v12, v51
	s_mov_b32 s2, exec_lo
	v_cmpx_nle_f32_e64 0x40a00000, |v51|
	s_cbranch_execz .LBB12_221
; %bb.210:
	v_mov_b32_e32 v52, 6
	s_mov_b32 s3, exec_lo
	v_cmpx_nle_f32_e64 0x40600000, |v51|
	s_cbranch_execz .LBB12_220
; %bb.211:
	v_mov_b32_e32 v52, 5
	;; [unrolled: 5-line block ×5, first 2 shown]
	s_mov_b32 s9, exec_lo
	v_cmpx_nle_f32_e64 0x3f400000, |v51|
; %bb.215:
	v_cmp_le_f32_e64 s10, 0x3e800000, |v51|
	s_delay_alu instid0(VALU_DEP_1)
	v_cndmask_b32_e64 v52, 0, 1, s10
; %bb.216:
	s_or_b32 exec_lo, exec_lo, s9
.LBB12_217:
	s_delay_alu instid0(SALU_CYCLE_1)
	s_or_b32 exec_lo, exec_lo, s8
.LBB12_218:
	s_delay_alu instid0(SALU_CYCLE_1)
	s_or_b32 exec_lo, exec_lo, s7
.LBB12_219:
	s_delay_alu instid0(SALU_CYCLE_1)
	s_or_b32 exec_lo, exec_lo, s5
.LBB12_220:
	s_delay_alu instid0(SALU_CYCLE_1)
	s_or_b32 exec_lo, exec_lo, s3
.LBB12_221:
	s_delay_alu instid0(SALU_CYCLE_1) | instskip(SKIP_3) | instid1(VALU_DEP_2)
	s_or_b32 exec_lo, exec_lo, s2
	v_dual_mul_f32 v55, v12, v47 :: v_dual_mov_b32 v56, 7
	v_mov_b32_e32 v47, 7
	s_mov_b32 s2, exec_lo
	v_cmpx_nle_f32_e64 0x40a00000, |v55|
	s_cbranch_execz .LBB12_233
; %bb.222:
	v_mov_b32_e32 v56, 6
	s_mov_b32 s3, exec_lo
	v_cmpx_nle_f32_e64 0x40600000, |v55|
	s_cbranch_execz .LBB12_232
; %bb.223:
	;; [unrolled: 5-line block ×5, first 2 shown]
	v_mov_b32_e32 v56, 2
	s_mov_b32 s9, exec_lo
	v_cmpx_nle_f32_e64 0x3f400000, |v55|
; %bb.227:
	v_cmp_le_f32_e64 s10, 0x3e800000, |v55|
	s_delay_alu instid0(VALU_DEP_1)
	v_cndmask_b32_e64 v56, 0, 1, s10
; %bb.228:
	s_or_b32 exec_lo, exec_lo, s9
.LBB12_229:
	s_delay_alu instid0(SALU_CYCLE_1)
	s_or_b32 exec_lo, exec_lo, s8
.LBB12_230:
	s_delay_alu instid0(SALU_CYCLE_1)
	s_or_b32 exec_lo, exec_lo, s7
.LBB12_231:
	s_delay_alu instid0(SALU_CYCLE_1)
	s_or_b32 exec_lo, exec_lo, s5
.LBB12_232:
	s_delay_alu instid0(SALU_CYCLE_1)
	s_or_b32 exec_lo, exec_lo, s3
.LBB12_233:
	s_delay_alu instid0(SALU_CYCLE_1) | instskip(SKIP_2) | instid1(VALU_DEP_1)
	s_or_b32 exec_lo, exec_lo, s2
	v_mul_f32_e32 v45, v12, v45
	s_mov_b32 s2, exec_lo
	v_cmpx_nle_f32_e64 0x40a00000, |v45|
	s_cbranch_execz .LBB12_245
; %bb.234:
	v_mov_b32_e32 v47, 6
	s_mov_b32 s3, exec_lo
	v_cmpx_nle_f32_e64 0x40600000, |v45|
	s_cbranch_execz .LBB12_244
; %bb.235:
	v_mov_b32_e32 v47, 5
	;; [unrolled: 5-line block ×5, first 2 shown]
	s_mov_b32 s9, exec_lo
	v_cmpx_nle_f32_e64 0x3f400000, |v45|
; %bb.239:
	v_cmp_le_f32_e64 s10, 0x3e800000, |v45|
	s_delay_alu instid0(VALU_DEP_1)
	v_cndmask_b32_e64 v47, 0, 1, s10
; %bb.240:
	s_or_b32 exec_lo, exec_lo, s9
.LBB12_241:
	s_delay_alu instid0(SALU_CYCLE_1)
	s_or_b32 exec_lo, exec_lo, s8
.LBB12_242:
	s_delay_alu instid0(SALU_CYCLE_1)
	s_or_b32 exec_lo, exec_lo, s7
.LBB12_243:
	s_delay_alu instid0(SALU_CYCLE_1)
	s_or_b32 exec_lo, exec_lo, s5
.LBB12_244:
	s_delay_alu instid0(SALU_CYCLE_1)
	s_or_b32 exec_lo, exec_lo, s3
.LBB12_245:
	s_delay_alu instid0(SALU_CYCLE_1) | instskip(SKIP_3) | instid1(VALU_DEP_2)
	s_or_b32 exec_lo, exec_lo, s2
	v_dual_mul_f32 v57, v12, v41 :: v_dual_mov_b32 v58, 7
	v_mov_b32_e32 v41, 7
	s_mov_b32 s2, exec_lo
	v_cmpx_nle_f32_e64 0x40a00000, |v57|
	s_cbranch_execz .LBB12_257
; %bb.246:
	v_mov_b32_e32 v58, 6
	s_mov_b32 s3, exec_lo
	v_cmpx_nle_f32_e64 0x40600000, |v57|
	s_cbranch_execz .LBB12_256
; %bb.247:
	;; [unrolled: 5-line block ×5, first 2 shown]
	v_mov_b32_e32 v58, 2
	s_mov_b32 s9, exec_lo
	v_cmpx_nle_f32_e64 0x3f400000, |v57|
; %bb.251:
	v_cmp_le_f32_e64 s10, 0x3e800000, |v57|
	s_delay_alu instid0(VALU_DEP_1)
	v_cndmask_b32_e64 v58, 0, 1, s10
; %bb.252:
	s_or_b32 exec_lo, exec_lo, s9
.LBB12_253:
	s_delay_alu instid0(SALU_CYCLE_1)
	s_or_b32 exec_lo, exec_lo, s8
.LBB12_254:
	s_delay_alu instid0(SALU_CYCLE_1)
	s_or_b32 exec_lo, exec_lo, s7
.LBB12_255:
	s_delay_alu instid0(SALU_CYCLE_1)
	s_or_b32 exec_lo, exec_lo, s5
.LBB12_256:
	s_delay_alu instid0(SALU_CYCLE_1)
	s_or_b32 exec_lo, exec_lo, s3
.LBB12_257:
	s_delay_alu instid0(SALU_CYCLE_1) | instskip(SKIP_2) | instid1(VALU_DEP_1)
	s_or_b32 exec_lo, exec_lo, s2
	v_mul_f32_e32 v39, v12, v39
	s_mov_b32 s2, exec_lo
	v_cmpx_nle_f32_e64 0x40a00000, |v39|
	s_cbranch_execz .LBB12_269
; %bb.258:
	v_mov_b32_e32 v41, 6
	s_mov_b32 s3, exec_lo
	v_cmpx_nle_f32_e64 0x40600000, |v39|
	s_cbranch_execz .LBB12_268
; %bb.259:
	v_mov_b32_e32 v41, 5
	;; [unrolled: 5-line block ×5, first 2 shown]
	s_mov_b32 s9, exec_lo
	v_cmpx_nle_f32_e64 0x3f400000, |v39|
; %bb.263:
	v_cmp_le_f32_e64 s10, 0x3e800000, |v39|
	s_delay_alu instid0(VALU_DEP_1)
	v_cndmask_b32_e64 v41, 0, 1, s10
; %bb.264:
	s_or_b32 exec_lo, exec_lo, s9
.LBB12_265:
	s_delay_alu instid0(SALU_CYCLE_1)
	s_or_b32 exec_lo, exec_lo, s8
.LBB12_266:
	s_delay_alu instid0(SALU_CYCLE_1)
	s_or_b32 exec_lo, exec_lo, s7
.LBB12_267:
	s_delay_alu instid0(SALU_CYCLE_1)
	s_or_b32 exec_lo, exec_lo, s5
.LBB12_268:
	s_delay_alu instid0(SALU_CYCLE_1)
	s_or_b32 exec_lo, exec_lo, s3
.LBB12_269:
	s_delay_alu instid0(SALU_CYCLE_1) | instskip(SKIP_3) | instid1(VALU_DEP_2)
	s_or_b32 exec_lo, exec_lo, s2
	v_dual_mul_f32 v60, v12, v35 :: v_dual_mov_b32 v35, 7
	v_mov_b32_e32 v59, 7
	s_mov_b32 s2, exec_lo
	v_cmpx_nle_f32_e64 0x40a00000, |v60|
	s_cbranch_execz .LBB12_281
; %bb.270:
	v_mov_b32_e32 v59, 6
	s_mov_b32 s3, exec_lo
	v_cmpx_nle_f32_e64 0x40600000, |v60|
	s_cbranch_execz .LBB12_280
; %bb.271:
	;; [unrolled: 5-line block ×5, first 2 shown]
	v_mov_b32_e32 v59, 2
	s_mov_b32 s9, exec_lo
	v_cmpx_nle_f32_e64 0x3f400000, |v60|
; %bb.275:
	v_cmp_le_f32_e64 s10, 0x3e800000, |v60|
	s_delay_alu instid0(VALU_DEP_1)
	v_cndmask_b32_e64 v59, 0, 1, s10
; %bb.276:
	s_or_b32 exec_lo, exec_lo, s9
.LBB12_277:
	s_delay_alu instid0(SALU_CYCLE_1)
	s_or_b32 exec_lo, exec_lo, s8
.LBB12_278:
	s_delay_alu instid0(SALU_CYCLE_1)
	s_or_b32 exec_lo, exec_lo, s7
.LBB12_279:
	s_delay_alu instid0(SALU_CYCLE_1)
	s_or_b32 exec_lo, exec_lo, s5
.LBB12_280:
	s_delay_alu instid0(SALU_CYCLE_1)
	s_or_b32 exec_lo, exec_lo, s3
.LBB12_281:
	s_delay_alu instid0(SALU_CYCLE_1) | instskip(SKIP_2) | instid1(VALU_DEP_1)
	s_or_b32 exec_lo, exec_lo, s2
	v_mul_f32_e32 v33, v12, v33
	s_mov_b32 s2, exec_lo
	v_cmpx_nle_f32_e64 0x40a00000, |v33|
	s_cbranch_execz .LBB12_293
; %bb.282:
	v_mov_b32_e32 v35, 6
	s_mov_b32 s3, exec_lo
	v_cmpx_nle_f32_e64 0x40600000, |v33|
	s_cbranch_execz .LBB12_292
; %bb.283:
	v_mov_b32_e32 v35, 5
	;; [unrolled: 5-line block ×5, first 2 shown]
	s_mov_b32 s9, exec_lo
	v_cmpx_nle_f32_e64 0x3f400000, |v33|
; %bb.287:
	v_cmp_le_f32_e64 s10, 0x3e800000, |v33|
	s_delay_alu instid0(VALU_DEP_1)
	v_cndmask_b32_e64 v35, 0, 1, s10
; %bb.288:
	s_or_b32 exec_lo, exec_lo, s9
.LBB12_289:
	s_delay_alu instid0(SALU_CYCLE_1)
	s_or_b32 exec_lo, exec_lo, s8
.LBB12_290:
	s_delay_alu instid0(SALU_CYCLE_1)
	s_or_b32 exec_lo, exec_lo, s7
.LBB12_291:
	s_delay_alu instid0(SALU_CYCLE_1)
	s_or_b32 exec_lo, exec_lo, s5
.LBB12_292:
	s_delay_alu instid0(SALU_CYCLE_1)
	s_or_b32 exec_lo, exec_lo, s3
.LBB12_293:
	s_delay_alu instid0(SALU_CYCLE_1) | instskip(SKIP_3) | instid1(VALU_DEP_2)
	s_or_b32 exec_lo, exec_lo, s2
	v_dual_mul_f32 v62, v12, v29 :: v_dual_mov_b32 v29, 7
	v_mov_b32_e32 v61, 7
	s_mov_b32 s2, exec_lo
	v_cmpx_nle_f32_e64 0x40a00000, |v62|
	s_cbranch_execz .LBB12_305
; %bb.294:
	v_mov_b32_e32 v61, 6
	s_mov_b32 s3, exec_lo
	v_cmpx_nle_f32_e64 0x40600000, |v62|
	s_cbranch_execz .LBB12_304
; %bb.295:
	;; [unrolled: 5-line block ×5, first 2 shown]
	v_mov_b32_e32 v61, 2
	s_mov_b32 s9, exec_lo
	v_cmpx_nle_f32_e64 0x3f400000, |v62|
; %bb.299:
	v_cmp_le_f32_e64 s10, 0x3e800000, |v62|
	s_delay_alu instid0(VALU_DEP_1)
	v_cndmask_b32_e64 v61, 0, 1, s10
; %bb.300:
	s_or_b32 exec_lo, exec_lo, s9
.LBB12_301:
	s_delay_alu instid0(SALU_CYCLE_1)
	s_or_b32 exec_lo, exec_lo, s8
.LBB12_302:
	s_delay_alu instid0(SALU_CYCLE_1)
	s_or_b32 exec_lo, exec_lo, s7
.LBB12_303:
	s_delay_alu instid0(SALU_CYCLE_1)
	s_or_b32 exec_lo, exec_lo, s5
.LBB12_304:
	s_delay_alu instid0(SALU_CYCLE_1)
	s_or_b32 exec_lo, exec_lo, s3
.LBB12_305:
	s_delay_alu instid0(SALU_CYCLE_1) | instskip(SKIP_2) | instid1(VALU_DEP_1)
	s_or_b32 exec_lo, exec_lo, s2
	v_mul_f32_e32 v27, v12, v27
	s_mov_b32 s2, exec_lo
	v_cmpx_nle_f32_e64 0x40a00000, |v27|
	s_cbranch_execz .LBB12_317
; %bb.306:
	v_mov_b32_e32 v29, 6
	s_mov_b32 s3, exec_lo
	v_cmpx_nle_f32_e64 0x40600000, |v27|
	s_cbranch_execz .LBB12_316
; %bb.307:
	v_mov_b32_e32 v29, 5
	;; [unrolled: 5-line block ×5, first 2 shown]
	s_mov_b32 s9, exec_lo
	v_cmpx_nle_f32_e64 0x3f400000, |v27|
; %bb.311:
	v_cmp_le_f32_e64 s10, 0x3e800000, |v27|
	s_delay_alu instid0(VALU_DEP_1)
	v_cndmask_b32_e64 v29, 0, 1, s10
; %bb.312:
	s_or_b32 exec_lo, exec_lo, s9
.LBB12_313:
	s_delay_alu instid0(SALU_CYCLE_1)
	s_or_b32 exec_lo, exec_lo, s8
.LBB12_314:
	s_delay_alu instid0(SALU_CYCLE_1)
	s_or_b32 exec_lo, exec_lo, s7
.LBB12_315:
	s_delay_alu instid0(SALU_CYCLE_1)
	s_or_b32 exec_lo, exec_lo, s5
.LBB12_316:
	s_delay_alu instid0(SALU_CYCLE_1)
	s_or_b32 exec_lo, exec_lo, s3
.LBB12_317:
	s_delay_alu instid0(SALU_CYCLE_1) | instskip(SKIP_3) | instid1(VALU_DEP_2)
	s_or_b32 exec_lo, exec_lo, s2
	v_dual_mul_f32 v64, v12, v25 :: v_dual_mov_b32 v25, 7
	v_mov_b32_e32 v63, 7
	s_mov_b32 s2, exec_lo
	v_cmpx_nle_f32_e64 0x40a00000, |v64|
	s_cbranch_execz .LBB12_329
; %bb.318:
	v_mov_b32_e32 v63, 6
	s_mov_b32 s3, exec_lo
	v_cmpx_nle_f32_e64 0x40600000, |v64|
	s_cbranch_execz .LBB12_328
; %bb.319:
	;; [unrolled: 5-line block ×5, first 2 shown]
	v_mov_b32_e32 v63, 2
	s_mov_b32 s9, exec_lo
	v_cmpx_nle_f32_e64 0x3f400000, |v64|
; %bb.323:
	v_cmp_le_f32_e64 s10, 0x3e800000, |v64|
	s_delay_alu instid0(VALU_DEP_1)
	v_cndmask_b32_e64 v63, 0, 1, s10
; %bb.324:
	s_or_b32 exec_lo, exec_lo, s9
.LBB12_325:
	s_delay_alu instid0(SALU_CYCLE_1)
	s_or_b32 exec_lo, exec_lo, s8
.LBB12_326:
	s_delay_alu instid0(SALU_CYCLE_1)
	s_or_b32 exec_lo, exec_lo, s7
.LBB12_327:
	s_delay_alu instid0(SALU_CYCLE_1)
	s_or_b32 exec_lo, exec_lo, s5
.LBB12_328:
	s_delay_alu instid0(SALU_CYCLE_1)
	s_or_b32 exec_lo, exec_lo, s3
.LBB12_329:
	s_delay_alu instid0(SALU_CYCLE_1) | instskip(SKIP_2) | instid1(VALU_DEP_1)
	s_or_b32 exec_lo, exec_lo, s2
	v_mul_f32_e32 v21, v12, v21
	s_mov_b32 s2, exec_lo
	v_cmpx_nle_f32_e64 0x40a00000, |v21|
	s_cbranch_execz .LBB12_341
; %bb.330:
	v_mov_b32_e32 v25, 6
	s_mov_b32 s3, exec_lo
	v_cmpx_nle_f32_e64 0x40600000, |v21|
	s_cbranch_execz .LBB12_340
; %bb.331:
	v_mov_b32_e32 v25, 5
	;; [unrolled: 5-line block ×5, first 2 shown]
	s_mov_b32 s9, exec_lo
	v_cmpx_nle_f32_e64 0x3f400000, |v21|
; %bb.335:
	v_cmp_le_f32_e64 s10, 0x3e800000, |v21|
	s_delay_alu instid0(VALU_DEP_1)
	v_cndmask_b32_e64 v25, 0, 1, s10
; %bb.336:
	s_or_b32 exec_lo, exec_lo, s9
.LBB12_337:
	s_delay_alu instid0(SALU_CYCLE_1)
	s_or_b32 exec_lo, exec_lo, s8
.LBB12_338:
	s_delay_alu instid0(SALU_CYCLE_1)
	s_or_b32 exec_lo, exec_lo, s7
.LBB12_339:
	s_delay_alu instid0(SALU_CYCLE_1)
	s_or_b32 exec_lo, exec_lo, s5
.LBB12_340:
	s_delay_alu instid0(SALU_CYCLE_1)
	s_or_b32 exec_lo, exec_lo, s3
.LBB12_341:
	s_delay_alu instid0(SALU_CYCLE_1) | instskip(SKIP_3) | instid1(VALU_DEP_2)
	s_or_b32 exec_lo, exec_lo, s2
	v_dual_mul_f32 v65, v12, v19 :: v_dual_mov_b32 v66, 7
	v_mov_b32_e32 v19, 7
	s_mov_b32 s2, exec_lo
	v_cmpx_nle_f32_e64 0x40a00000, |v65|
	s_cbranch_execz .LBB12_353
; %bb.342:
	v_mov_b32_e32 v66, 6
	s_mov_b32 s3, exec_lo
	v_cmpx_nle_f32_e64 0x40600000, |v65|
	s_cbranch_execz .LBB12_352
; %bb.343:
	;; [unrolled: 5-line block ×5, first 2 shown]
	v_mov_b32_e32 v66, 2
	s_mov_b32 s9, exec_lo
	v_cmpx_nle_f32_e64 0x3f400000, |v65|
; %bb.347:
	v_cmp_le_f32_e64 s10, 0x3e800000, |v65|
	s_delay_alu instid0(VALU_DEP_1)
	v_cndmask_b32_e64 v66, 0, 1, s10
; %bb.348:
	s_or_b32 exec_lo, exec_lo, s9
.LBB12_349:
	s_delay_alu instid0(SALU_CYCLE_1)
	s_or_b32 exec_lo, exec_lo, s8
.LBB12_350:
	s_delay_alu instid0(SALU_CYCLE_1)
	s_or_b32 exec_lo, exec_lo, s7
.LBB12_351:
	s_delay_alu instid0(SALU_CYCLE_1)
	s_or_b32 exec_lo, exec_lo, s5
.LBB12_352:
	s_delay_alu instid0(SALU_CYCLE_1)
	s_or_b32 exec_lo, exec_lo, s3
.LBB12_353:
	s_delay_alu instid0(SALU_CYCLE_1) | instskip(SKIP_2) | instid1(VALU_DEP_1)
	s_or_b32 exec_lo, exec_lo, s2
	v_mul_f32_e32 v15, v12, v15
	s_mov_b32 s2, exec_lo
	v_cmpx_nle_f32_e64 0x40a00000, |v15|
	s_cbranch_execz .LBB12_365
; %bb.354:
	v_mov_b32_e32 v19, 6
	s_mov_b32 s3, exec_lo
	v_cmpx_nle_f32_e64 0x40600000, |v15|
	s_cbranch_execz .LBB12_364
; %bb.355:
	v_mov_b32_e32 v19, 5
	;; [unrolled: 5-line block ×5, first 2 shown]
	s_mov_b32 s9, exec_lo
	v_cmpx_nle_f32_e64 0x3f400000, |v15|
; %bb.359:
	v_cmp_le_f32_e64 s10, 0x3e800000, |v15|
	s_delay_alu instid0(VALU_DEP_1)
	v_cndmask_b32_e64 v19, 0, 1, s10
; %bb.360:
	s_or_b32 exec_lo, exec_lo, s9
.LBB12_361:
	s_delay_alu instid0(SALU_CYCLE_1)
	s_or_b32 exec_lo, exec_lo, s8
.LBB12_362:
	s_delay_alu instid0(SALU_CYCLE_1)
	s_or_b32 exec_lo, exec_lo, s7
.LBB12_363:
	s_delay_alu instid0(SALU_CYCLE_1)
	s_or_b32 exec_lo, exec_lo, s5
.LBB12_364:
	s_delay_alu instid0(SALU_CYCLE_1)
	s_or_b32 exec_lo, exec_lo, s3
.LBB12_365:
	s_delay_alu instid0(SALU_CYCLE_1) | instskip(SKIP_4) | instid1(VALU_DEP_2)
	s_or_b32 exec_lo, exec_lo, s2
	s_load_b64 s[2:3], s[0:1], 0x10
	v_dual_mul_f32 v67, v12, v13 :: v_dual_mov_b32 v68, 7
	v_mov_b32_e32 v13, 7
	s_mov_b32 s5, exec_lo
	v_cmpx_nle_f32_e64 0x40a00000, |v67|
	s_cbranch_execz .LBB12_377
; %bb.366:
	v_mov_b32_e32 v68, 6
	s_mov_b32 s7, exec_lo
	v_cmpx_nle_f32_e64 0x40600000, |v67|
	s_cbranch_execz .LBB12_376
; %bb.367:
	;; [unrolled: 5-line block ×5, first 2 shown]
	v_mov_b32_e32 v68, 2
	s_mov_b32 s11, exec_lo
	v_cmpx_nle_f32_e64 0x3f400000, |v67|
; %bb.371:
	v_cmp_le_f32_e64 s12, 0x3e800000, |v67|
	s_delay_alu instid0(VALU_DEP_1)
	v_cndmask_b32_e64 v68, 0, 1, s12
; %bb.372:
	s_or_b32 exec_lo, exec_lo, s11
.LBB12_373:
	s_delay_alu instid0(SALU_CYCLE_1)
	s_or_b32 exec_lo, exec_lo, s10
.LBB12_374:
	s_delay_alu instid0(SALU_CYCLE_1)
	s_or_b32 exec_lo, exec_lo, s9
.LBB12_375:
	s_delay_alu instid0(SALU_CYCLE_1)
	s_or_b32 exec_lo, exec_lo, s8
.LBB12_376:
	s_delay_alu instid0(SALU_CYCLE_1)
	s_or_b32 exec_lo, exec_lo, s7
.LBB12_377:
	s_delay_alu instid0(SALU_CYCLE_1) | instskip(SKIP_3) | instid1(VALU_DEP_1)
	s_or_b32 exec_lo, exec_lo, s5
	s_load_b64 s[0:1], s[0:1], 0x8
	v_mul_f32_e32 v8, v12, v8
	s_mov_b32 s5, exec_lo
	v_cmpx_nle_f32_e64 0x40a00000, |v8|
	s_cbranch_execz .LBB12_389
; %bb.378:
	v_mov_b32_e32 v13, 6
	s_mov_b32 s7, exec_lo
	v_cmpx_nle_f32_e64 0x40600000, |v8|
	s_cbranch_execz .LBB12_388
; %bb.379:
	v_mov_b32_e32 v13, 5
	;; [unrolled: 5-line block ×5, first 2 shown]
	s_mov_b32 s11, exec_lo
	v_cmpx_nle_f32_e64 0x3f400000, |v8|
; %bb.383:
	v_cmp_le_f32_e64 s12, 0x3e800000, |v8|
	s_delay_alu instid0(VALU_DEP_1)
	v_cndmask_b32_e64 v13, 0, 1, s12
; %bb.384:
	s_or_b32 exec_lo, exec_lo, s11
.LBB12_385:
	s_delay_alu instid0(SALU_CYCLE_1)
	s_or_b32 exec_lo, exec_lo, s10
.LBB12_386:
	s_delay_alu instid0(SALU_CYCLE_1)
	s_or_b32 exec_lo, exec_lo, s9
.LBB12_387:
	s_delay_alu instid0(SALU_CYCLE_1)
	s_or_b32 exec_lo, exec_lo, s8
.LBB12_388:
	s_delay_alu instid0(SALU_CYCLE_1)
	s_or_b32 exec_lo, exec_lo, s7
.LBB12_389:
	s_delay_alu instid0(SALU_CYCLE_1)
	s_or_b32 exec_lo, exec_lo, s5
	v_cmp_gt_f32_e32 vcc_lo, 0, v67
	v_lshlrev_b16 v6, 4, v6
	v_lshlrev_b16 v25, 4, v25
	;; [unrolled: 1-line block ×4, first 2 shown]
	v_cndmask_b32_e64 v12, 0, 1, vcc_lo
	v_cmp_gt_f32_e32 vcc_lo, 0, v65
	s_lshr_b32 s5, s4, 31
	s_delay_alu instid0(SALU_CYCLE_1) | instskip(NEXT) | instid1(VALU_DEP_2)
	s_add_i32 s4, s4, s5
	v_lshlrev_b16 v12, 3, v12
	v_cndmask_b32_e64 v65, 0, 1, vcc_lo
	v_cmp_gt_f32_e32 vcc_lo, 0, v64
	s_ashr_i32 s4, s4, 1
	s_delay_alu instid0(SALU_CYCLE_1) | instskip(NEXT) | instid1(VALU_DEP_2)
	s_ashr_i32 s5, s4, 31
	v_lshlrev_b16 v65, 3, v65
	v_cndmask_b32_e64 v64, 0, 1, vcc_lo
	v_cmp_gt_f32_e32 vcc_lo, 0, v62
	v_or_b32_e32 v12, v12, v68
	v_mul_lo_u32 v1, v1, s4
	v_or_b32_e32 v65, v65, v66
	v_lshlrev_b16 v64, 3, v64
	v_cndmask_b32_e64 v62, 0, 1, vcc_lo
	v_cmp_gt_f32_e32 vcc_lo, 0, v60
	s_delay_alu instid0(VALU_DEP_3) | instskip(NEXT) | instid1(VALU_DEP_3)
	v_or_b32_e32 v63, v64, v63
	v_lshlrev_b16 v62, 3, v62
	v_cndmask_b32_e64 v60, 0, 1, vcc_lo
	v_cmp_gt_f32_e32 vcc_lo, 0, v57
	s_delay_alu instid0(VALU_DEP_3) | instskip(NEXT) | instid1(VALU_DEP_3)
	;; [unrolled: 5-line block ×11, first 2 shown]
	v_or_b32_e32 v23, v24, v23
	v_lshlrev_b16 v18, 3, v18
	v_cndmask_b32_e64 v4, 0, 1, vcc_lo
	v_cmp_gt_f32_e32 vcc_lo, 0, v7
	s_delay_alu instid0(VALU_DEP_2) | instskip(SKIP_2) | instid1(VALU_DEP_3)
	v_lshlrev_b16 v4, 3, v4
	v_cndmask_b32_e64 v7, 0, 1, vcc_lo
	v_cmp_gt_f32_e32 vcc_lo, 0, v10
	v_or_b32_e32 v4, v4, v5
	s_delay_alu instid0(VALU_DEP_3)
	v_lshlrev_b16 v7, 7, v7
	v_cndmask_b32_e64 v10, 0, 1, vcc_lo
	v_cmp_gt_f32_e32 vcc_lo, 0, v14
	v_lshlrev_b16 v14, 4, v22
	v_lshlrev_b16 v22, 4, v47
	v_or_b32_e32 v5, v7, v6
	v_lshlrev_b16 v10, 3, v10
	v_cndmask_b32_e64 v6, 0, 1, vcc_lo
	v_cmp_gt_f32_e32 vcc_lo, 0, v20
	v_or_b32_e32 v7, v18, v17
	v_or_b32_e32 v4, v5, v4
	v_lshlrev_b16 v5, 4, v9
	v_or_b32_e32 v10, v10, v11
	v_cndmask_b32_e64 v9, 0, 1, vcc_lo
	v_cmp_gt_f32_e32 vcc_lo, 0, v26
	v_lshlrev_b16 v6, 7, v6
	v_lshlrev_b16 v17, 4, v40
	;; [unrolled: 1-line block ×4, first 2 shown]
	v_cndmask_b32_e64 v11, 0, 1, vcc_lo
	v_cmp_gt_f32_e32 vcc_lo, 0, v32
	v_or_b32_e32 v5, v6, v5
	v_lshlrev_b16 v6, 4, v16
	s_delay_alu instid0(VALU_DEP_4)
	v_lshlrev_b16 v11, 7, v11
	v_cndmask_b32_e64 v16, 0, 1, vcc_lo
	v_cmp_gt_f32_e32 vcc_lo, 0, v37
	v_or_b32_e32 v10, v5, v10
	v_or_b32_e32 v5, v9, v6
	;; [unrolled: 1-line block ×3, first 2 shown]
	v_lshlrev_b16 v9, 4, v28
	v_cndmask_b32_e64 v14, 0, 1, vcc_lo
	v_cmp_gt_f32_e32 vcc_lo, 0, v42
	v_lshlrev_b16 v11, 7, v16
	v_or_b32_e32 v7, v5, v7
	v_or_b32_e32 v6, v6, v23
	v_lshlrev_b16 v14, 7, v14
	v_cndmask_b32_e64 v16, 0, 1, vcc_lo
	v_or_b32_e32 v9, v11, v9
	v_lshlrev_b16 v11, 4, v34
	v_cmp_gt_f32_e32 vcc_lo, 0, v48
	v_lshlrev_b16 v10, 8, v10
	v_lshlrev_b16 v16, 7, v16
	v_or_b32_e32 v9, v9, v30
	v_or_b32_e32 v5, v14, v11
	v_lshlrev_b16 v14, 4, v46
	v_lshlrev_b16 v6, 8, v6
	v_or_b32_e32 v11, v16, v17
	v_cndmask_b32_e64 v16, 0, 1, vcc_lo
	v_cmp_gt_f32_e32 vcc_lo, 0, v51
	v_or_b32_e32 v23, v5, v36
	v_or_b32_e32 v4, v4, v10
	;; [unrolled: 1-line block ×3, first 2 shown]
	v_lshlrev_b16 v16, 7, v16
	v_cndmask_b32_e64 v17, 0, 1, vcc_lo
	v_cmp_gt_f32_e32 vcc_lo, 0, v45
	v_or_b32_e32 v10, v7, v6
	s_delay_alu instid0(VALU_DEP_4) | instskip(NEXT) | instid1(VALU_DEP_4)
	v_or_b32_e32 v5, v16, v14
	v_lshlrev_b16 v17, 7, v17
	v_cndmask_b32_e64 v18, 0, 1, vcc_lo
	v_cmp_gt_f32_e32 vcc_lo, 0, v39
	v_lshlrev_b32_e32 v10, 16, v10
	s_delay_alu instid0(VALU_DEP_4) | instskip(NEXT) | instid1(VALU_DEP_4)
	v_or_b32_e32 v14, v17, v20
	v_lshlrev_b16 v18, 7, v18
	v_cndmask_b32_e64 v17, 0, 1, vcc_lo
	v_cmp_gt_f32_e32 vcc_lo, 0, v21
	v_lshlrev_b16 v20, 4, v35
	v_or_b32_e32 v14, v14, v53
	v_or_b32_e32 v16, v18, v22
	v_lshlrev_b16 v22, 4, v29
	v_cndmask_b32_e64 v21, 0, 1, vcc_lo
	v_cmp_gt_f32_e32 vcc_lo, 0, v27
	v_or_b32_e32 v18, v5, v49
	v_or_b32_e32 v5, v16, v55
	v_lshlrev_b16 v16, 4, v41
	v_lshlrev_b16 v21, 7, v21
	v_cndmask_b32_e64 v24, 0, 1, vcc_lo
	v_cmp_gt_f32_e32 vcc_lo, 0, v8
	v_lshlrev_b16 v17, 7, v17
	s_delay_alu instid0(VALU_DEP_4) | instskip(NEXT) | instid1(VALU_DEP_4)
	v_or_b32_e32 v21, v21, v25
	v_lshlrev_b16 v24, 7, v24
	v_cndmask_b32_e64 v8, 0, 1, vcc_lo
	v_cmp_gt_f32_e32 vcc_lo, 0, v15
	v_or_b32_e32 v16, v17, v16
	v_lshrrev_b32_e32 v17, 23, v3
	v_or_b32_e32 v22, v24, v22
	v_lshlrev_b16 v8, 7, v8
	v_cndmask_b32_e64 v15, 0, 1, vcc_lo
	v_cmp_gt_f32_e32 vcc_lo, 0, v33
	v_lshlrev_b16 v3, 8, v5
	v_or_b32_e32 v16, v16, v57
	v_or_b32_e32 v8, v8, v13
	v_lshlrev_b16 v15, 7, v15
	v_cndmask_b32_e64 v13, 0, 1, vcc_lo
	v_or_b32_e32 v3, v14, v3
	v_lshlrev_b16 v14, 8, v18
	v_or_b32_e32 v8, v8, v12
	v_or_b32_e32 v15, v15, v19
	;; [unrolled: 1-line block ×3, first 2 shown]
	v_lshlrev_b16 v12, 7, v13
	v_or_b32_e32 v13, v22, v61
	v_lshlrev_b16 v8, 8, v8
	v_or_b32_e32 v15, v15, v65
	v_lshlrev_b16 v19, 8, v19
	v_ashrrev_i32_e32 v21, 31, v0
	v_or_b32_e32 v11, v11, v14
	v_or_b32_e32 v12, v12, v20
	;; [unrolled: 1-line block ×4, first 2 shown]
	v_lshrrev_b32_e32 v15, 27, v21
	v_lshrrev_b32_e32 v14, 28, v21
	v_or_b32_e32 v12, v12, v59
	v_lshlrev_b32_e32 v8, 16, v8
	v_and_b32_e32 v13, 0xffff, v13
	v_add_nc_u32_e32 v15, v0, v15
	v_add_nc_u32_e32 v7, v0, v14
	v_lshlrev_b32_e32 v14, 6, v2
	v_lshlrev_b16 v12, 8, v12
	v_or_b32_e32 v5, v13, v8
	v_and_b32_e32 v8, 0xffe0, v15
	v_lshlrev_b16 v13, 8, v23
	v_and_b32_e32 v7, 0x3ffffff0, v7
	v_or_b32_e32 v12, v16, v12
	v_and_b32_e32 v3, 0xffff, v3
	v_sub_nc_u32_e32 v8, v0, v8
	v_or_b32_e32 v9, v9, v13
	v_sub_nc_u32_e32 v7, v0, v7
	v_lshlrev_b32_e32 v12, 16, v12
	v_lshlrev_b32_e32 v11, 16, v11
	v_bfe_i32 v13, v8, 0, 8
	v_and_b32_e32 v9, 0xffff, v9
	s_delay_alu instid0(VALU_DEP_2) | instskip(NEXT) | instid1(VALU_DEP_1)
	v_lshrrev_b16 v13, 11, v13
	v_and_b32_e32 v6, 15, v13
	v_lshrrev_b32_e32 v13, 5, v15
	v_lshrrev_b32_e32 v15, 1, v2
	s_delay_alu instid0(VALU_DEP_3) | instskip(NEXT) | instid1(VALU_DEP_3)
	v_add_nc_u16 v6, v8, v6
	v_mul_lo_u32 v8, v13, s6
	v_and_b32_e32 v13, 0xc0, v14
	v_and_b32_e32 v14, 0x3fffff8, v2
	s_delay_alu instid0(VALU_DEP_4) | instskip(NEXT) | instid1(VALU_DEP_3)
	v_bfe_i32 v6, v6, 0, 8
	v_lshl_add_u32 v7, v7, 2, v13
	v_mul_lo_u32 v13, v0, s5
	s_delay_alu instid0(VALU_DEP_4) | instskip(NEXT) | instid1(VALU_DEP_4)
	v_add_lshl_u32 v8, v8, v14, 5
	v_ashrrev_i16 v6, 4, v6
	s_delay_alu instid0(VALU_DEP_4) | instskip(NEXT) | instid1(VALU_DEP_2)
	v_and_or_b32 v15, v15, 2, v7
	v_bfe_i32 v14, v6, 0, 16
	s_waitcnt lgkmcnt(0)
	v_mad_u64_u32 v[6:7], null, v0, s4, s[0:1]
	v_and_b32_e32 v0, 0xffff, v4
	v_or_b32_e32 v4, v3, v12
	v_add3_u32 v8, v15, v8, v14
	v_or_b32_e32 v3, v9, v11
	v_lshlrev_b32_e32 v9, 4, v2
	v_or_b32_e32 v2, v0, v10
	v_add3_u32 v1, v1, v7, v13
	v_ashrrev_i32_e32 v7, 31, v8
	s_delay_alu instid0(VALU_DEP_4) | instskip(NEXT) | instid1(VALU_DEP_3)
	v_add_co_u32 v0, vcc_lo, v6, v9
	v_add_co_ci_u32_e32 v1, vcc_lo, 0, v1, vcc_lo
	v_add_co_u32 v6, vcc_lo, s2, v8
	s_delay_alu instid0(VALU_DEP_4)
	v_add_co_ci_u32_e32 v7, vcc_lo, s3, v7, vcc_lo
	global_store_b128 v[0:1], v[2:5], off
	global_store_b8 v[6:7], v17, off
.LBB12_390:
	s_nop 0
	s_sendmsg sendmsg(MSG_DEALLOC_VGPRS)
	s_endpgm
	.section	.rodata,"a",@progbits
	.p2align	6, 0x0
	.amdhsa_kernel _ZN5aiter18quant_mxfp4_kernelI6__halfLNS_16MxScaleRoundModeE2ELb1ELb0ELb0EEEvPKT_PhPfliiib
		.amdhsa_group_segment_fixed_size 0
		.amdhsa_private_segment_fixed_size 0
		.amdhsa_kernarg_size 304
		.amdhsa_user_sgpr_count 15
		.amdhsa_user_sgpr_dispatch_ptr 0
		.amdhsa_user_sgpr_queue_ptr 0
		.amdhsa_user_sgpr_kernarg_segment_ptr 1
		.amdhsa_user_sgpr_dispatch_id 0
		.amdhsa_user_sgpr_private_segment_size 0
		.amdhsa_wavefront_size32 1
		.amdhsa_uses_dynamic_stack 0
		.amdhsa_enable_private_segment 0
		.amdhsa_system_sgpr_workgroup_id_x 1
		.amdhsa_system_sgpr_workgroup_id_y 0
		.amdhsa_system_sgpr_workgroup_id_z 0
		.amdhsa_system_sgpr_workgroup_info 0
		.amdhsa_system_vgpr_workitem_id 0
		.amdhsa_next_free_vgpr 69
		.amdhsa_next_free_sgpr 16
		.amdhsa_reserve_vcc 1
		.amdhsa_float_round_mode_32 0
		.amdhsa_float_round_mode_16_64 0
		.amdhsa_float_denorm_mode_32 3
		.amdhsa_float_denorm_mode_16_64 3
		.amdhsa_dx10_clamp 1
		.amdhsa_ieee_mode 1
		.amdhsa_fp16_overflow 0
		.amdhsa_workgroup_processor_mode 1
		.amdhsa_memory_ordered 1
		.amdhsa_forward_progress 0
		.amdhsa_shared_vgpr_count 0
		.amdhsa_exception_fp_ieee_invalid_op 0
		.amdhsa_exception_fp_denorm_src 0
		.amdhsa_exception_fp_ieee_div_zero 0
		.amdhsa_exception_fp_ieee_overflow 0
		.amdhsa_exception_fp_ieee_underflow 0
		.amdhsa_exception_fp_ieee_inexact 0
		.amdhsa_exception_int_div_zero 0
	.end_amdhsa_kernel
	.section	.text._ZN5aiter18quant_mxfp4_kernelI6__halfLNS_16MxScaleRoundModeE2ELb1ELb0ELb0EEEvPKT_PhPfliiib,"axG",@progbits,_ZN5aiter18quant_mxfp4_kernelI6__halfLNS_16MxScaleRoundModeE2ELb1ELb0ELb0EEEvPKT_PhPfliiib,comdat
.Lfunc_end12:
	.size	_ZN5aiter18quant_mxfp4_kernelI6__halfLNS_16MxScaleRoundModeE2ELb1ELb0ELb0EEEvPKT_PhPfliiib, .Lfunc_end12-_ZN5aiter18quant_mxfp4_kernelI6__halfLNS_16MxScaleRoundModeE2ELb1ELb0ELb0EEEvPKT_PhPfliiib
                                        ; -- End function
	.section	.AMDGPU.csdata,"",@progbits
; Kernel info:
; codeLenInByte = 10192
; NumSgprs: 18
; NumVgprs: 69
; ScratchSize: 0
; MemoryBound: 0
; FloatMode: 240
; IeeeMode: 1
; LDSByteSize: 0 bytes/workgroup (compile time only)
; SGPRBlocks: 2
; VGPRBlocks: 8
; NumSGPRsForWavesPerEU: 18
; NumVGPRsForWavesPerEU: 69
; Occupancy: 16
; WaveLimiterHint : 0
; COMPUTE_PGM_RSRC2:SCRATCH_EN: 0
; COMPUTE_PGM_RSRC2:USER_SGPR: 15
; COMPUTE_PGM_RSRC2:TRAP_HANDLER: 0
; COMPUTE_PGM_RSRC2:TGID_X_EN: 1
; COMPUTE_PGM_RSRC2:TGID_Y_EN: 0
; COMPUTE_PGM_RSRC2:TGID_Z_EN: 0
; COMPUTE_PGM_RSRC2:TIDIG_COMP_CNT: 0
	.section	.text._ZN5aiter18quant_mxfp4_kernelI6__halfLNS_16MxScaleRoundModeE2ELb0ELb1ELb1EEEvPKT_PhPfliiib,"axG",@progbits,_ZN5aiter18quant_mxfp4_kernelI6__halfLNS_16MxScaleRoundModeE2ELb0ELb1ELb1EEEvPKT_PhPfliiib,comdat
	.protected	_ZN5aiter18quant_mxfp4_kernelI6__halfLNS_16MxScaleRoundModeE2ELb0ELb1ELb1EEEvPKT_PhPfliiib ; -- Begin function _ZN5aiter18quant_mxfp4_kernelI6__halfLNS_16MxScaleRoundModeE2ELb0ELb1ELb1EEEvPKT_PhPfliiib
	.globl	_ZN5aiter18quant_mxfp4_kernelI6__halfLNS_16MxScaleRoundModeE2ELb0ELb1ELb1EEEvPKT_PhPfliiib
	.p2align	8
	.type	_ZN5aiter18quant_mxfp4_kernelI6__halfLNS_16MxScaleRoundModeE2ELb0ELb1ELb1EEEvPKT_PhPfliiib,@function
_ZN5aiter18quant_mxfp4_kernelI6__halfLNS_16MxScaleRoundModeE2ELb0ELb1ELb1EEEvPKT_PhPfliiib: ; @_ZN5aiter18quant_mxfp4_kernelI6__halfLNS_16MxScaleRoundModeE2ELb0ELb1ELb1EEEvPKT_PhPfliiib
; %bb.0:
	s_clause 0x1
	s_load_b32 s2, s[0:1], 0x3c
	s_load_b128 s[4:7], s[0:1], 0x20
	v_mov_b32_e32 v1, 0
	s_delay_alu instid0(VALU_DEP_1)
	v_mov_b32_e32 v4, v1
	s_waitcnt lgkmcnt(0)
	s_and_b32 s2, s2, 0xffff
	s_mov_b32 s3, s6
	v_mad_u64_u32 v[2:3], null, s2, s15, v[0:1]
	s_ashr_i32 s2, s6, 31
	s_mov_b32 s6, exec_lo
                                        ; implicit-def: $vgpr0_vgpr1
	s_delay_alu instid0(VALU_DEP_1) | instskip(NEXT) | instid1(VALU_DEP_1)
	v_or_b32_e32 v5, s2, v3
	v_cmpx_ne_u64_e32 0, v[4:5]
	s_xor_b32 s6, exec_lo, s6
	s_cbranch_execz .LBB13_2
; %bb.1:
	s_add_u32 s10, s3, s2
	s_mov_b32 s8, s2
	s_mov_b32 s9, s2
	s_addc_u32 s11, s2, s2
	s_delay_alu instid0(SALU_CYCLE_1) | instskip(NEXT) | instid1(SALU_CYCLE_1)
	s_xor_b64 s[10:11], s[10:11], s[8:9]
	v_cvt_f32_u32_e32 v0, s10
	v_cvt_f32_u32_e32 v1, s11
	s_sub_u32 s2, 0, s10
	s_subb_u32 s12, 0, s11
	s_delay_alu instid0(VALU_DEP_1) | instskip(NEXT) | instid1(VALU_DEP_1)
	v_fmamk_f32 v0, v1, 0x4f800000, v0
	v_rcp_f32_e32 v0, v0
	s_waitcnt_depctr 0xfff
	v_mul_f32_e32 v0, 0x5f7ffffc, v0
	s_delay_alu instid0(VALU_DEP_1) | instskip(NEXT) | instid1(VALU_DEP_1)
	v_mul_f32_e32 v1, 0x2f800000, v0
	v_trunc_f32_e32 v1, v1
	s_delay_alu instid0(VALU_DEP_1) | instskip(SKIP_1) | instid1(VALU_DEP_2)
	v_fmamk_f32 v0, v1, 0xcf800000, v0
	v_cvt_u32_f32_e32 v1, v1
	v_cvt_u32_f32_e32 v0, v0
	s_delay_alu instid0(VALU_DEP_2) | instskip(NEXT) | instid1(VALU_DEP_2)
	v_mul_lo_u32 v4, s2, v1
	v_mul_hi_u32 v5, s2, v0
	v_mul_lo_u32 v6, s12, v0
	s_delay_alu instid0(VALU_DEP_2) | instskip(SKIP_1) | instid1(VALU_DEP_2)
	v_add_nc_u32_e32 v4, v5, v4
	v_mul_lo_u32 v5, s2, v0
	v_add_nc_u32_e32 v4, v4, v6
	s_delay_alu instid0(VALU_DEP_2) | instskip(NEXT) | instid1(VALU_DEP_2)
	v_mul_hi_u32 v6, v0, v5
	v_mul_lo_u32 v7, v0, v4
	v_mul_hi_u32 v8, v0, v4
	v_mul_hi_u32 v9, v1, v5
	v_mul_lo_u32 v5, v1, v5
	v_mul_hi_u32 v10, v1, v4
	v_mul_lo_u32 v4, v1, v4
	v_add_co_u32 v6, vcc_lo, v6, v7
	v_add_co_ci_u32_e32 v7, vcc_lo, 0, v8, vcc_lo
	s_delay_alu instid0(VALU_DEP_2) | instskip(NEXT) | instid1(VALU_DEP_2)
	v_add_co_u32 v5, vcc_lo, v6, v5
	v_add_co_ci_u32_e32 v5, vcc_lo, v7, v9, vcc_lo
	v_add_co_ci_u32_e32 v6, vcc_lo, 0, v10, vcc_lo
	v_ashrrev_i32_e32 v9, 31, v3
	s_delay_alu instid0(VALU_DEP_3) | instskip(NEXT) | instid1(VALU_DEP_3)
	v_add_co_u32 v4, vcc_lo, v5, v4
	v_add_co_ci_u32_e32 v5, vcc_lo, 0, v6, vcc_lo
	s_delay_alu instid0(VALU_DEP_2) | instskip(NEXT) | instid1(VALU_DEP_2)
	v_add_co_u32 v0, vcc_lo, v0, v4
	v_add_co_ci_u32_e32 v1, vcc_lo, v1, v5, vcc_lo
	s_delay_alu instid0(VALU_DEP_2) | instskip(SKIP_1) | instid1(VALU_DEP_3)
	v_mul_hi_u32 v4, s2, v0
	v_mul_lo_u32 v6, s12, v0
	v_mul_lo_u32 v5, s2, v1
	s_delay_alu instid0(VALU_DEP_1) | instskip(SKIP_1) | instid1(VALU_DEP_2)
	v_add_nc_u32_e32 v4, v4, v5
	v_mul_lo_u32 v5, s2, v0
	v_add_nc_u32_e32 v4, v4, v6
	s_delay_alu instid0(VALU_DEP_2) | instskip(NEXT) | instid1(VALU_DEP_2)
	v_mul_hi_u32 v6, v0, v5
	v_mul_lo_u32 v7, v0, v4
	v_mul_hi_u32 v8, v0, v4
	v_mul_hi_u32 v10, v1, v5
	v_mul_lo_u32 v5, v1, v5
	v_mul_hi_u32 v11, v1, v4
	v_mul_lo_u32 v4, v1, v4
	v_add_co_u32 v6, vcc_lo, v6, v7
	v_add_co_ci_u32_e32 v7, vcc_lo, 0, v8, vcc_lo
	s_delay_alu instid0(VALU_DEP_2) | instskip(NEXT) | instid1(VALU_DEP_2)
	v_add_co_u32 v5, vcc_lo, v6, v5
	v_add_co_ci_u32_e32 v5, vcc_lo, v7, v10, vcc_lo
	v_add_co_ci_u32_e32 v6, vcc_lo, 0, v11, vcc_lo
	v_add_co_u32 v7, vcc_lo, v2, v9
	v_add_co_ci_u32_e32 v3, vcc_lo, v3, v9, vcc_lo
	s_delay_alu instid0(VALU_DEP_4) | instskip(NEXT) | instid1(VALU_DEP_4)
	v_add_co_u32 v4, vcc_lo, v5, v4
	v_add_co_ci_u32_e32 v5, vcc_lo, 0, v6, vcc_lo
	s_delay_alu instid0(VALU_DEP_4) | instskip(NEXT) | instid1(VALU_DEP_3)
	v_xor_b32_e32 v7, v7, v9
	v_add_co_u32 v6, vcc_lo, v0, v4
	s_delay_alu instid0(VALU_DEP_3) | instskip(SKIP_1) | instid1(VALU_DEP_3)
	v_add_co_ci_u32_e32 v8, vcc_lo, v1, v5, vcc_lo
	v_xor_b32_e32 v10, v3, v9
	v_mul_hi_u32 v11, v7, v6
	s_delay_alu instid0(VALU_DEP_3) | instskip(NEXT) | instid1(VALU_DEP_3)
	v_mad_u64_u32 v[0:1], null, v7, v8, 0
	v_mad_u64_u32 v[3:4], null, v10, v6, 0
	;; [unrolled: 1-line block ×3, first 2 shown]
	s_delay_alu instid0(VALU_DEP_3) | instskip(NEXT) | instid1(VALU_DEP_4)
	v_add_co_u32 v0, vcc_lo, v11, v0
	v_add_co_ci_u32_e32 v1, vcc_lo, 0, v1, vcc_lo
	s_delay_alu instid0(VALU_DEP_2) | instskip(NEXT) | instid1(VALU_DEP_2)
	v_add_co_u32 v0, vcc_lo, v0, v3
	v_add_co_ci_u32_e32 v0, vcc_lo, v1, v4, vcc_lo
	v_add_co_ci_u32_e32 v1, vcc_lo, 0, v6, vcc_lo
	s_delay_alu instid0(VALU_DEP_2) | instskip(NEXT) | instid1(VALU_DEP_2)
	v_add_co_u32 v3, vcc_lo, v0, v5
	v_add_co_ci_u32_e32 v4, vcc_lo, 0, v1, vcc_lo
	s_delay_alu instid0(VALU_DEP_2) | instskip(SKIP_1) | instid1(VALU_DEP_3)
	v_mul_lo_u32 v5, s11, v3
	v_mad_u64_u32 v[0:1], null, s10, v3, 0
	v_mul_lo_u32 v6, s10, v4
	s_delay_alu instid0(VALU_DEP_2) | instskip(NEXT) | instid1(VALU_DEP_2)
	v_sub_co_u32 v0, vcc_lo, v7, v0
	v_add3_u32 v1, v1, v6, v5
	s_delay_alu instid0(VALU_DEP_1) | instskip(NEXT) | instid1(VALU_DEP_1)
	v_sub_nc_u32_e32 v5, v10, v1
	v_subrev_co_ci_u32_e64 v5, s2, s11, v5, vcc_lo
	v_add_co_u32 v6, s2, v3, 2
	s_delay_alu instid0(VALU_DEP_1) | instskip(SKIP_3) | instid1(VALU_DEP_3)
	v_add_co_ci_u32_e64 v7, s2, 0, v4, s2
	v_sub_co_u32 v8, s2, v0, s10
	v_sub_co_ci_u32_e32 v1, vcc_lo, v10, v1, vcc_lo
	v_subrev_co_ci_u32_e64 v5, s2, 0, v5, s2
	v_cmp_le_u32_e32 vcc_lo, s10, v8
	s_delay_alu instid0(VALU_DEP_3) | instskip(SKIP_1) | instid1(VALU_DEP_4)
	v_cmp_eq_u32_e64 s2, s11, v1
	v_cndmask_b32_e64 v8, 0, -1, vcc_lo
	v_cmp_le_u32_e32 vcc_lo, s11, v5
	v_cndmask_b32_e64 v10, 0, -1, vcc_lo
	v_cmp_le_u32_e32 vcc_lo, s10, v0
	;; [unrolled: 2-line block ×3, first 2 shown]
	v_cndmask_b32_e64 v11, 0, -1, vcc_lo
	v_cmp_eq_u32_e32 vcc_lo, s11, v5
	s_delay_alu instid0(VALU_DEP_2) | instskip(SKIP_3) | instid1(VALU_DEP_3)
	v_cndmask_b32_e64 v0, v11, v0, s2
	v_cndmask_b32_e32 v5, v10, v8, vcc_lo
	v_add_co_u32 v8, vcc_lo, v3, 1
	v_add_co_ci_u32_e32 v10, vcc_lo, 0, v4, vcc_lo
	v_cmp_ne_u32_e32 vcc_lo, 0, v5
	s_delay_alu instid0(VALU_DEP_2) | instskip(NEXT) | instid1(VALU_DEP_4)
	v_cndmask_b32_e32 v1, v10, v7, vcc_lo
	v_cndmask_b32_e32 v5, v8, v6, vcc_lo
	v_cmp_ne_u32_e32 vcc_lo, 0, v0
	v_xor_b32_e32 v0, s8, v9
	s_delay_alu instid0(VALU_DEP_3) | instskip(SKIP_2) | instid1(VALU_DEP_3)
	v_cndmask_b32_e32 v3, v3, v5, vcc_lo
	v_cndmask_b32_e32 v1, v4, v1, vcc_lo
	v_xor_b32_e32 v4, s9, v9
	v_xor_b32_e32 v3, v3, v0
	s_delay_alu instid0(VALU_DEP_2) | instskip(NEXT) | instid1(VALU_DEP_2)
	v_xor_b32_e32 v1, v1, v4
	v_sub_co_u32 v0, vcc_lo, v3, v0
	s_delay_alu instid0(VALU_DEP_2)
	v_sub_co_ci_u32_e32 v1, vcc_lo, v1, v4, vcc_lo
.LBB13_2:
	s_and_not1_saveexec_b32 s2, s6
	s_cbranch_execz .LBB13_4
; %bb.3:
	v_cvt_f32_u32_e32 v0, s3
	s_sub_i32 s6, 0, s3
	s_delay_alu instid0(VALU_DEP_1) | instskip(SKIP_2) | instid1(VALU_DEP_1)
	v_rcp_iflag_f32_e32 v0, v0
	s_waitcnt_depctr 0xfff
	v_mul_f32_e32 v0, 0x4f7ffffe, v0
	v_cvt_u32_f32_e32 v0, v0
	s_delay_alu instid0(VALU_DEP_1) | instskip(NEXT) | instid1(VALU_DEP_1)
	v_mul_lo_u32 v1, s6, v0
	v_mul_hi_u32 v1, v0, v1
	s_delay_alu instid0(VALU_DEP_1) | instskip(NEXT) | instid1(VALU_DEP_1)
	v_add_nc_u32_e32 v0, v0, v1
	v_mul_hi_u32 v0, v2, v0
	s_delay_alu instid0(VALU_DEP_1) | instskip(SKIP_1) | instid1(VALU_DEP_2)
	v_mul_lo_u32 v1, v0, s3
	v_add_nc_u32_e32 v3, 1, v0
	v_sub_nc_u32_e32 v1, v2, v1
	s_delay_alu instid0(VALU_DEP_1) | instskip(SKIP_1) | instid1(VALU_DEP_2)
	v_subrev_nc_u32_e32 v4, s3, v1
	v_cmp_le_u32_e32 vcc_lo, s3, v1
	v_dual_cndmask_b32 v1, v1, v4 :: v_dual_cndmask_b32 v0, v0, v3
	s_delay_alu instid0(VALU_DEP_1) | instskip(NEXT) | instid1(VALU_DEP_2)
	v_cmp_le_u32_e32 vcc_lo, s3, v1
	v_add_nc_u32_e32 v3, 1, v0
	s_delay_alu instid0(VALU_DEP_1)
	v_dual_mov_b32 v1, 0 :: v_dual_cndmask_b32 v0, v0, v3
.LBB13_4:
	s_or_b32 exec_lo, exec_lo, s2
	s_load_b64 s[8:9], s[0:1], 0x18
	s_delay_alu instid0(VALU_DEP_1) | instskip(NEXT) | instid1(VALU_DEP_1)
	v_mad_u64_u32 v[3:4], null, v0, s3, 0
	v_sub_co_u32 v5, null, v2, v3
	s_delay_alu instid0(VALU_DEP_1) | instskip(SKIP_2) | instid1(VALU_DEP_2)
	v_cmp_gt_i32_e64 s2, s5, v5
	s_waitcnt lgkmcnt(0)
	v_cmp_gt_i64_e32 vcc_lo, s[8:9], v[0:1]
	s_and_b32 s2, vcc_lo, s2
	s_delay_alu instid0(SALU_CYCLE_1)
	s_and_saveexec_b32 s3, s2
	s_cbranch_execz .LBB13_398
; %bb.5:
	s_ashr_i32 s6, s4, 31
	s_load_b64 s[2:3], s[0:1], 0x0
	v_mul_lo_u32 v2, v1, s4
	v_mad_u64_u32 v[6:7], null, v0, s4, 0
	v_mul_lo_u32 v3, v0, s6
	s_delay_alu instid0(VALU_DEP_1) | instskip(SKIP_1) | instid1(VALU_DEP_2)
	v_add3_u32 v7, v7, v3, v2
	v_dual_mov_b32 v3, 0 :: v_dual_lshlrev_b32 v2, 5, v5
	v_lshlrev_b64 v[6:7], 1, v[6:7]
	s_delay_alu instid0(VALU_DEP_2) | instskip(SKIP_1) | instid1(VALU_DEP_2)
	v_lshlrev_b64 v[3:4], 1, v[2:3]
	s_waitcnt lgkmcnt(0)
	v_add_co_u32 v6, vcc_lo, s2, v6
	s_delay_alu instid0(VALU_DEP_3) | instskip(SKIP_1) | instid1(VALU_DEP_2)
	v_add_co_ci_u32_e32 v7, vcc_lo, s3, v7, vcc_lo
	s_mov_b32 s2, 0xc2fe0000
	v_add_co_u32 v3, vcc_lo, v6, v3
	s_delay_alu instid0(VALU_DEP_2)
	v_add_co_ci_u32_e32 v4, vcc_lo, v7, v4, vcc_lo
	s_clause 0x3
	global_load_b128 v[6:9], v[3:4], off
	global_load_b128 v[27:30], v[3:4], off offset:16
	global_load_b128 v[53:56], v[3:4], off offset:32
	;; [unrolled: 1-line block ×3, first 2 shown]
	s_waitcnt vmcnt(3)
	v_lshrrev_b32_e32 v3, 16, v6
	v_cvt_f32_f16_e32 v12, v6
	v_lshrrev_b32_e32 v4, 16, v7
	v_cvt_f32_f16_e32 v11, v7
	v_cvt_f32_f16_e32 v15, v8
	;; [unrolled: 1-line block ×3, first 2 shown]
	v_lshrrev_b32_e32 v3, 16, v8
	v_cvt_f32_f16_e32 v14, v4
	v_lshrrev_b32_e32 v6, 16, v9
	v_cvt_f32_f16_e32 v21, v9
	v_max3_f32 v4, |v12|, 0, |v10|
	v_cvt_f32_f16_e32 v19, v3
	s_waitcnt vmcnt(2)
	v_cvt_f32_f16_e32 v33, v28
	v_cvt_f32_f16_e32 v25, v6
	v_lshrrev_b32_e32 v6, 16, v28
	v_max3_f32 v3, v4, |v11|, |v14|
	v_lshrrev_b32_e32 v4, 16, v27
	v_cvt_f32_f16_e32 v27, v27
	v_cvt_f32_f16_e32 v39, v29
	;; [unrolled: 1-line block ×3, first 2 shown]
	v_max3_f32 v3, v3, |v15|, |v19|
	v_cvt_f32_f16_e32 v31, v4
	v_lshrrev_b32_e32 v4, 16, v29
	v_lshrrev_b32_e32 v6, 16, v30
	v_cvt_f32_f16_e32 v45, v30
	v_max3_f32 v3, v3, |v21|, |v25|
	s_waitcnt vmcnt(1)
	v_cvt_f32_f16_e32 v51, v53
	v_cvt_f32_f16_e32 v41, v4
	v_lshrrev_b32_e32 v4, 16, v53
	v_cvt_f32_f16_e32 v47, v6
	v_max3_f32 v3, v3, |v27|, |v31|
	v_lshrrev_b32_e32 v6, 16, v54
	v_cvt_f32_f16_e32 v52, v54
	v_cvt_f32_f16_e32 v53, v4
	v_lshrrev_b32_e32 v4, 16, v55
	v_max3_f32 v3, v3, |v33|, |v36|
	v_cvt_f32_f16_e32 v50, v6
	v_cvt_f32_f16_e32 v46, v55
	v_lshrrev_b32_e32 v6, 16, v56
	v_cvt_f32_f16_e32 v44, v4
	v_max3_f32 v3, v3, |v39|, |v41|
	v_cvt_f32_f16_e32 v40, v56
	s_waitcnt vmcnt(0)
	v_lshrrev_b32_e32 v4, 16, v57
	v_cvt_f32_f16_e32 v38, v6
	v_cvt_f32_f16_e32 v34, v57
	v_max3_f32 v3, v3, |v45|, |v47|
	v_lshrrev_b32_e32 v6, 16, v58
	v_cvt_f32_f16_e32 v32, v4
	v_cvt_f32_f16_e32 v28, v58
	v_lshrrev_b32_e32 v4, 16, v59
	v_max3_f32 v3, v3, |v51|, |v53|
	v_cvt_f32_f16_e32 v26, v6
	v_cvt_f32_f16_e32 v22, v59
	v_lshrrev_b32_e32 v6, 16, v60
	v_cvt_f32_f16_e32 v20, v4
	v_max3_f32 v3, v3, |v52|, |v50|
	v_cvt_f32_f16_e32 v18, v60
	s_delay_alu instid0(VALU_DEP_2) | instskip(NEXT) | instid1(VALU_DEP_1)
	v_max3_f32 v3, v3, |v46|, |v44|
	v_max3_f32 v3, v3, |v40|, |v38|
	s_delay_alu instid0(VALU_DEP_1) | instskip(NEXT) | instid1(VALU_DEP_1)
	v_max3_f32 v3, v3, |v34|, |v32|
	v_max3_f32 v4, v3, |v28|, |v26|
	v_cvt_f32_f16_e32 v3, v6
	s_delay_alu instid0(VALU_DEP_2) | instskip(NEXT) | instid1(VALU_DEP_1)
	v_max3_f32 v4, v4, |v22|, |v20|
	v_max3_f32 v4, v4, |v18|, |v3|
	s_delay_alu instid0(VALU_DEP_1) | instskip(NEXT) | instid1(VALU_DEP_1)
	v_add_nc_u32_e32 v4, 0x200000, v4
	v_and_b32_e32 v4, 0x7f800000, v4
	s_delay_alu instid0(VALU_DEP_1) | instskip(SKIP_1) | instid1(VALU_DEP_1)
	v_cmp_gt_f32_e32 vcc_lo, 0x800000, v4
	v_cndmask_b32_e64 v6, 1.0, 0x4f800000, vcc_lo
	v_mul_f32_e32 v4, v4, v6
	v_cndmask_b32_e64 v6, 0, 0x42000000, vcc_lo
	s_delay_alu instid0(VALU_DEP_2) | instskip(SKIP_2) | instid1(VALU_DEP_1)
	v_log_f32_e32 v4, v4
	s_waitcnt_depctr 0xfff
	v_sub_f32_e32 v4, v4, v6
	v_floor_f32_e32 v4, v4
	s_delay_alu instid0(VALU_DEP_1) | instskip(NEXT) | instid1(VALU_DEP_1)
	v_add_f32_e32 v4, -2.0, v4
	v_maxmin_f32 v4, v4, s2, 0x42fe0000
	s_mov_b32 s2, exec_lo
	s_delay_alu instid0(VALU_DEP_1) | instskip(SKIP_1) | instid1(VALU_DEP_1)
	v_cmp_gt_f32_e32 vcc_lo, 0xc2fc0000, v4
	v_cndmask_b32_e64 v6, 0, 0x42800000, vcc_lo
	v_add_f32_e32 v4, v4, v6
	v_cndmask_b32_e64 v6, 1.0, 0x1f800000, vcc_lo
	s_delay_alu instid0(VALU_DEP_2) | instskip(SKIP_2) | instid1(VALU_DEP_1)
	v_exp_f32_e32 v4, v4
	s_waitcnt_depctr 0xfff
	v_mul_f32_e32 v6, v4, v6
	v_div_scale_f32 v4, null, v6, v6, 1.0
	v_div_scale_f32 v9, vcc_lo, 1.0, v6, 1.0
	s_delay_alu instid0(VALU_DEP_2) | instskip(SKIP_2) | instid1(VALU_DEP_1)
	v_rcp_f32_e32 v7, v4
	s_waitcnt_depctr 0xfff
	v_fma_f32 v8, -v4, v7, 1.0
	v_fmac_f32_e32 v7, v8, v7
	s_delay_alu instid0(VALU_DEP_1) | instskip(NEXT) | instid1(VALU_DEP_1)
	v_mul_f32_e32 v8, v9, v7
	v_fma_f32 v13, -v4, v8, v9
	s_delay_alu instid0(VALU_DEP_1) | instskip(NEXT) | instid1(VALU_DEP_1)
	v_fmac_f32_e32 v8, v13, v7
	v_fma_f32 v4, -v4, v8, v9
	v_mov_b32_e32 v9, 7
	s_delay_alu instid0(VALU_DEP_2) | instskip(SKIP_2) | instid1(VALU_DEP_3)
	v_div_fmas_f32 v4, v4, v7, v8
	v_cmp_neq_f32_e32 vcc_lo, 0, v6
	v_mov_b32_e32 v8, 7
	v_div_fixup_f32 v4, v4, v6, 1.0
	s_delay_alu instid0(VALU_DEP_1) | instskip(NEXT) | instid1(VALU_DEP_1)
	v_cndmask_b32_e32 v4, 0, v4, vcc_lo
	v_mul_f32_e32 v7, v4, v12
	s_delay_alu instid0(VALU_DEP_1)
	v_cmpx_nle_f32_e64 0x40a00000, |v7|
	s_cbranch_execz .LBB13_17
; %bb.6:
	v_mov_b32_e32 v8, 6
	s_mov_b32 s3, exec_lo
	v_cmpx_nle_f32_e64 0x40600000, |v7|
	s_cbranch_execz .LBB13_16
; %bb.7:
	v_mov_b32_e32 v8, 5
	s_mov_b32 s6, exec_lo
	;; [unrolled: 5-line block ×5, first 2 shown]
	v_cmpx_nle_f32_e64 0x3f400000, |v7|
; %bb.11:
	v_cmp_le_f32_e64 s12, 0x3e800000, |v7|
	s_delay_alu instid0(VALU_DEP_1)
	v_cndmask_b32_e64 v8, 0, 1, s12
; %bb.12:
	s_or_b32 exec_lo, exec_lo, s11
.LBB13_13:
	s_delay_alu instid0(SALU_CYCLE_1)
	s_or_b32 exec_lo, exec_lo, s10
.LBB13_14:
	s_delay_alu instid0(SALU_CYCLE_1)
	s_or_b32 exec_lo, exec_lo, s9
.LBB13_15:
	s_delay_alu instid0(SALU_CYCLE_1)
	s_or_b32 exec_lo, exec_lo, s6
.LBB13_16:
	s_delay_alu instid0(SALU_CYCLE_1)
	s_or_b32 exec_lo, exec_lo, s3
.LBB13_17:
	s_delay_alu instid0(SALU_CYCLE_1) | instskip(SKIP_2) | instid1(VALU_DEP_1)
	s_or_b32 exec_lo, exec_lo, s2
	v_mul_f32_e32 v10, v4, v10
	s_mov_b32 s2, exec_lo
	v_cmpx_nle_f32_e64 0x40a00000, |v10|
	s_cbranch_execz .LBB13_29
; %bb.18:
	v_mov_b32_e32 v9, 6
	s_mov_b32 s3, exec_lo
	v_cmpx_nle_f32_e64 0x40600000, |v10|
	s_cbranch_execz .LBB13_28
; %bb.19:
	v_mov_b32_e32 v9, 5
	;; [unrolled: 5-line block ×5, first 2 shown]
	s_mov_b32 s11, exec_lo
	v_cmpx_nle_f32_e64 0x3f400000, |v10|
; %bb.23:
	v_cmp_le_f32_e64 s12, 0x3e800000, |v10|
	s_delay_alu instid0(VALU_DEP_1)
	v_cndmask_b32_e64 v9, 0, 1, s12
; %bb.24:
	s_or_b32 exec_lo, exec_lo, s11
.LBB13_25:
	s_delay_alu instid0(SALU_CYCLE_1)
	s_or_b32 exec_lo, exec_lo, s10
.LBB13_26:
	s_delay_alu instid0(SALU_CYCLE_1)
	s_or_b32 exec_lo, exec_lo, s9
.LBB13_27:
	s_delay_alu instid0(SALU_CYCLE_1)
	s_or_b32 exec_lo, exec_lo, s6
.LBB13_28:
	s_delay_alu instid0(SALU_CYCLE_1)
	s_or_b32 exec_lo, exec_lo, s3
.LBB13_29:
	s_delay_alu instid0(SALU_CYCLE_1) | instskip(SKIP_3) | instid1(VALU_DEP_2)
	s_or_b32 exec_lo, exec_lo, s2
	v_dual_mul_f32 v12, v4, v11 :: v_dual_mov_b32 v11, 7
	v_mov_b32_e32 v13, 7
	s_mov_b32 s2, exec_lo
	v_cmpx_nle_f32_e64 0x40a00000, |v12|
	s_cbranch_execz .LBB13_41
; %bb.30:
	v_mov_b32_e32 v13, 6
	s_mov_b32 s3, exec_lo
	v_cmpx_nle_f32_e64 0x40600000, |v12|
	s_cbranch_execz .LBB13_40
; %bb.31:
	;; [unrolled: 5-line block ×5, first 2 shown]
	v_mov_b32_e32 v13, 2
	s_mov_b32 s11, exec_lo
	v_cmpx_nle_f32_e64 0x3f400000, |v12|
; %bb.35:
	v_cmp_le_f32_e64 s12, 0x3e800000, |v12|
	s_delay_alu instid0(VALU_DEP_1)
	v_cndmask_b32_e64 v13, 0, 1, s12
; %bb.36:
	s_or_b32 exec_lo, exec_lo, s11
.LBB13_37:
	s_delay_alu instid0(SALU_CYCLE_1)
	s_or_b32 exec_lo, exec_lo, s10
.LBB13_38:
	s_delay_alu instid0(SALU_CYCLE_1)
	s_or_b32 exec_lo, exec_lo, s9
.LBB13_39:
	s_delay_alu instid0(SALU_CYCLE_1)
	s_or_b32 exec_lo, exec_lo, s6
.LBB13_40:
	s_delay_alu instid0(SALU_CYCLE_1)
	s_or_b32 exec_lo, exec_lo, s3
.LBB13_41:
	s_delay_alu instid0(SALU_CYCLE_1) | instskip(SKIP_2) | instid1(VALU_DEP_1)
	s_or_b32 exec_lo, exec_lo, s2
	v_mul_f32_e32 v14, v4, v14
	s_mov_b32 s2, exec_lo
	v_cmpx_nle_f32_e64 0x40a00000, |v14|
	s_cbranch_execz .LBB13_53
; %bb.42:
	v_mov_b32_e32 v11, 6
	s_mov_b32 s3, exec_lo
	v_cmpx_nle_f32_e64 0x40600000, |v14|
	s_cbranch_execz .LBB13_52
; %bb.43:
	v_mov_b32_e32 v11, 5
	;; [unrolled: 5-line block ×5, first 2 shown]
	s_mov_b32 s11, exec_lo
	v_cmpx_nle_f32_e64 0x3f400000, |v14|
; %bb.47:
	v_cmp_le_f32_e64 s12, 0x3e800000, |v14|
	s_delay_alu instid0(VALU_DEP_1)
	v_cndmask_b32_e64 v11, 0, 1, s12
; %bb.48:
	s_or_b32 exec_lo, exec_lo, s11
.LBB13_49:
	s_delay_alu instid0(SALU_CYCLE_1)
	s_or_b32 exec_lo, exec_lo, s10
.LBB13_50:
	s_delay_alu instid0(SALU_CYCLE_1)
	s_or_b32 exec_lo, exec_lo, s9
.LBB13_51:
	s_delay_alu instid0(SALU_CYCLE_1)
	s_or_b32 exec_lo, exec_lo, s6
.LBB13_52:
	s_delay_alu instid0(SALU_CYCLE_1)
	s_or_b32 exec_lo, exec_lo, s3
.LBB13_53:
	s_delay_alu instid0(SALU_CYCLE_1) | instskip(SKIP_3) | instid1(VALU_DEP_2)
	s_or_b32 exec_lo, exec_lo, s2
	v_dual_mul_f32 v17, v4, v15 :: v_dual_mov_b32 v16, 7
	v_mov_b32_e32 v15, 7
	s_mov_b32 s2, exec_lo
	v_cmpx_nle_f32_e64 0x40a00000, |v17|
	s_cbranch_execz .LBB13_65
; %bb.54:
	v_mov_b32_e32 v16, 6
	s_mov_b32 s3, exec_lo
	v_cmpx_nle_f32_e64 0x40600000, |v17|
	s_cbranch_execz .LBB13_64
; %bb.55:
	;; [unrolled: 5-line block ×5, first 2 shown]
	v_mov_b32_e32 v16, 2
	s_mov_b32 s11, exec_lo
	v_cmpx_nle_f32_e64 0x3f400000, |v17|
; %bb.59:
	v_cmp_le_f32_e64 s12, 0x3e800000, |v17|
	s_delay_alu instid0(VALU_DEP_1)
	v_cndmask_b32_e64 v16, 0, 1, s12
; %bb.60:
	s_or_b32 exec_lo, exec_lo, s11
.LBB13_61:
	s_delay_alu instid0(SALU_CYCLE_1)
	s_or_b32 exec_lo, exec_lo, s10
.LBB13_62:
	s_delay_alu instid0(SALU_CYCLE_1)
	s_or_b32 exec_lo, exec_lo, s9
.LBB13_63:
	s_delay_alu instid0(SALU_CYCLE_1)
	s_or_b32 exec_lo, exec_lo, s6
.LBB13_64:
	s_delay_alu instid0(SALU_CYCLE_1)
	s_or_b32 exec_lo, exec_lo, s3
.LBB13_65:
	s_delay_alu instid0(SALU_CYCLE_1) | instskip(SKIP_2) | instid1(VALU_DEP_1)
	s_or_b32 exec_lo, exec_lo, s2
	v_mul_f32_e32 v19, v4, v19
	s_mov_b32 s2, exec_lo
	v_cmpx_nle_f32_e64 0x40a00000, |v19|
	s_cbranch_execz .LBB13_77
; %bb.66:
	v_mov_b32_e32 v15, 6
	s_mov_b32 s3, exec_lo
	v_cmpx_nle_f32_e64 0x40600000, |v19|
	s_cbranch_execz .LBB13_76
; %bb.67:
	v_mov_b32_e32 v15, 5
	;; [unrolled: 5-line block ×5, first 2 shown]
	s_mov_b32 s11, exec_lo
	v_cmpx_nle_f32_e64 0x3f400000, |v19|
; %bb.71:
	v_cmp_le_f32_e64 s12, 0x3e800000, |v19|
	s_delay_alu instid0(VALU_DEP_1)
	v_cndmask_b32_e64 v15, 0, 1, s12
; %bb.72:
	s_or_b32 exec_lo, exec_lo, s11
.LBB13_73:
	s_delay_alu instid0(SALU_CYCLE_1)
	s_or_b32 exec_lo, exec_lo, s10
.LBB13_74:
	s_delay_alu instid0(SALU_CYCLE_1)
	s_or_b32 exec_lo, exec_lo, s9
.LBB13_75:
	s_delay_alu instid0(SALU_CYCLE_1)
	s_or_b32 exec_lo, exec_lo, s6
.LBB13_76:
	s_delay_alu instid0(SALU_CYCLE_1)
	s_or_b32 exec_lo, exec_lo, s3
.LBB13_77:
	s_delay_alu instid0(SALU_CYCLE_1) | instskip(SKIP_3) | instid1(VALU_DEP_2)
	s_or_b32 exec_lo, exec_lo, s2
	v_dual_mul_f32 v24, v4, v21 :: v_dual_mov_b32 v21, 7
	v_mov_b32_e32 v23, 7
	s_mov_b32 s2, exec_lo
	v_cmpx_nle_f32_e64 0x40a00000, |v24|
	s_cbranch_execz .LBB13_89
; %bb.78:
	v_mov_b32_e32 v23, 6
	s_mov_b32 s3, exec_lo
	v_cmpx_nle_f32_e64 0x40600000, |v24|
	s_cbranch_execz .LBB13_88
; %bb.79:
	;; [unrolled: 5-line block ×5, first 2 shown]
	v_mov_b32_e32 v23, 2
	s_mov_b32 s11, exec_lo
	v_cmpx_nle_f32_e64 0x3f400000, |v24|
; %bb.83:
	v_cmp_le_f32_e64 s12, 0x3e800000, |v24|
	s_delay_alu instid0(VALU_DEP_1)
	v_cndmask_b32_e64 v23, 0, 1, s12
; %bb.84:
	s_or_b32 exec_lo, exec_lo, s11
.LBB13_85:
	s_delay_alu instid0(SALU_CYCLE_1)
	s_or_b32 exec_lo, exec_lo, s10
.LBB13_86:
	s_delay_alu instid0(SALU_CYCLE_1)
	s_or_b32 exec_lo, exec_lo, s9
.LBB13_87:
	s_delay_alu instid0(SALU_CYCLE_1)
	s_or_b32 exec_lo, exec_lo, s6
.LBB13_88:
	s_delay_alu instid0(SALU_CYCLE_1)
	s_or_b32 exec_lo, exec_lo, s3
.LBB13_89:
	s_delay_alu instid0(SALU_CYCLE_1) | instskip(SKIP_2) | instid1(VALU_DEP_1)
	s_or_b32 exec_lo, exec_lo, s2
	v_mul_f32_e32 v25, v4, v25
	s_mov_b32 s2, exec_lo
	v_cmpx_nle_f32_e64 0x40a00000, |v25|
	s_cbranch_execz .LBB13_101
; %bb.90:
	v_mov_b32_e32 v21, 6
	s_mov_b32 s3, exec_lo
	v_cmpx_nle_f32_e64 0x40600000, |v25|
	s_cbranch_execz .LBB13_100
; %bb.91:
	v_mov_b32_e32 v21, 5
	;; [unrolled: 5-line block ×5, first 2 shown]
	s_mov_b32 s11, exec_lo
	v_cmpx_nle_f32_e64 0x3f400000, |v25|
; %bb.95:
	v_cmp_le_f32_e64 s12, 0x3e800000, |v25|
	s_delay_alu instid0(VALU_DEP_1)
	v_cndmask_b32_e64 v21, 0, 1, s12
; %bb.96:
	s_or_b32 exec_lo, exec_lo, s11
.LBB13_97:
	s_delay_alu instid0(SALU_CYCLE_1)
	s_or_b32 exec_lo, exec_lo, s10
.LBB13_98:
	s_delay_alu instid0(SALU_CYCLE_1)
	s_or_b32 exec_lo, exec_lo, s9
.LBB13_99:
	s_delay_alu instid0(SALU_CYCLE_1)
	s_or_b32 exec_lo, exec_lo, s6
.LBB13_100:
	s_delay_alu instid0(SALU_CYCLE_1)
	s_or_b32 exec_lo, exec_lo, s3
.LBB13_101:
	s_delay_alu instid0(SALU_CYCLE_1) | instskip(SKIP_3) | instid1(VALU_DEP_2)
	s_or_b32 exec_lo, exec_lo, s2
	v_dual_mul_f32 v29, v4, v27 :: v_dual_mov_b32 v30, 7
	v_mov_b32_e32 v27, 7
	s_mov_b32 s2, exec_lo
	v_cmpx_nle_f32_e64 0x40a00000, |v29|
	s_cbranch_execz .LBB13_113
; %bb.102:
	v_mov_b32_e32 v30, 6
	s_mov_b32 s3, exec_lo
	v_cmpx_nle_f32_e64 0x40600000, |v29|
	s_cbranch_execz .LBB13_112
; %bb.103:
	v_mov_b32_e32 v30, 5
	s_mov_b32 s6, exec_lo
	v_cmpx_nle_f32_e64 0x40200000, |v29|
	s_cbranch_execz .LBB13_111
; %bb.104:
	v_mov_b32_e32 v30, 4
	s_mov_b32 s9, exec_lo
	v_cmpx_nle_f32_e64 0x3fe00000, |v29|
	s_cbranch_execz .LBB13_110
; %bb.105:
	v_mov_b32_e32 v30, 3
	s_mov_b32 s10, exec_lo
	v_cmpx_nle_f32_e64 0x3fa00000, |v29|
	s_cbranch_execz .LBB13_109
; %bb.106:
	v_mov_b32_e32 v30, 2
	s_mov_b32 s11, exec_lo
	v_cmpx_nle_f32_e64 0x3f400000, |v29|
; %bb.107:
	v_cmp_le_f32_e64 s12, 0x3e800000, |v29|
	s_delay_alu instid0(VALU_DEP_1)
	v_cndmask_b32_e64 v30, 0, 1, s12
; %bb.108:
	s_or_b32 exec_lo, exec_lo, s11
.LBB13_109:
	s_delay_alu instid0(SALU_CYCLE_1)
	s_or_b32 exec_lo, exec_lo, s10
.LBB13_110:
	s_delay_alu instid0(SALU_CYCLE_1)
	s_or_b32 exec_lo, exec_lo, s9
.LBB13_111:
	s_delay_alu instid0(SALU_CYCLE_1)
	s_or_b32 exec_lo, exec_lo, s6
.LBB13_112:
	s_delay_alu instid0(SALU_CYCLE_1)
	s_or_b32 exec_lo, exec_lo, s3
.LBB13_113:
	s_delay_alu instid0(SALU_CYCLE_1) | instskip(SKIP_2) | instid1(VALU_DEP_1)
	s_or_b32 exec_lo, exec_lo, s2
	v_mul_f32_e32 v31, v4, v31
	s_mov_b32 s2, exec_lo
	v_cmpx_nle_f32_e64 0x40a00000, |v31|
	s_cbranch_execz .LBB13_125
; %bb.114:
	v_mov_b32_e32 v27, 6
	s_mov_b32 s3, exec_lo
	v_cmpx_nle_f32_e64 0x40600000, |v31|
	s_cbranch_execz .LBB13_124
; %bb.115:
	v_mov_b32_e32 v27, 5
	;; [unrolled: 5-line block ×5, first 2 shown]
	s_mov_b32 s11, exec_lo
	v_cmpx_nle_f32_e64 0x3f400000, |v31|
; %bb.119:
	v_cmp_le_f32_e64 s12, 0x3e800000, |v31|
	s_delay_alu instid0(VALU_DEP_1)
	v_cndmask_b32_e64 v27, 0, 1, s12
; %bb.120:
	s_or_b32 exec_lo, exec_lo, s11
.LBB13_121:
	s_delay_alu instid0(SALU_CYCLE_1)
	s_or_b32 exec_lo, exec_lo, s10
.LBB13_122:
	s_delay_alu instid0(SALU_CYCLE_1)
	s_or_b32 exec_lo, exec_lo, s9
.LBB13_123:
	s_delay_alu instid0(SALU_CYCLE_1)
	s_or_b32 exec_lo, exec_lo, s6
.LBB13_124:
	s_delay_alu instid0(SALU_CYCLE_1)
	s_or_b32 exec_lo, exec_lo, s3
.LBB13_125:
	s_delay_alu instid0(SALU_CYCLE_1) | instskip(SKIP_4) | instid1(VALU_DEP_3)
	s_or_b32 exec_lo, exec_lo, s2
	v_mul_f32_e32 v35, v4, v33
	v_mov_b32_e32 v33, 7
	v_mov_b32_e32 v37, 7
	s_mov_b32 s2, exec_lo
	v_cmpx_nle_f32_e64 0x40a00000, |v35|
	s_cbranch_execz .LBB13_137
; %bb.126:
	v_mov_b32_e32 v37, 6
	s_mov_b32 s3, exec_lo
	v_cmpx_nle_f32_e64 0x40600000, |v35|
	s_cbranch_execz .LBB13_136
; %bb.127:
	;; [unrolled: 5-line block ×5, first 2 shown]
	v_mov_b32_e32 v37, 2
	s_mov_b32 s11, exec_lo
	v_cmpx_nle_f32_e64 0x3f400000, |v35|
; %bb.131:
	v_cmp_le_f32_e64 s12, 0x3e800000, |v35|
	s_delay_alu instid0(VALU_DEP_1)
	v_cndmask_b32_e64 v37, 0, 1, s12
; %bb.132:
	s_or_b32 exec_lo, exec_lo, s11
.LBB13_133:
	s_delay_alu instid0(SALU_CYCLE_1)
	s_or_b32 exec_lo, exec_lo, s10
.LBB13_134:
	s_delay_alu instid0(SALU_CYCLE_1)
	s_or_b32 exec_lo, exec_lo, s9
.LBB13_135:
	s_delay_alu instid0(SALU_CYCLE_1)
	s_or_b32 exec_lo, exec_lo, s6
.LBB13_136:
	s_delay_alu instid0(SALU_CYCLE_1)
	s_or_b32 exec_lo, exec_lo, s3
.LBB13_137:
	s_delay_alu instid0(SALU_CYCLE_1) | instskip(SKIP_2) | instid1(VALU_DEP_1)
	s_or_b32 exec_lo, exec_lo, s2
	v_mul_f32_e32 v36, v4, v36
	s_mov_b32 s2, exec_lo
	v_cmpx_nle_f32_e64 0x40a00000, |v36|
	s_cbranch_execz .LBB13_149
; %bb.138:
	v_mov_b32_e32 v33, 6
	s_mov_b32 s3, exec_lo
	v_cmpx_nle_f32_e64 0x40600000, |v36|
	s_cbranch_execz .LBB13_148
; %bb.139:
	v_mov_b32_e32 v33, 5
	s_mov_b32 s6, exec_lo
	v_cmpx_nle_f32_e64 0x40200000, |v36|
	s_cbranch_execz .LBB13_147
; %bb.140:
	v_mov_b32_e32 v33, 4
	s_mov_b32 s9, exec_lo
	v_cmpx_nle_f32_e64 0x3fe00000, |v36|
	s_cbranch_execz .LBB13_146
; %bb.141:
	v_mov_b32_e32 v33, 3
	s_mov_b32 s10, exec_lo
	v_cmpx_nle_f32_e64 0x3fa00000, |v36|
	s_cbranch_execz .LBB13_145
; %bb.142:
	v_mov_b32_e32 v33, 2
	s_mov_b32 s11, exec_lo
	v_cmpx_nle_f32_e64 0x3f400000, |v36|
; %bb.143:
	v_cmp_le_f32_e64 s12, 0x3e800000, |v36|
	s_delay_alu instid0(VALU_DEP_1)
	v_cndmask_b32_e64 v33, 0, 1, s12
; %bb.144:
	s_or_b32 exec_lo, exec_lo, s11
.LBB13_145:
	s_delay_alu instid0(SALU_CYCLE_1)
	s_or_b32 exec_lo, exec_lo, s10
.LBB13_146:
	s_delay_alu instid0(SALU_CYCLE_1)
	s_or_b32 exec_lo, exec_lo, s9
.LBB13_147:
	s_delay_alu instid0(SALU_CYCLE_1)
	s_or_b32 exec_lo, exec_lo, s6
.LBB13_148:
	s_delay_alu instid0(SALU_CYCLE_1)
	s_or_b32 exec_lo, exec_lo, s3
.LBB13_149:
	s_delay_alu instid0(SALU_CYCLE_1) | instskip(SKIP_3) | instid1(VALU_DEP_2)
	s_or_b32 exec_lo, exec_lo, s2
	v_dual_mul_f32 v43, v4, v39 :: v_dual_mov_b32 v42, 7
	v_mov_b32_e32 v39, 7
	s_mov_b32 s2, exec_lo
	v_cmpx_nle_f32_e64 0x40a00000, |v43|
	s_cbranch_execz .LBB13_161
; %bb.150:
	v_mov_b32_e32 v42, 6
	s_mov_b32 s3, exec_lo
	v_cmpx_nle_f32_e64 0x40600000, |v43|
	s_cbranch_execz .LBB13_160
; %bb.151:
	;; [unrolled: 5-line block ×5, first 2 shown]
	v_mov_b32_e32 v42, 2
	s_mov_b32 s11, exec_lo
	v_cmpx_nle_f32_e64 0x3f400000, |v43|
; %bb.155:
	v_cmp_le_f32_e64 s12, 0x3e800000, |v43|
	s_delay_alu instid0(VALU_DEP_1)
	v_cndmask_b32_e64 v42, 0, 1, s12
; %bb.156:
	s_or_b32 exec_lo, exec_lo, s11
.LBB13_157:
	s_delay_alu instid0(SALU_CYCLE_1)
	s_or_b32 exec_lo, exec_lo, s10
.LBB13_158:
	s_delay_alu instid0(SALU_CYCLE_1)
	s_or_b32 exec_lo, exec_lo, s9
.LBB13_159:
	s_delay_alu instid0(SALU_CYCLE_1)
	s_or_b32 exec_lo, exec_lo, s6
.LBB13_160:
	s_delay_alu instid0(SALU_CYCLE_1)
	s_or_b32 exec_lo, exec_lo, s3
.LBB13_161:
	s_delay_alu instid0(SALU_CYCLE_1) | instskip(SKIP_2) | instid1(VALU_DEP_1)
	s_or_b32 exec_lo, exec_lo, s2
	v_mul_f32_e32 v41, v4, v41
	s_mov_b32 s2, exec_lo
	v_cmpx_nle_f32_e64 0x40a00000, |v41|
	s_cbranch_execz .LBB13_173
; %bb.162:
	v_mov_b32_e32 v39, 6
	s_mov_b32 s3, exec_lo
	v_cmpx_nle_f32_e64 0x40600000, |v41|
	s_cbranch_execz .LBB13_172
; %bb.163:
	v_mov_b32_e32 v39, 5
	;; [unrolled: 5-line block ×5, first 2 shown]
	s_mov_b32 s11, exec_lo
	v_cmpx_nle_f32_e64 0x3f400000, |v41|
; %bb.167:
	v_cmp_le_f32_e64 s12, 0x3e800000, |v41|
	s_delay_alu instid0(VALU_DEP_1)
	v_cndmask_b32_e64 v39, 0, 1, s12
; %bb.168:
	s_or_b32 exec_lo, exec_lo, s11
.LBB13_169:
	s_delay_alu instid0(SALU_CYCLE_1)
	s_or_b32 exec_lo, exec_lo, s10
.LBB13_170:
	s_delay_alu instid0(SALU_CYCLE_1)
	s_or_b32 exec_lo, exec_lo, s9
.LBB13_171:
	s_delay_alu instid0(SALU_CYCLE_1)
	s_or_b32 exec_lo, exec_lo, s6
.LBB13_172:
	s_delay_alu instid0(SALU_CYCLE_1)
	s_or_b32 exec_lo, exec_lo, s3
.LBB13_173:
	s_delay_alu instid0(SALU_CYCLE_1) | instskip(SKIP_3) | instid1(VALU_DEP_2)
	s_or_b32 exec_lo, exec_lo, s2
	v_dual_mul_f32 v49, v4, v45 :: v_dual_mov_b32 v48, 7
	v_mov_b32_e32 v45, 7
	s_mov_b32 s2, exec_lo
	v_cmpx_nle_f32_e64 0x40a00000, |v49|
	s_cbranch_execz .LBB13_185
; %bb.174:
	v_mov_b32_e32 v48, 6
	s_mov_b32 s3, exec_lo
	v_cmpx_nle_f32_e64 0x40600000, |v49|
	s_cbranch_execz .LBB13_184
; %bb.175:
	;; [unrolled: 5-line block ×5, first 2 shown]
	v_mov_b32_e32 v48, 2
	s_mov_b32 s11, exec_lo
	v_cmpx_nle_f32_e64 0x3f400000, |v49|
; %bb.179:
	v_cmp_le_f32_e64 s12, 0x3e800000, |v49|
	s_delay_alu instid0(VALU_DEP_1)
	v_cndmask_b32_e64 v48, 0, 1, s12
; %bb.180:
	s_or_b32 exec_lo, exec_lo, s11
.LBB13_181:
	s_delay_alu instid0(SALU_CYCLE_1)
	s_or_b32 exec_lo, exec_lo, s10
.LBB13_182:
	s_delay_alu instid0(SALU_CYCLE_1)
	s_or_b32 exec_lo, exec_lo, s9
.LBB13_183:
	s_delay_alu instid0(SALU_CYCLE_1)
	s_or_b32 exec_lo, exec_lo, s6
.LBB13_184:
	s_delay_alu instid0(SALU_CYCLE_1)
	s_or_b32 exec_lo, exec_lo, s3
.LBB13_185:
	s_delay_alu instid0(SALU_CYCLE_1) | instskip(SKIP_2) | instid1(VALU_DEP_1)
	s_or_b32 exec_lo, exec_lo, s2
	v_mul_f32_e32 v47, v4, v47
	s_mov_b32 s2, exec_lo
	v_cmpx_nle_f32_e64 0x40a00000, |v47|
	s_cbranch_execz .LBB13_197
; %bb.186:
	v_mov_b32_e32 v45, 6
	s_mov_b32 s3, exec_lo
	v_cmpx_nle_f32_e64 0x40600000, |v47|
	s_cbranch_execz .LBB13_196
; %bb.187:
	v_mov_b32_e32 v45, 5
	;; [unrolled: 5-line block ×5, first 2 shown]
	s_mov_b32 s11, exec_lo
	v_cmpx_nle_f32_e64 0x3f400000, |v47|
; %bb.191:
	v_cmp_le_f32_e64 s12, 0x3e800000, |v47|
	s_delay_alu instid0(VALU_DEP_1)
	v_cndmask_b32_e64 v45, 0, 1, s12
; %bb.192:
	s_or_b32 exec_lo, exec_lo, s11
.LBB13_193:
	s_delay_alu instid0(SALU_CYCLE_1)
	s_or_b32 exec_lo, exec_lo, s10
.LBB13_194:
	s_delay_alu instid0(SALU_CYCLE_1)
	s_or_b32 exec_lo, exec_lo, s9
.LBB13_195:
	s_delay_alu instid0(SALU_CYCLE_1)
	s_or_b32 exec_lo, exec_lo, s6
.LBB13_196:
	s_delay_alu instid0(SALU_CYCLE_1)
	s_or_b32 exec_lo, exec_lo, s3
.LBB13_197:
	s_delay_alu instid0(SALU_CYCLE_1) | instskip(SKIP_3) | instid1(VALU_DEP_2)
	s_or_b32 exec_lo, exec_lo, s2
	v_dual_mul_f32 v55, v4, v51 :: v_dual_mov_b32 v54, 7
	v_mov_b32_e32 v51, 7
	s_mov_b32 s2, exec_lo
	v_cmpx_nle_f32_e64 0x40a00000, |v55|
	s_cbranch_execz .LBB13_209
; %bb.198:
	v_mov_b32_e32 v54, 6
	s_mov_b32 s3, exec_lo
	v_cmpx_nle_f32_e64 0x40600000, |v55|
	s_cbranch_execz .LBB13_208
; %bb.199:
	;; [unrolled: 5-line block ×5, first 2 shown]
	v_mov_b32_e32 v54, 2
	s_mov_b32 s11, exec_lo
	v_cmpx_nle_f32_e64 0x3f400000, |v55|
; %bb.203:
	v_cmp_le_f32_e64 s12, 0x3e800000, |v55|
	s_delay_alu instid0(VALU_DEP_1)
	v_cndmask_b32_e64 v54, 0, 1, s12
; %bb.204:
	s_or_b32 exec_lo, exec_lo, s11
.LBB13_205:
	s_delay_alu instid0(SALU_CYCLE_1)
	s_or_b32 exec_lo, exec_lo, s10
.LBB13_206:
	s_delay_alu instid0(SALU_CYCLE_1)
	s_or_b32 exec_lo, exec_lo, s9
.LBB13_207:
	s_delay_alu instid0(SALU_CYCLE_1)
	s_or_b32 exec_lo, exec_lo, s6
.LBB13_208:
	s_delay_alu instid0(SALU_CYCLE_1)
	s_or_b32 exec_lo, exec_lo, s3
.LBB13_209:
	s_delay_alu instid0(SALU_CYCLE_1) | instskip(SKIP_2) | instid1(VALU_DEP_1)
	s_or_b32 exec_lo, exec_lo, s2
	v_mul_f32_e32 v53, v4, v53
	s_mov_b32 s2, exec_lo
	v_cmpx_nle_f32_e64 0x40a00000, |v53|
	s_cbranch_execz .LBB13_221
; %bb.210:
	v_mov_b32_e32 v51, 6
	s_mov_b32 s3, exec_lo
	v_cmpx_nle_f32_e64 0x40600000, |v53|
	s_cbranch_execz .LBB13_220
; %bb.211:
	v_mov_b32_e32 v51, 5
	;; [unrolled: 5-line block ×5, first 2 shown]
	s_mov_b32 s11, exec_lo
	v_cmpx_nle_f32_e64 0x3f400000, |v53|
; %bb.215:
	v_cmp_le_f32_e64 s12, 0x3e800000, |v53|
	s_delay_alu instid0(VALU_DEP_1)
	v_cndmask_b32_e64 v51, 0, 1, s12
; %bb.216:
	s_or_b32 exec_lo, exec_lo, s11
.LBB13_217:
	s_delay_alu instid0(SALU_CYCLE_1)
	s_or_b32 exec_lo, exec_lo, s10
.LBB13_218:
	s_delay_alu instid0(SALU_CYCLE_1)
	s_or_b32 exec_lo, exec_lo, s9
.LBB13_219:
	s_delay_alu instid0(SALU_CYCLE_1)
	s_or_b32 exec_lo, exec_lo, s6
.LBB13_220:
	s_delay_alu instid0(SALU_CYCLE_1)
	s_or_b32 exec_lo, exec_lo, s3
.LBB13_221:
	s_delay_alu instid0(SALU_CYCLE_1) | instskip(SKIP_3) | instid1(VALU_DEP_2)
	s_or_b32 exec_lo, exec_lo, s2
	v_dual_mul_f32 v56, v4, v52 :: v_dual_mov_b32 v57, 7
	v_mov_b32_e32 v52, 7
	s_mov_b32 s2, exec_lo
	v_cmpx_nle_f32_e64 0x40a00000, |v56|
	s_cbranch_execz .LBB13_233
; %bb.222:
	v_mov_b32_e32 v57, 6
	s_mov_b32 s3, exec_lo
	v_cmpx_nle_f32_e64 0x40600000, |v56|
	s_cbranch_execz .LBB13_232
; %bb.223:
	v_mov_b32_e32 v57, 5
	s_mov_b32 s6, exec_lo
	v_cmpx_nle_f32_e64 0x40200000, |v56|
	s_cbranch_execz .LBB13_231
; %bb.224:
	v_mov_b32_e32 v57, 4
	s_mov_b32 s9, exec_lo
	v_cmpx_nle_f32_e64 0x3fe00000, |v56|
	s_cbranch_execz .LBB13_230
; %bb.225:
	v_mov_b32_e32 v57, 3
	s_mov_b32 s10, exec_lo
	v_cmpx_nle_f32_e64 0x3fa00000, |v56|
	s_cbranch_execz .LBB13_229
; %bb.226:
	v_mov_b32_e32 v57, 2
	s_mov_b32 s11, exec_lo
	v_cmpx_nle_f32_e64 0x3f400000, |v56|
; %bb.227:
	v_cmp_le_f32_e64 s12, 0x3e800000, |v56|
	s_delay_alu instid0(VALU_DEP_1)
	v_cndmask_b32_e64 v57, 0, 1, s12
; %bb.228:
	s_or_b32 exec_lo, exec_lo, s11
.LBB13_229:
	s_delay_alu instid0(SALU_CYCLE_1)
	s_or_b32 exec_lo, exec_lo, s10
.LBB13_230:
	s_delay_alu instid0(SALU_CYCLE_1)
	s_or_b32 exec_lo, exec_lo, s9
.LBB13_231:
	s_delay_alu instid0(SALU_CYCLE_1)
	s_or_b32 exec_lo, exec_lo, s6
.LBB13_232:
	s_delay_alu instid0(SALU_CYCLE_1)
	s_or_b32 exec_lo, exec_lo, s3
.LBB13_233:
	s_delay_alu instid0(SALU_CYCLE_1) | instskip(SKIP_2) | instid1(VALU_DEP_1)
	s_or_b32 exec_lo, exec_lo, s2
	v_mul_f32_e32 v50, v4, v50
	s_mov_b32 s2, exec_lo
	v_cmpx_nle_f32_e64 0x40a00000, |v50|
	s_cbranch_execz .LBB13_245
; %bb.234:
	v_mov_b32_e32 v52, 6
	s_mov_b32 s3, exec_lo
	v_cmpx_nle_f32_e64 0x40600000, |v50|
	s_cbranch_execz .LBB13_244
; %bb.235:
	v_mov_b32_e32 v52, 5
	;; [unrolled: 5-line block ×5, first 2 shown]
	s_mov_b32 s11, exec_lo
	v_cmpx_nle_f32_e64 0x3f400000, |v50|
; %bb.239:
	v_cmp_le_f32_e64 s12, 0x3e800000, |v50|
	s_delay_alu instid0(VALU_DEP_1)
	v_cndmask_b32_e64 v52, 0, 1, s12
; %bb.240:
	s_or_b32 exec_lo, exec_lo, s11
.LBB13_241:
	s_delay_alu instid0(SALU_CYCLE_1)
	s_or_b32 exec_lo, exec_lo, s10
.LBB13_242:
	s_delay_alu instid0(SALU_CYCLE_1)
	s_or_b32 exec_lo, exec_lo, s9
.LBB13_243:
	s_delay_alu instid0(SALU_CYCLE_1)
	s_or_b32 exec_lo, exec_lo, s6
.LBB13_244:
	s_delay_alu instid0(SALU_CYCLE_1)
	s_or_b32 exec_lo, exec_lo, s3
.LBB13_245:
	s_delay_alu instid0(SALU_CYCLE_1) | instskip(SKIP_3) | instid1(VALU_DEP_2)
	s_or_b32 exec_lo, exec_lo, s2
	v_dual_mul_f32 v58, v4, v46 :: v_dual_mov_b32 v59, 7
	v_mov_b32_e32 v46, 7
	s_mov_b32 s2, exec_lo
	v_cmpx_nle_f32_e64 0x40a00000, |v58|
	s_cbranch_execz .LBB13_257
; %bb.246:
	v_mov_b32_e32 v59, 6
	s_mov_b32 s3, exec_lo
	v_cmpx_nle_f32_e64 0x40600000, |v58|
	s_cbranch_execz .LBB13_256
; %bb.247:
	;; [unrolled: 5-line block ×5, first 2 shown]
	v_mov_b32_e32 v59, 2
	s_mov_b32 s11, exec_lo
	v_cmpx_nle_f32_e64 0x3f400000, |v58|
; %bb.251:
	v_cmp_le_f32_e64 s12, 0x3e800000, |v58|
	s_delay_alu instid0(VALU_DEP_1)
	v_cndmask_b32_e64 v59, 0, 1, s12
; %bb.252:
	s_or_b32 exec_lo, exec_lo, s11
.LBB13_253:
	s_delay_alu instid0(SALU_CYCLE_1)
	s_or_b32 exec_lo, exec_lo, s10
.LBB13_254:
	s_delay_alu instid0(SALU_CYCLE_1)
	s_or_b32 exec_lo, exec_lo, s9
.LBB13_255:
	s_delay_alu instid0(SALU_CYCLE_1)
	s_or_b32 exec_lo, exec_lo, s6
.LBB13_256:
	s_delay_alu instid0(SALU_CYCLE_1)
	s_or_b32 exec_lo, exec_lo, s3
.LBB13_257:
	s_delay_alu instid0(SALU_CYCLE_1) | instskip(SKIP_2) | instid1(VALU_DEP_1)
	s_or_b32 exec_lo, exec_lo, s2
	v_mul_f32_e32 v44, v4, v44
	s_mov_b32 s2, exec_lo
	v_cmpx_nle_f32_e64 0x40a00000, |v44|
	s_cbranch_execz .LBB13_269
; %bb.258:
	v_mov_b32_e32 v46, 6
	s_mov_b32 s3, exec_lo
	v_cmpx_nle_f32_e64 0x40600000, |v44|
	s_cbranch_execz .LBB13_268
; %bb.259:
	v_mov_b32_e32 v46, 5
	s_mov_b32 s6, exec_lo
	v_cmpx_nle_f32_e64 0x40200000, |v44|
	s_cbranch_execz .LBB13_267
; %bb.260:
	v_mov_b32_e32 v46, 4
	s_mov_b32 s9, exec_lo
	v_cmpx_nle_f32_e64 0x3fe00000, |v44|
	s_cbranch_execz .LBB13_266
; %bb.261:
	v_mov_b32_e32 v46, 3
	s_mov_b32 s10, exec_lo
	v_cmpx_nle_f32_e64 0x3fa00000, |v44|
	s_cbranch_execz .LBB13_265
; %bb.262:
	v_mov_b32_e32 v46, 2
	s_mov_b32 s11, exec_lo
	v_cmpx_nle_f32_e64 0x3f400000, |v44|
; %bb.263:
	v_cmp_le_f32_e64 s12, 0x3e800000, |v44|
	s_delay_alu instid0(VALU_DEP_1)
	v_cndmask_b32_e64 v46, 0, 1, s12
; %bb.264:
	s_or_b32 exec_lo, exec_lo, s11
.LBB13_265:
	s_delay_alu instid0(SALU_CYCLE_1)
	s_or_b32 exec_lo, exec_lo, s10
.LBB13_266:
	s_delay_alu instid0(SALU_CYCLE_1)
	s_or_b32 exec_lo, exec_lo, s9
.LBB13_267:
	s_delay_alu instid0(SALU_CYCLE_1)
	s_or_b32 exec_lo, exec_lo, s6
.LBB13_268:
	s_delay_alu instid0(SALU_CYCLE_1)
	s_or_b32 exec_lo, exec_lo, s3
.LBB13_269:
	s_delay_alu instid0(SALU_CYCLE_1) | instskip(SKIP_3) | instid1(VALU_DEP_2)
	s_or_b32 exec_lo, exec_lo, s2
	v_dual_mul_f32 v61, v4, v40 :: v_dual_mov_b32 v40, 7
	v_mov_b32_e32 v60, 7
	s_mov_b32 s2, exec_lo
	v_cmpx_nle_f32_e64 0x40a00000, |v61|
	s_cbranch_execz .LBB13_281
; %bb.270:
	v_mov_b32_e32 v60, 6
	s_mov_b32 s3, exec_lo
	v_cmpx_nle_f32_e64 0x40600000, |v61|
	s_cbranch_execz .LBB13_280
; %bb.271:
	;; [unrolled: 5-line block ×5, first 2 shown]
	v_mov_b32_e32 v60, 2
	s_mov_b32 s11, exec_lo
	v_cmpx_nle_f32_e64 0x3f400000, |v61|
; %bb.275:
	v_cmp_le_f32_e64 s12, 0x3e800000, |v61|
	s_delay_alu instid0(VALU_DEP_1)
	v_cndmask_b32_e64 v60, 0, 1, s12
; %bb.276:
	s_or_b32 exec_lo, exec_lo, s11
.LBB13_277:
	s_delay_alu instid0(SALU_CYCLE_1)
	s_or_b32 exec_lo, exec_lo, s10
.LBB13_278:
	s_delay_alu instid0(SALU_CYCLE_1)
	s_or_b32 exec_lo, exec_lo, s9
.LBB13_279:
	s_delay_alu instid0(SALU_CYCLE_1)
	s_or_b32 exec_lo, exec_lo, s6
.LBB13_280:
	s_delay_alu instid0(SALU_CYCLE_1)
	s_or_b32 exec_lo, exec_lo, s3
.LBB13_281:
	s_delay_alu instid0(SALU_CYCLE_1) | instskip(SKIP_2) | instid1(VALU_DEP_1)
	s_or_b32 exec_lo, exec_lo, s2
	v_mul_f32_e32 v38, v4, v38
	s_mov_b32 s2, exec_lo
	v_cmpx_nle_f32_e64 0x40a00000, |v38|
	s_cbranch_execz .LBB13_293
; %bb.282:
	v_mov_b32_e32 v40, 6
	s_mov_b32 s3, exec_lo
	v_cmpx_nle_f32_e64 0x40600000, |v38|
	s_cbranch_execz .LBB13_292
; %bb.283:
	v_mov_b32_e32 v40, 5
	;; [unrolled: 5-line block ×5, first 2 shown]
	s_mov_b32 s11, exec_lo
	v_cmpx_nle_f32_e64 0x3f400000, |v38|
; %bb.287:
	v_cmp_le_f32_e64 s12, 0x3e800000, |v38|
	s_delay_alu instid0(VALU_DEP_1)
	v_cndmask_b32_e64 v40, 0, 1, s12
; %bb.288:
	s_or_b32 exec_lo, exec_lo, s11
.LBB13_289:
	s_delay_alu instid0(SALU_CYCLE_1)
	s_or_b32 exec_lo, exec_lo, s10
.LBB13_290:
	s_delay_alu instid0(SALU_CYCLE_1)
	s_or_b32 exec_lo, exec_lo, s9
.LBB13_291:
	s_delay_alu instid0(SALU_CYCLE_1)
	s_or_b32 exec_lo, exec_lo, s6
.LBB13_292:
	s_delay_alu instid0(SALU_CYCLE_1)
	s_or_b32 exec_lo, exec_lo, s3
.LBB13_293:
	s_delay_alu instid0(SALU_CYCLE_1) | instskip(SKIP_3) | instid1(VALU_DEP_2)
	s_or_b32 exec_lo, exec_lo, s2
	v_dual_mul_f32 v63, v4, v34 :: v_dual_mov_b32 v34, 7
	v_mov_b32_e32 v62, 7
	s_mov_b32 s2, exec_lo
	v_cmpx_nle_f32_e64 0x40a00000, |v63|
	s_cbranch_execz .LBB13_305
; %bb.294:
	v_mov_b32_e32 v62, 6
	s_mov_b32 s3, exec_lo
	v_cmpx_nle_f32_e64 0x40600000, |v63|
	s_cbranch_execz .LBB13_304
; %bb.295:
	;; [unrolled: 5-line block ×5, first 2 shown]
	v_mov_b32_e32 v62, 2
	s_mov_b32 s11, exec_lo
	v_cmpx_nle_f32_e64 0x3f400000, |v63|
; %bb.299:
	v_cmp_le_f32_e64 s12, 0x3e800000, |v63|
	s_delay_alu instid0(VALU_DEP_1)
	v_cndmask_b32_e64 v62, 0, 1, s12
; %bb.300:
	s_or_b32 exec_lo, exec_lo, s11
.LBB13_301:
	s_delay_alu instid0(SALU_CYCLE_1)
	s_or_b32 exec_lo, exec_lo, s10
.LBB13_302:
	s_delay_alu instid0(SALU_CYCLE_1)
	s_or_b32 exec_lo, exec_lo, s9
.LBB13_303:
	s_delay_alu instid0(SALU_CYCLE_1)
	s_or_b32 exec_lo, exec_lo, s6
.LBB13_304:
	s_delay_alu instid0(SALU_CYCLE_1)
	s_or_b32 exec_lo, exec_lo, s3
.LBB13_305:
	s_delay_alu instid0(SALU_CYCLE_1) | instskip(SKIP_2) | instid1(VALU_DEP_1)
	s_or_b32 exec_lo, exec_lo, s2
	v_mul_f32_e32 v32, v4, v32
	s_mov_b32 s2, exec_lo
	v_cmpx_nle_f32_e64 0x40a00000, |v32|
	s_cbranch_execz .LBB13_317
; %bb.306:
	v_mov_b32_e32 v34, 6
	s_mov_b32 s3, exec_lo
	v_cmpx_nle_f32_e64 0x40600000, |v32|
	s_cbranch_execz .LBB13_316
; %bb.307:
	v_mov_b32_e32 v34, 5
	;; [unrolled: 5-line block ×5, first 2 shown]
	s_mov_b32 s11, exec_lo
	v_cmpx_nle_f32_e64 0x3f400000, |v32|
; %bb.311:
	v_cmp_le_f32_e64 s12, 0x3e800000, |v32|
	s_delay_alu instid0(VALU_DEP_1)
	v_cndmask_b32_e64 v34, 0, 1, s12
; %bb.312:
	s_or_b32 exec_lo, exec_lo, s11
.LBB13_313:
	s_delay_alu instid0(SALU_CYCLE_1)
	s_or_b32 exec_lo, exec_lo, s10
.LBB13_314:
	s_delay_alu instid0(SALU_CYCLE_1)
	s_or_b32 exec_lo, exec_lo, s9
.LBB13_315:
	s_delay_alu instid0(SALU_CYCLE_1)
	s_or_b32 exec_lo, exec_lo, s6
.LBB13_316:
	s_delay_alu instid0(SALU_CYCLE_1)
	s_or_b32 exec_lo, exec_lo, s3
.LBB13_317:
	s_delay_alu instid0(SALU_CYCLE_1) | instskip(SKIP_3) | instid1(VALU_DEP_2)
	s_or_b32 exec_lo, exec_lo, s2
	v_dual_mul_f32 v65, v4, v28 :: v_dual_mov_b32 v28, 7
	v_mov_b32_e32 v64, 7
	s_mov_b32 s2, exec_lo
	v_cmpx_nle_f32_e64 0x40a00000, |v65|
	s_cbranch_execz .LBB13_329
; %bb.318:
	v_mov_b32_e32 v64, 6
	s_mov_b32 s3, exec_lo
	v_cmpx_nle_f32_e64 0x40600000, |v65|
	s_cbranch_execz .LBB13_328
; %bb.319:
	;; [unrolled: 5-line block ×5, first 2 shown]
	v_mov_b32_e32 v64, 2
	s_mov_b32 s11, exec_lo
	v_cmpx_nle_f32_e64 0x3f400000, |v65|
; %bb.323:
	v_cmp_le_f32_e64 s12, 0x3e800000, |v65|
	s_delay_alu instid0(VALU_DEP_1)
	v_cndmask_b32_e64 v64, 0, 1, s12
; %bb.324:
	s_or_b32 exec_lo, exec_lo, s11
.LBB13_325:
	s_delay_alu instid0(SALU_CYCLE_1)
	s_or_b32 exec_lo, exec_lo, s10
.LBB13_326:
	s_delay_alu instid0(SALU_CYCLE_1)
	s_or_b32 exec_lo, exec_lo, s9
.LBB13_327:
	s_delay_alu instid0(SALU_CYCLE_1)
	s_or_b32 exec_lo, exec_lo, s6
.LBB13_328:
	s_delay_alu instid0(SALU_CYCLE_1)
	s_or_b32 exec_lo, exec_lo, s3
.LBB13_329:
	s_delay_alu instid0(SALU_CYCLE_1) | instskip(SKIP_2) | instid1(VALU_DEP_1)
	s_or_b32 exec_lo, exec_lo, s2
	v_mul_f32_e32 v26, v4, v26
	s_mov_b32 s2, exec_lo
	v_cmpx_nle_f32_e64 0x40a00000, |v26|
	s_cbranch_execz .LBB13_341
; %bb.330:
	v_mov_b32_e32 v28, 6
	s_mov_b32 s3, exec_lo
	v_cmpx_nle_f32_e64 0x40600000, |v26|
	s_cbranch_execz .LBB13_340
; %bb.331:
	v_mov_b32_e32 v28, 5
	;; [unrolled: 5-line block ×5, first 2 shown]
	s_mov_b32 s11, exec_lo
	v_cmpx_nle_f32_e64 0x3f400000, |v26|
; %bb.335:
	v_cmp_le_f32_e64 s12, 0x3e800000, |v26|
	s_delay_alu instid0(VALU_DEP_1)
	v_cndmask_b32_e64 v28, 0, 1, s12
; %bb.336:
	s_or_b32 exec_lo, exec_lo, s11
.LBB13_337:
	s_delay_alu instid0(SALU_CYCLE_1)
	s_or_b32 exec_lo, exec_lo, s10
.LBB13_338:
	s_delay_alu instid0(SALU_CYCLE_1)
	s_or_b32 exec_lo, exec_lo, s9
.LBB13_339:
	s_delay_alu instid0(SALU_CYCLE_1)
	s_or_b32 exec_lo, exec_lo, s6
.LBB13_340:
	s_delay_alu instid0(SALU_CYCLE_1)
	s_or_b32 exec_lo, exec_lo, s3
.LBB13_341:
	s_delay_alu instid0(SALU_CYCLE_1) | instskip(SKIP_3) | instid1(VALU_DEP_2)
	s_or_b32 exec_lo, exec_lo, s2
	v_dual_mul_f32 v66, v4, v22 :: v_dual_mov_b32 v67, 7
	v_mov_b32_e32 v22, 7
	s_mov_b32 s2, exec_lo
	v_cmpx_nle_f32_e64 0x40a00000, |v66|
	s_cbranch_execz .LBB13_353
; %bb.342:
	v_mov_b32_e32 v67, 6
	s_mov_b32 s3, exec_lo
	v_cmpx_nle_f32_e64 0x40600000, |v66|
	s_cbranch_execz .LBB13_352
; %bb.343:
	;; [unrolled: 5-line block ×5, first 2 shown]
	v_mov_b32_e32 v67, 2
	s_mov_b32 s11, exec_lo
	v_cmpx_nle_f32_e64 0x3f400000, |v66|
; %bb.347:
	v_cmp_le_f32_e64 s12, 0x3e800000, |v66|
	s_delay_alu instid0(VALU_DEP_1)
	v_cndmask_b32_e64 v67, 0, 1, s12
; %bb.348:
	s_or_b32 exec_lo, exec_lo, s11
.LBB13_349:
	s_delay_alu instid0(SALU_CYCLE_1)
	s_or_b32 exec_lo, exec_lo, s10
.LBB13_350:
	s_delay_alu instid0(SALU_CYCLE_1)
	s_or_b32 exec_lo, exec_lo, s9
.LBB13_351:
	s_delay_alu instid0(SALU_CYCLE_1)
	s_or_b32 exec_lo, exec_lo, s6
.LBB13_352:
	s_delay_alu instid0(SALU_CYCLE_1)
	s_or_b32 exec_lo, exec_lo, s3
.LBB13_353:
	s_delay_alu instid0(SALU_CYCLE_1) | instskip(SKIP_2) | instid1(VALU_DEP_1)
	s_or_b32 exec_lo, exec_lo, s2
	v_mul_f32_e32 v20, v4, v20
	s_mov_b32 s2, exec_lo
	v_cmpx_nle_f32_e64 0x40a00000, |v20|
	s_cbranch_execz .LBB13_365
; %bb.354:
	v_mov_b32_e32 v22, 6
	s_mov_b32 s3, exec_lo
	v_cmpx_nle_f32_e64 0x40600000, |v20|
	s_cbranch_execz .LBB13_364
; %bb.355:
	v_mov_b32_e32 v22, 5
	;; [unrolled: 5-line block ×5, first 2 shown]
	s_mov_b32 s11, exec_lo
	v_cmpx_nle_f32_e64 0x3f400000, |v20|
; %bb.359:
	v_cmp_le_f32_e64 s12, 0x3e800000, |v20|
	s_delay_alu instid0(VALU_DEP_1)
	v_cndmask_b32_e64 v22, 0, 1, s12
; %bb.360:
	s_or_b32 exec_lo, exec_lo, s11
.LBB13_361:
	s_delay_alu instid0(SALU_CYCLE_1)
	s_or_b32 exec_lo, exec_lo, s10
.LBB13_362:
	s_delay_alu instid0(SALU_CYCLE_1)
	s_or_b32 exec_lo, exec_lo, s9
.LBB13_363:
	s_delay_alu instid0(SALU_CYCLE_1)
	s_or_b32 exec_lo, exec_lo, s6
.LBB13_364:
	s_delay_alu instid0(SALU_CYCLE_1)
	s_or_b32 exec_lo, exec_lo, s3
.LBB13_365:
	s_delay_alu instid0(SALU_CYCLE_1) | instskip(SKIP_3) | instid1(VALU_DEP_2)
	s_or_b32 exec_lo, exec_lo, s2
	v_dual_mul_f32 v69, v4, v18 :: v_dual_mov_b32 v18, 7
	v_mov_b32_e32 v70, 7
	s_mov_b32 s2, exec_lo
	v_cmpx_nle_f32_e64 0x40a00000, |v69|
	s_cbranch_execz .LBB13_377
; %bb.366:
	v_mov_b32_e32 v70, 6
	s_mov_b32 s3, exec_lo
	v_cmpx_nle_f32_e64 0x40600000, |v69|
	s_cbranch_execz .LBB13_376
; %bb.367:
	;; [unrolled: 5-line block ×5, first 2 shown]
	v_mov_b32_e32 v70, 2
	s_mov_b32 s11, exec_lo
	v_cmpx_nle_f32_e64 0x3f400000, |v69|
; %bb.371:
	v_cmp_le_f32_e64 s12, 0x3e800000, |v69|
	s_delay_alu instid0(VALU_DEP_1)
	v_cndmask_b32_e64 v70, 0, 1, s12
; %bb.372:
	s_or_b32 exec_lo, exec_lo, s11
.LBB13_373:
	s_delay_alu instid0(SALU_CYCLE_1)
	s_or_b32 exec_lo, exec_lo, s10
.LBB13_374:
	s_delay_alu instid0(SALU_CYCLE_1)
	s_or_b32 exec_lo, exec_lo, s9
.LBB13_375:
	s_delay_alu instid0(SALU_CYCLE_1)
	s_or_b32 exec_lo, exec_lo, s6
.LBB13_376:
	s_delay_alu instid0(SALU_CYCLE_1)
	s_or_b32 exec_lo, exec_lo, s3
.LBB13_377:
	s_delay_alu instid0(SALU_CYCLE_1) | instskip(SKIP_2) | instid1(VALU_DEP_1)
	s_or_b32 exec_lo, exec_lo, s2
	v_mul_f32_e32 v68, v4, v3
	s_mov_b32 s2, exec_lo
	v_cmpx_nle_f32_e64 0x40a00000, |v68|
	s_cbranch_execz .LBB13_389
; %bb.378:
	v_mov_b32_e32 v18, 6
	s_mov_b32 s3, exec_lo
	v_cmpx_nle_f32_e64 0x40600000, |v68|
	s_cbranch_execz .LBB13_388
; %bb.379:
	v_mov_b32_e32 v18, 5
	;; [unrolled: 5-line block ×5, first 2 shown]
	s_mov_b32 s11, exec_lo
	v_cmpx_nle_f32_e64 0x3f400000, |v68|
; %bb.383:
	v_cmp_le_f32_e64 s12, 0x3e800000, |v68|
	s_delay_alu instid0(VALU_DEP_1)
	v_cndmask_b32_e64 v18, 0, 1, s12
; %bb.384:
	s_or_b32 exec_lo, exec_lo, s11
.LBB13_385:
	s_delay_alu instid0(SALU_CYCLE_1)
	s_or_b32 exec_lo, exec_lo, s10
.LBB13_386:
	s_delay_alu instid0(SALU_CYCLE_1)
	s_or_b32 exec_lo, exec_lo, s9
.LBB13_387:
	s_delay_alu instid0(SALU_CYCLE_1)
	s_or_b32 exec_lo, exec_lo, s6
.LBB13_388:
	s_delay_alu instid0(SALU_CYCLE_1)
	s_or_b32 exec_lo, exec_lo, s3
.LBB13_389:
	s_delay_alu instid0(SALU_CYCLE_1)
	s_or_b32 exec_lo, exec_lo, s2
	s_load_b64 s[2:3], s[0:1], 0x8
	v_lshrrev_b32_e32 v3, 2, v5
	s_bitcmp1_b32 s7, 0
	v_and_b32_e32 v71, 3, v5
	s_cselect_b32 s6, -1, 0
	s_lshr_b32 s9, s4, 31
	v_lshlrev_b32_e32 v72, 10, v3
	s_xor_b32 s6, s6, -1
	s_add_i32 s4, s4, s9
	s_mov_b32 s7, -1
	s_and_b32 vcc_lo, exec_lo, s6
	s_ashr_i32 s4, s4, 1
	s_cbranch_vccz .LBB13_391
; %bb.390:
	v_dual_mov_b32 v4, 0 :: v_dual_lshlrev_b32 v3, 4, v0
	v_and_b32_e32 v75, -16, v0
	s_ashr_i32 s7, s4, 31
	v_mul_lo_u32 v1, v1, s4
	s_delay_alu instid0(VALU_DEP_3) | instskip(NEXT) | instid1(VALU_DEP_3)
	v_and_b32_e32 v3, 0xf0, v3
	v_mul_lo_u32 v76, v75, s7
	s_delay_alu instid0(VALU_DEP_2) | instskip(SKIP_1) | instid1(VALU_DEP_2)
	v_mad_u64_u32 v[73:74], null, v75, s4, v[3:4]
	v_lshlrev_b32_e32 v3, 8, v71
	v_add3_u32 v1, v1, v74, v76
	s_delay_alu instid0(VALU_DEP_3) | instskip(NEXT) | instid1(VALU_DEP_2)
	v_add_co_u32 v4, vcc_lo, v73, v72
	v_add_co_ci_u32_e32 v1, vcc_lo, 0, v1, vcc_lo
	s_delay_alu instid0(VALU_DEP_2) | instskip(NEXT) | instid1(VALU_DEP_2)
	v_add_co_u32 v3, vcc_lo, v4, v3
	v_add_co_ci_u32_e32 v4, vcc_lo, 0, v1, vcc_lo
	s_cbranch_execz .LBB13_392
	s_branch .LBB13_393
.LBB13_391:
                                        ; implicit-def: $vgpr3_vgpr4
	s_and_not1_b32 vcc_lo, exec_lo, s7
	s_cbranch_vccnz .LBB13_393
.LBB13_392:
	s_ashr_i32 s7, s8, 1
	v_sub_nc_u32_e32 v4, 0, v0
	s_abs_i32 s9, s7
	s_ashr_i32 s4, s4, 6
	v_cvt_f32_u32_e32 v1, s9
	s_sub_i32 s10, 0, s9
	v_max_i32_e32 v4, v0, v4
	s_delay_alu instid0(VALU_DEP_2) | instskip(SKIP_2) | instid1(VALU_DEP_1)
	v_rcp_iflag_f32_e32 v1, v1
	s_waitcnt_depctr 0xfff
	v_mul_f32_e32 v1, 0x4f7ffffe, v1
	v_cvt_u32_f32_e32 v1, v1
	s_delay_alu instid0(VALU_DEP_1) | instskip(NEXT) | instid1(VALU_DEP_1)
	v_mul_lo_u32 v3, s10, v1
	v_mul_hi_u32 v3, v1, v3
	s_delay_alu instid0(VALU_DEP_1) | instskip(NEXT) | instid1(VALU_DEP_1)
	v_add_nc_u32_e32 v1, v1, v3
	v_mul_hi_u32 v1, v4, v1
	s_delay_alu instid0(VALU_DEP_1) | instskip(NEXT) | instid1(VALU_DEP_1)
	v_mul_lo_u32 v3, v1, s9
	v_sub_nc_u32_e32 v3, v4, v3
	v_add_nc_u32_e32 v4, 1, v1
	s_delay_alu instid0(VALU_DEP_2) | instskip(SKIP_1) | instid1(VALU_DEP_3)
	v_subrev_nc_u32_e32 v73, s9, v3
	v_cmp_le_u32_e32 vcc_lo, s9, v3
	v_cndmask_b32_e32 v1, v1, v4, vcc_lo
	s_delay_alu instid0(VALU_DEP_3) | instskip(SKIP_1) | instid1(VALU_DEP_3)
	v_cndmask_b32_e32 v3, v3, v73, vcc_lo
	v_xor_b32_e32 v4, s7, v0
	v_add_nc_u32_e32 v73, 1, v1
	s_delay_alu instid0(VALU_DEP_3) | instskip(NEXT) | instid1(VALU_DEP_3)
	v_cmp_le_u32_e32 vcc_lo, s9, v3
	v_ashrrev_i32_e32 v4, 31, v4
	v_lshl_or_b32 v3, v71, 8, v72
	s_delay_alu instid0(VALU_DEP_4) | instskip(NEXT) | instid1(VALU_DEP_1)
	v_cndmask_b32_e32 v1, v1, v73, vcc_lo
	v_xor_b32_e32 v1, v1, v4
	s_delay_alu instid0(VALU_DEP_1) | instskip(SKIP_1) | instid1(VALU_DEP_2)
	v_sub_nc_u32_e32 v1, v1, v4
	v_mov_b32_e32 v4, 0
	v_mul_lo_u32 v73, v1, s7
	s_lshl_b32 s7, s4, 10
	s_lshl_b32 s4, s4, 11
	s_delay_alu instid0(VALU_DEP_2) | instskip(NEXT) | instid1(VALU_DEP_2)
	v_mad_i64_i32 v[71:72], null, v1, s7, v[3:4]
	v_sub_nc_u32_e32 v73, v0, v73
	s_delay_alu instid0(VALU_DEP_1) | instskip(NEXT) | instid1(VALU_DEP_1)
	v_ashrrev_i32_e32 v1, 4, v73
	v_mad_i64_i32 v[3:4], null, v1, s4, v[71:72]
	v_lshlrev_b32_e32 v1, 4, v73
	s_delay_alu instid0(VALU_DEP_1)
	v_and_or_b32 v3, 0xf0, v1, v3
.LBB13_393:
	v_cmp_gt_f32_e32 vcc_lo, 0, v69
	v_lshlrev_b16 v9, 4, v9
	v_lshlrev_b16 v18, 4, v18
	v_lshlrev_b16 v22, 4, v22
	s_load_b64 s[0:1], s[0:1], 0x10
	v_cndmask_b32_e64 v1, 0, 1, vcc_lo
	v_cmp_gt_f32_e32 vcc_lo, 0, v66
	s_delay_alu instid0(VALU_DEP_2) | instskip(SKIP_2) | instid1(VALU_DEP_3)
	v_lshlrev_b16 v1, 3, v1
	v_cndmask_b32_e64 v66, 0, 1, vcc_lo
	v_cmp_gt_f32_e32 vcc_lo, 0, v65
	v_or_b32_e32 v1, v1, v70
	s_delay_alu instid0(VALU_DEP_3) | instskip(SKIP_2) | instid1(VALU_DEP_3)
	v_lshlrev_b16 v66, 3, v66
	v_cndmask_b32_e64 v65, 0, 1, vcc_lo
	v_cmp_gt_f32_e32 vcc_lo, 0, v63
	v_or_b32_e32 v66, v66, v67
	s_delay_alu instid0(VALU_DEP_3) | instskip(SKIP_2) | instid1(VALU_DEP_3)
	;; [unrolled: 5-line block ×12, first 2 shown]
	v_lshlrev_b16 v24, 3, v24
	v_cndmask_b32_e64 v17, 0, 1, vcc_lo
	v_cmp_gt_f32_e32 vcc_lo, 0, v7
	v_or_b32_e32 v23, v24, v23
	s_delay_alu instid0(VALU_DEP_3) | instskip(SKIP_2) | instid1(VALU_DEP_2)
	v_lshlrev_b16 v17, 3, v17
	v_cndmask_b32_e64 v7, 0, 1, vcc_lo
	v_cmp_gt_f32_e32 vcc_lo, 0, v10
	v_lshlrev_b16 v7, 3, v7
	v_cndmask_b32_e64 v10, 0, 1, vcc_lo
	v_cmp_gt_f32_e32 vcc_lo, 0, v12
	s_delay_alu instid0(VALU_DEP_3) | instskip(NEXT) | instid1(VALU_DEP_3)
	v_or_b32_e32 v7, v7, v8
	v_lshlrev_b16 v10, 7, v10
	v_cndmask_b32_e64 v12, 0, 1, vcc_lo
	v_cmp_gt_f32_e32 vcc_lo, 0, v14
	v_lshlrev_b16 v14, 4, v21
	v_lshlrev_b16 v21, 4, v52
	v_or_b32_e32 v8, v10, v9
	v_lshlrev_b16 v12, 3, v12
	v_cndmask_b32_e64 v9, 0, 1, vcc_lo
	v_cmp_gt_f32_e32 vcc_lo, 0, v19
	v_or_b32_e32 v10, v17, v16
	v_or_b32_e32 v7, v8, v7
	v_lshlrev_b16 v8, 4, v11
	v_or_b32_e32 v12, v12, v13
	v_cndmask_b32_e64 v11, 0, 1, vcc_lo
	v_cmp_gt_f32_e32 vcc_lo, 0, v25
	v_lshlrev_b16 v9, 7, v9
	v_lshlrev_b16 v16, 4, v39
	;; [unrolled: 1-line block ×4, first 2 shown]
	v_cndmask_b32_e64 v13, 0, 1, vcc_lo
	v_cmp_gt_f32_e32 vcc_lo, 0, v31
	v_or_b32_e32 v8, v9, v8
	v_lshlrev_b16 v9, 4, v15
	s_delay_alu instid0(VALU_DEP_4) | instskip(SKIP_2) | instid1(VALU_DEP_4)
	v_lshlrev_b16 v13, 7, v13
	v_cndmask_b32_e64 v15, 0, 1, vcc_lo
	v_cmp_gt_f32_e32 vcc_lo, 0, v36
	v_or_b32_e32 v9, v11, v9
	v_or_b32_e32 v8, v8, v12
	;; [unrolled: 1-line block ×3, first 2 shown]
	v_lshlrev_b16 v12, 4, v27
	v_cndmask_b32_e64 v14, 0, 1, vcc_lo
	v_cmp_gt_f32_e32 vcc_lo, 0, v41
	v_lshlrev_b16 v13, 7, v15
	v_or_b32_e32 v9, v9, v10
	v_or_b32_e32 v10, v11, v23
	v_lshlrev_b16 v14, 7, v14
	v_cndmask_b32_e64 v15, 0, 1, vcc_lo
	v_or_b32_e32 v12, v13, v12
	v_lshlrev_b16 v13, 4, v33
	v_cmp_gt_f32_e32 vcc_lo, 0, v47
	v_lshlrev_b16 v23, 4, v34
	v_lshlrev_b16 v15, 7, v15
	v_or_b32_e32 v11, v12, v29
	v_or_b32_e32 v12, v14, v13
	v_lshlrev_b16 v14, 4, v45
	v_lshlrev_b16 v8, 8, v8
	v_or_b32_e32 v13, v15, v16
	v_cndmask_b32_e64 v15, 0, 1, vcc_lo
	v_cmp_gt_f32_e32 vcc_lo, 0, v53
	v_or_b32_e32 v12, v12, v35
	v_lshlrev_b16 v10, 8, v10
	v_or_b32_e32 v13, v13, v42
	v_lshlrev_b16 v15, 7, v15
	v_cndmask_b32_e64 v16, 0, 1, vcc_lo
	v_cmp_gt_f32_e32 vcc_lo, 0, v50
	v_lshlrev_b16 v12, 8, v12
	v_or_b32_e32 v7, v7, v8
	v_or_b32_e32 v14, v15, v14
	v_lshlrev_b16 v16, 7, v16
	v_cndmask_b32_e64 v17, 0, 1, vcc_lo
	v_cmp_gt_f32_e32 vcc_lo, 0, v44
	v_or_b32_e32 v11, v11, v12
	v_or_b32_e32 v14, v14, v48
	;; [unrolled: 1-line block ×3, first 2 shown]
	v_lshlrev_b16 v17, 7, v17
	v_lshlrev_b16 v19, 4, v46
	v_or_b32_e32 v8, v9, v10
	v_lshlrev_b16 v14, 8, v14
	v_or_b32_e32 v15, v15, v54
	v_or_b32_e32 v16, v17, v21
	v_cndmask_b32_e64 v17, 0, 1, vcc_lo
	v_cmp_gt_f32_e32 vcc_lo, 0, v26
	v_lshlrev_b16 v26, 4, v28
	v_lshlrev_b16 v21, 4, v40
	v_or_b32_e32 v16, v16, v56
	v_lshlrev_b16 v17, 7, v17
	v_cndmask_b32_e64 v24, 0, 1, vcc_lo
	v_cmp_gt_f32_e32 vcc_lo, 0, v32
	v_or_b32_e32 v12, v13, v14
	v_lshlrev_b16 v16, 8, v16
	v_or_b32_e32 v17, v17, v19
	v_lshlrev_b16 v24, 7, v24
	v_cndmask_b32_e64 v25, 0, 1, vcc_lo
	v_cmp_gt_f32_e32 vcc_lo, 0, v68
	v_or_b32_e32 v15, v15, v16
	v_or_b32_e32 v17, v17, v58
	;; [unrolled: 1-line block ×3, first 2 shown]
	v_lshlrev_b16 v25, 7, v25
	v_cndmask_b32_e64 v27, 0, 1, vcc_lo
	v_cmp_gt_f32_e32 vcc_lo, 0, v20
	v_and_b32_e32 v15, 0xffff, v15
	v_and_b32_e32 v11, 0xffff, v11
	v_or_b32_e32 v23, v25, v23
	v_lshlrev_b16 v27, 7, v27
	v_cndmask_b32_e64 v20, 0, 1, vcc_lo
	v_cmp_gt_f32_e32 vcc_lo, 0, v38
	v_lshlrev_b32_e32 v12, 16, v12
	v_or_b32_e32 v23, v23, v62
	v_or_b32_e32 v18, v27, v18
	v_lshlrev_b16 v20, 7, v20
	v_cndmask_b32_e64 v26, 0, 1, vcc_lo
	v_and_b32_e32 v7, 0xffff, v7
	v_lshlrev_b32_e32 v13, 16, v8
	v_or_b32_e32 v1, v18, v1
	v_or_b32_e32 v20, v20, v22
	v_lshlrev_b16 v18, 7, v26
	v_or_b32_e32 v22, v24, v64
	s_waitcnt lgkmcnt(0)
	v_add_co_u32 v3, vcc_lo, s2, v3
	v_or_b32_e32 v20, v20, v66
	v_or_b32_e32 v18, v18, v21
	v_lshlrev_b16 v22, 8, v22
	v_lshlrev_b16 v1, 8, v1
	v_or_b32_e32 v8, v11, v12
	v_or_b32_e32 v7, v7, v13
	;; [unrolled: 1-line block ×5, first 2 shown]
	v_add_co_ci_u32_e32 v4, vcc_lo, s3, v4, vcc_lo
	s_delay_alu instid0(VALU_DEP_4) | instskip(NEXT) | instid1(VALU_DEP_4)
	v_lshlrev_b16 v16, 8, v16
	v_and_b32_e32 v18, 0xffff, v19
	s_delay_alu instid0(VALU_DEP_4) | instskip(SKIP_3) | instid1(VALU_DEP_2)
	v_lshlrev_b32_e32 v1, 16, v1
	s_mov_b32 s2, 0
	s_and_b32 vcc_lo, exec_lo, s6
	v_or_b32_e32 v16, v17, v16
	v_or_b32_e32 v10, v18, v1
	s_delay_alu instid0(VALU_DEP_2) | instskip(NEXT) | instid1(VALU_DEP_1)
	v_lshlrev_b32_e32 v9, 16, v16
	v_or_b32_e32 v9, v15, v9
	global_store_b128 v[3:4], v[7:10], off
	s_cbranch_vccz .LBB13_395
; %bb.394:
	v_ashrrev_i32_e32 v1, 31, v0
	s_delay_alu instid0(VALU_DEP_1) | instskip(NEXT) | instid1(VALU_DEP_1)
	v_lshrrev_b32_e32 v1, 27, v1
	v_add_nc_u32_e32 v1, v0, v1
	s_delay_alu instid0(VALU_DEP_1) | instskip(NEXT) | instid1(VALU_DEP_1)
	v_and_b32_e32 v3, 0xffe0, v1
	v_sub_nc_u32_e32 v3, v0, v3
	s_delay_alu instid0(VALU_DEP_1) | instskip(NEXT) | instid1(VALU_DEP_1)
	v_bfe_i32 v4, v3, 0, 8
	v_lshrrev_b16 v4, 11, v4
	s_delay_alu instid0(VALU_DEP_1) | instskip(NEXT) | instid1(VALU_DEP_1)
	v_and_b32_e32 v4, 15, v4
	v_add_nc_u16 v3, v3, v4
	s_delay_alu instid0(VALU_DEP_1) | instskip(NEXT) | instid1(VALU_DEP_1)
	v_bfe_i32 v3, v3, 0, 8
	v_ashrrev_i16 v4, 4, v3
	v_ashrrev_i32_e32 v3, 5, v1
	s_delay_alu instid0(VALU_DEP_2)
	v_bfe_i32 v1, v4, 0, 16
	s_and_not1_b32 vcc_lo, exec_lo, s2
	s_cbranch_vccz .LBB13_396
	s_branch .LBB13_397
.LBB13_395:
                                        ; implicit-def: $vgpr3
                                        ; implicit-def: $vgpr1
.LBB13_396:
	s_lshr_b32 s2, s8, 31
	v_sub_nc_u32_e32 v4, 0, v0
	s_add_i32 s2, s8, s2
	s_delay_alu instid0(SALU_CYCLE_1) | instskip(NEXT) | instid1(VALU_DEP_1)
	s_ashr_i32 s2, s2, 1
	v_max_i32_e32 v4, v0, v4
	s_abs_i32 s3, s2
	s_delay_alu instid0(SALU_CYCLE_1) | instskip(SKIP_1) | instid1(VALU_DEP_1)
	v_cvt_f32_u32_e32 v1, s3
	s_sub_i32 s4, 0, s3
	v_rcp_iflag_f32_e32 v1, v1
	s_waitcnt_depctr 0xfff
	v_mul_f32_e32 v1, 0x4f7ffffe, v1
	s_delay_alu instid0(VALU_DEP_1) | instskip(NEXT) | instid1(VALU_DEP_1)
	v_cvt_u32_f32_e32 v1, v1
	v_mul_lo_u32 v3, s4, v1
	s_delay_alu instid0(VALU_DEP_1) | instskip(NEXT) | instid1(VALU_DEP_1)
	v_mul_hi_u32 v3, v1, v3
	v_add_nc_u32_e32 v1, v1, v3
	s_delay_alu instid0(VALU_DEP_1) | instskip(NEXT) | instid1(VALU_DEP_1)
	v_mul_hi_u32 v1, v4, v1
	v_mul_lo_u32 v3, v1, s3
	s_delay_alu instid0(VALU_DEP_1) | instskip(NEXT) | instid1(VALU_DEP_1)
	v_sub_nc_u32_e32 v3, v4, v3
	v_subrev_nc_u32_e32 v7, s3, v3
	v_cmp_le_u32_e32 vcc_lo, s3, v3
	s_delay_alu instid0(VALU_DEP_2) | instskip(NEXT) | instid1(VALU_DEP_1)
	v_dual_cndmask_b32 v3, v3, v7 :: v_dual_add_nc_u32 v4, 1, v1
	v_cndmask_b32_e32 v1, v1, v4, vcc_lo
	v_xor_b32_e32 v4, s2, v0
	s_delay_alu instid0(VALU_DEP_3) | instskip(NEXT) | instid1(VALU_DEP_3)
	v_cmp_le_u32_e32 vcc_lo, s3, v3
	v_add_nc_u32_e32 v7, 1, v1
	s_delay_alu instid0(VALU_DEP_3) | instskip(NEXT) | instid1(VALU_DEP_2)
	v_ashrrev_i32_e32 v4, 31, v4
	v_cndmask_b32_e32 v1, v1, v7, vcc_lo
	s_delay_alu instid0(VALU_DEP_1) | instskip(NEXT) | instid1(VALU_DEP_1)
	v_xor_b32_e32 v1, v1, v4
	v_sub_nc_u32_e32 v1, v1, v4
	s_delay_alu instid0(VALU_DEP_1) | instskip(NEXT) | instid1(VALU_DEP_1)
	v_mul_lo_u32 v3, v1, s2
	v_sub_nc_u32_e32 v0, v0, v3
	s_delay_alu instid0(VALU_DEP_1) | instskip(NEXT) | instid1(VALU_DEP_1)
	v_ashrrev_i32_e32 v3, 31, v0
	v_lshrrev_b32_e32 v3, 28, v3
	s_delay_alu instid0(VALU_DEP_1) | instskip(NEXT) | instid1(VALU_DEP_1)
	v_add_nc_u32_e32 v3, v0, v3
	v_ashrrev_i32_e32 v3, 4, v3
.LBB13_397:
	v_ashrrev_i32_e32 v4, 31, v0
	v_lshlrev_b32_e32 v7, 6, v5
	v_lshrrev_b32_e32 v5, 1, v5
	v_and_b32_e32 v2, 0x7fffff00, v2
	s_lshl_b32 s2, s5, 5
	v_lshrrev_b32_e32 v4, 28, v4
	v_and_b32_e32 v7, 0xc0, v7
	v_and_b32_e32 v5, 2, v5
	s_and_b32 s2, s2, 0x7fffff00
	s_delay_alu instid0(SALU_CYCLE_1) | instskip(SKIP_1) | instid1(VALU_DEP_3)
	v_mul_lo_u32 v3, v3, s2
	v_add_nc_u32_e32 v4, v0, v4
	v_or3_b32 v2, v7, v2, v5
	s_delay_alu instid0(VALU_DEP_2) | instskip(NEXT) | instid1(VALU_DEP_2)
	v_and_b32_e32 v4, 0x3ffffff0, v4
	v_add_nc_u32_e32 v1, v2, v1
	v_lshrrev_b32_e32 v2, 23, v6
	s_delay_alu instid0(VALU_DEP_3) | instskip(NEXT) | instid1(VALU_DEP_1)
	v_sub_nc_u32_e32 v0, v0, v4
	v_lshlrev_b32_e32 v0, 2, v0
	s_delay_alu instid0(VALU_DEP_1) | instskip(NEXT) | instid1(VALU_DEP_1)
	v_add3_u32 v0, v1, v0, v3
	v_ashrrev_i32_e32 v1, 31, v0
	v_add_co_u32 v0, vcc_lo, s0, v0
	s_delay_alu instid0(VALU_DEP_2)
	v_add_co_ci_u32_e32 v1, vcc_lo, s1, v1, vcc_lo
	global_store_b8 v[0:1], v2, off
.LBB13_398:
	s_nop 0
	s_sendmsg sendmsg(MSG_DEALLOC_VGPRS)
	s_endpgm
	.section	.rodata,"a",@progbits
	.p2align	6, 0x0
	.amdhsa_kernel _ZN5aiter18quant_mxfp4_kernelI6__halfLNS_16MxScaleRoundModeE2ELb0ELb1ELb1EEEvPKT_PhPfliiib
		.amdhsa_group_segment_fixed_size 0
		.amdhsa_private_segment_fixed_size 0
		.amdhsa_kernarg_size 304
		.amdhsa_user_sgpr_count 15
		.amdhsa_user_sgpr_dispatch_ptr 0
		.amdhsa_user_sgpr_queue_ptr 0
		.amdhsa_user_sgpr_kernarg_segment_ptr 1
		.amdhsa_user_sgpr_dispatch_id 0
		.amdhsa_user_sgpr_private_segment_size 0
		.amdhsa_wavefront_size32 1
		.amdhsa_uses_dynamic_stack 0
		.amdhsa_enable_private_segment 0
		.amdhsa_system_sgpr_workgroup_id_x 1
		.amdhsa_system_sgpr_workgroup_id_y 0
		.amdhsa_system_sgpr_workgroup_id_z 0
		.amdhsa_system_sgpr_workgroup_info 0
		.amdhsa_system_vgpr_workitem_id 0
		.amdhsa_next_free_vgpr 77
		.amdhsa_next_free_sgpr 16
		.amdhsa_reserve_vcc 1
		.amdhsa_float_round_mode_32 0
		.amdhsa_float_round_mode_16_64 0
		.amdhsa_float_denorm_mode_32 3
		.amdhsa_float_denorm_mode_16_64 3
		.amdhsa_dx10_clamp 1
		.amdhsa_ieee_mode 1
		.amdhsa_fp16_overflow 0
		.amdhsa_workgroup_processor_mode 1
		.amdhsa_memory_ordered 1
		.amdhsa_forward_progress 0
		.amdhsa_shared_vgpr_count 0
		.amdhsa_exception_fp_ieee_invalid_op 0
		.amdhsa_exception_fp_denorm_src 0
		.amdhsa_exception_fp_ieee_div_zero 0
		.amdhsa_exception_fp_ieee_overflow 0
		.amdhsa_exception_fp_ieee_underflow 0
		.amdhsa_exception_fp_ieee_inexact 0
		.amdhsa_exception_int_div_zero 0
	.end_amdhsa_kernel
	.section	.text._ZN5aiter18quant_mxfp4_kernelI6__halfLNS_16MxScaleRoundModeE2ELb0ELb1ELb1EEEvPKT_PhPfliiib,"axG",@progbits,_ZN5aiter18quant_mxfp4_kernelI6__halfLNS_16MxScaleRoundModeE2ELb0ELb1ELb1EEEvPKT_PhPfliiib,comdat
.Lfunc_end13:
	.size	_ZN5aiter18quant_mxfp4_kernelI6__halfLNS_16MxScaleRoundModeE2ELb0ELb1ELb1EEEvPKT_PhPfliiib, .Lfunc_end13-_ZN5aiter18quant_mxfp4_kernelI6__halfLNS_16MxScaleRoundModeE2ELb0ELb1ELb1EEEvPKT_PhPfliiib
                                        ; -- End function
	.section	.AMDGPU.csdata,"",@progbits
; Kernel info:
; codeLenInByte = 10828
; NumSgprs: 18
; NumVgprs: 77
; ScratchSize: 0
; MemoryBound: 0
; FloatMode: 240
; IeeeMode: 1
; LDSByteSize: 0 bytes/workgroup (compile time only)
; SGPRBlocks: 2
; VGPRBlocks: 9
; NumSGPRsForWavesPerEU: 18
; NumVGPRsForWavesPerEU: 77
; Occupancy: 16
; WaveLimiterHint : 0
; COMPUTE_PGM_RSRC2:SCRATCH_EN: 0
; COMPUTE_PGM_RSRC2:USER_SGPR: 15
; COMPUTE_PGM_RSRC2:TRAP_HANDLER: 0
; COMPUTE_PGM_RSRC2:TGID_X_EN: 1
; COMPUTE_PGM_RSRC2:TGID_Y_EN: 0
; COMPUTE_PGM_RSRC2:TGID_Z_EN: 0
; COMPUTE_PGM_RSRC2:TIDIG_COMP_CNT: 0
	.section	.text._ZN5aiter18quant_mxfp4_kernelI6__halfLNS_16MxScaleRoundModeE2ELb0ELb1ELb0EEEvPKT_PhPfliiib,"axG",@progbits,_ZN5aiter18quant_mxfp4_kernelI6__halfLNS_16MxScaleRoundModeE2ELb0ELb1ELb0EEEvPKT_PhPfliiib,comdat
	.protected	_ZN5aiter18quant_mxfp4_kernelI6__halfLNS_16MxScaleRoundModeE2ELb0ELb1ELb0EEEvPKT_PhPfliiib ; -- Begin function _ZN5aiter18quant_mxfp4_kernelI6__halfLNS_16MxScaleRoundModeE2ELb0ELb1ELb0EEEvPKT_PhPfliiib
	.globl	_ZN5aiter18quant_mxfp4_kernelI6__halfLNS_16MxScaleRoundModeE2ELb0ELb1ELb0EEEvPKT_PhPfliiib
	.p2align	8
	.type	_ZN5aiter18quant_mxfp4_kernelI6__halfLNS_16MxScaleRoundModeE2ELb0ELb1ELb0EEEvPKT_PhPfliiib,@function
_ZN5aiter18quant_mxfp4_kernelI6__halfLNS_16MxScaleRoundModeE2ELb0ELb1ELb0EEEvPKT_PhPfliiib: ; @_ZN5aiter18quant_mxfp4_kernelI6__halfLNS_16MxScaleRoundModeE2ELb0ELb1ELb0EEEvPKT_PhPfliiib
; %bb.0:
	s_clause 0x1
	s_load_b32 s2, s[0:1], 0x3c
	s_load_b128 s[4:7], s[0:1], 0x20
	v_mov_b32_e32 v1, 0
	s_delay_alu instid0(VALU_DEP_1)
	v_mov_b32_e32 v4, v1
	s_waitcnt lgkmcnt(0)
	s_and_b32 s2, s2, 0xffff
	s_mov_b32 s3, s6
	v_mad_u64_u32 v[2:3], null, s2, s15, v[0:1]
	s_ashr_i32 s2, s6, 31
	s_mov_b32 s6, exec_lo
                                        ; implicit-def: $vgpr0_vgpr1
	s_delay_alu instid0(VALU_DEP_1) | instskip(NEXT) | instid1(VALU_DEP_1)
	v_or_b32_e32 v5, s2, v3
	v_cmpx_ne_u64_e32 0, v[4:5]
	s_xor_b32 s6, exec_lo, s6
	s_cbranch_execz .LBB14_2
; %bb.1:
	s_add_u32 s10, s3, s2
	s_mov_b32 s8, s2
	s_mov_b32 s9, s2
	s_addc_u32 s11, s2, s2
	s_delay_alu instid0(SALU_CYCLE_1) | instskip(NEXT) | instid1(SALU_CYCLE_1)
	s_xor_b64 s[10:11], s[10:11], s[8:9]
	v_cvt_f32_u32_e32 v0, s10
	v_cvt_f32_u32_e32 v1, s11
	s_sub_u32 s2, 0, s10
	s_subb_u32 s12, 0, s11
	s_delay_alu instid0(VALU_DEP_1) | instskip(NEXT) | instid1(VALU_DEP_1)
	v_fmamk_f32 v0, v1, 0x4f800000, v0
	v_rcp_f32_e32 v0, v0
	s_waitcnt_depctr 0xfff
	v_mul_f32_e32 v0, 0x5f7ffffc, v0
	s_delay_alu instid0(VALU_DEP_1) | instskip(NEXT) | instid1(VALU_DEP_1)
	v_mul_f32_e32 v1, 0x2f800000, v0
	v_trunc_f32_e32 v1, v1
	s_delay_alu instid0(VALU_DEP_1) | instskip(SKIP_1) | instid1(VALU_DEP_2)
	v_fmamk_f32 v0, v1, 0xcf800000, v0
	v_cvt_u32_f32_e32 v1, v1
	v_cvt_u32_f32_e32 v0, v0
	s_delay_alu instid0(VALU_DEP_2) | instskip(NEXT) | instid1(VALU_DEP_2)
	v_mul_lo_u32 v4, s2, v1
	v_mul_hi_u32 v5, s2, v0
	v_mul_lo_u32 v6, s12, v0
	s_delay_alu instid0(VALU_DEP_2) | instskip(SKIP_1) | instid1(VALU_DEP_2)
	v_add_nc_u32_e32 v4, v5, v4
	v_mul_lo_u32 v5, s2, v0
	v_add_nc_u32_e32 v4, v4, v6
	s_delay_alu instid0(VALU_DEP_2) | instskip(NEXT) | instid1(VALU_DEP_2)
	v_mul_hi_u32 v6, v0, v5
	v_mul_lo_u32 v7, v0, v4
	v_mul_hi_u32 v8, v0, v4
	v_mul_hi_u32 v9, v1, v5
	v_mul_lo_u32 v5, v1, v5
	v_mul_hi_u32 v10, v1, v4
	v_mul_lo_u32 v4, v1, v4
	v_add_co_u32 v6, vcc_lo, v6, v7
	v_add_co_ci_u32_e32 v7, vcc_lo, 0, v8, vcc_lo
	s_delay_alu instid0(VALU_DEP_2) | instskip(NEXT) | instid1(VALU_DEP_2)
	v_add_co_u32 v5, vcc_lo, v6, v5
	v_add_co_ci_u32_e32 v5, vcc_lo, v7, v9, vcc_lo
	v_add_co_ci_u32_e32 v6, vcc_lo, 0, v10, vcc_lo
	v_ashrrev_i32_e32 v9, 31, v3
	s_delay_alu instid0(VALU_DEP_3) | instskip(NEXT) | instid1(VALU_DEP_3)
	v_add_co_u32 v4, vcc_lo, v5, v4
	v_add_co_ci_u32_e32 v5, vcc_lo, 0, v6, vcc_lo
	s_delay_alu instid0(VALU_DEP_2) | instskip(NEXT) | instid1(VALU_DEP_2)
	v_add_co_u32 v0, vcc_lo, v0, v4
	v_add_co_ci_u32_e32 v1, vcc_lo, v1, v5, vcc_lo
	s_delay_alu instid0(VALU_DEP_2) | instskip(SKIP_1) | instid1(VALU_DEP_3)
	v_mul_hi_u32 v4, s2, v0
	v_mul_lo_u32 v6, s12, v0
	v_mul_lo_u32 v5, s2, v1
	s_delay_alu instid0(VALU_DEP_1) | instskip(SKIP_1) | instid1(VALU_DEP_2)
	v_add_nc_u32_e32 v4, v4, v5
	v_mul_lo_u32 v5, s2, v0
	v_add_nc_u32_e32 v4, v4, v6
	s_delay_alu instid0(VALU_DEP_2) | instskip(NEXT) | instid1(VALU_DEP_2)
	v_mul_hi_u32 v6, v0, v5
	v_mul_lo_u32 v7, v0, v4
	v_mul_hi_u32 v8, v0, v4
	v_mul_hi_u32 v10, v1, v5
	v_mul_lo_u32 v5, v1, v5
	v_mul_hi_u32 v11, v1, v4
	v_mul_lo_u32 v4, v1, v4
	v_add_co_u32 v6, vcc_lo, v6, v7
	v_add_co_ci_u32_e32 v7, vcc_lo, 0, v8, vcc_lo
	s_delay_alu instid0(VALU_DEP_2) | instskip(NEXT) | instid1(VALU_DEP_2)
	v_add_co_u32 v5, vcc_lo, v6, v5
	v_add_co_ci_u32_e32 v5, vcc_lo, v7, v10, vcc_lo
	v_add_co_ci_u32_e32 v6, vcc_lo, 0, v11, vcc_lo
	v_add_co_u32 v7, vcc_lo, v2, v9
	v_add_co_ci_u32_e32 v3, vcc_lo, v3, v9, vcc_lo
	s_delay_alu instid0(VALU_DEP_4) | instskip(NEXT) | instid1(VALU_DEP_4)
	v_add_co_u32 v4, vcc_lo, v5, v4
	v_add_co_ci_u32_e32 v5, vcc_lo, 0, v6, vcc_lo
	s_delay_alu instid0(VALU_DEP_4) | instskip(NEXT) | instid1(VALU_DEP_3)
	v_xor_b32_e32 v7, v7, v9
	v_add_co_u32 v6, vcc_lo, v0, v4
	s_delay_alu instid0(VALU_DEP_3) | instskip(SKIP_1) | instid1(VALU_DEP_3)
	v_add_co_ci_u32_e32 v8, vcc_lo, v1, v5, vcc_lo
	v_xor_b32_e32 v10, v3, v9
	v_mul_hi_u32 v11, v7, v6
	s_delay_alu instid0(VALU_DEP_3) | instskip(NEXT) | instid1(VALU_DEP_3)
	v_mad_u64_u32 v[0:1], null, v7, v8, 0
	v_mad_u64_u32 v[3:4], null, v10, v6, 0
	v_mad_u64_u32 v[5:6], null, v10, v8, 0
	s_delay_alu instid0(VALU_DEP_3) | instskip(NEXT) | instid1(VALU_DEP_4)
	v_add_co_u32 v0, vcc_lo, v11, v0
	v_add_co_ci_u32_e32 v1, vcc_lo, 0, v1, vcc_lo
	s_delay_alu instid0(VALU_DEP_2) | instskip(NEXT) | instid1(VALU_DEP_2)
	v_add_co_u32 v0, vcc_lo, v0, v3
	v_add_co_ci_u32_e32 v0, vcc_lo, v1, v4, vcc_lo
	v_add_co_ci_u32_e32 v1, vcc_lo, 0, v6, vcc_lo
	s_delay_alu instid0(VALU_DEP_2) | instskip(NEXT) | instid1(VALU_DEP_2)
	v_add_co_u32 v3, vcc_lo, v0, v5
	v_add_co_ci_u32_e32 v4, vcc_lo, 0, v1, vcc_lo
	s_delay_alu instid0(VALU_DEP_2) | instskip(SKIP_1) | instid1(VALU_DEP_3)
	v_mul_lo_u32 v5, s11, v3
	v_mad_u64_u32 v[0:1], null, s10, v3, 0
	v_mul_lo_u32 v6, s10, v4
	s_delay_alu instid0(VALU_DEP_2) | instskip(NEXT) | instid1(VALU_DEP_2)
	v_sub_co_u32 v0, vcc_lo, v7, v0
	v_add3_u32 v1, v1, v6, v5
	s_delay_alu instid0(VALU_DEP_1) | instskip(NEXT) | instid1(VALU_DEP_1)
	v_sub_nc_u32_e32 v5, v10, v1
	v_subrev_co_ci_u32_e64 v5, s2, s11, v5, vcc_lo
	v_add_co_u32 v6, s2, v3, 2
	s_delay_alu instid0(VALU_DEP_1) | instskip(SKIP_3) | instid1(VALU_DEP_3)
	v_add_co_ci_u32_e64 v7, s2, 0, v4, s2
	v_sub_co_u32 v8, s2, v0, s10
	v_sub_co_ci_u32_e32 v1, vcc_lo, v10, v1, vcc_lo
	v_subrev_co_ci_u32_e64 v5, s2, 0, v5, s2
	v_cmp_le_u32_e32 vcc_lo, s10, v8
	s_delay_alu instid0(VALU_DEP_3) | instskip(SKIP_1) | instid1(VALU_DEP_4)
	v_cmp_eq_u32_e64 s2, s11, v1
	v_cndmask_b32_e64 v8, 0, -1, vcc_lo
	v_cmp_le_u32_e32 vcc_lo, s11, v5
	v_cndmask_b32_e64 v10, 0, -1, vcc_lo
	v_cmp_le_u32_e32 vcc_lo, s10, v0
	;; [unrolled: 2-line block ×3, first 2 shown]
	v_cndmask_b32_e64 v11, 0, -1, vcc_lo
	v_cmp_eq_u32_e32 vcc_lo, s11, v5
	s_delay_alu instid0(VALU_DEP_2) | instskip(SKIP_3) | instid1(VALU_DEP_3)
	v_cndmask_b32_e64 v0, v11, v0, s2
	v_cndmask_b32_e32 v5, v10, v8, vcc_lo
	v_add_co_u32 v8, vcc_lo, v3, 1
	v_add_co_ci_u32_e32 v10, vcc_lo, 0, v4, vcc_lo
	v_cmp_ne_u32_e32 vcc_lo, 0, v5
	s_delay_alu instid0(VALU_DEP_2) | instskip(NEXT) | instid1(VALU_DEP_4)
	v_cndmask_b32_e32 v1, v10, v7, vcc_lo
	v_cndmask_b32_e32 v5, v8, v6, vcc_lo
	v_cmp_ne_u32_e32 vcc_lo, 0, v0
	v_xor_b32_e32 v0, s8, v9
	s_delay_alu instid0(VALU_DEP_3) | instskip(SKIP_2) | instid1(VALU_DEP_3)
	v_cndmask_b32_e32 v3, v3, v5, vcc_lo
	v_cndmask_b32_e32 v1, v4, v1, vcc_lo
	v_xor_b32_e32 v4, s9, v9
	v_xor_b32_e32 v3, v3, v0
	s_delay_alu instid0(VALU_DEP_2) | instskip(NEXT) | instid1(VALU_DEP_2)
	v_xor_b32_e32 v1, v1, v4
	v_sub_co_u32 v0, vcc_lo, v3, v0
	s_delay_alu instid0(VALU_DEP_2)
	v_sub_co_ci_u32_e32 v1, vcc_lo, v1, v4, vcc_lo
.LBB14_2:
	s_and_not1_saveexec_b32 s2, s6
	s_cbranch_execz .LBB14_4
; %bb.3:
	v_cvt_f32_u32_e32 v0, s3
	s_sub_i32 s6, 0, s3
	s_delay_alu instid0(VALU_DEP_1) | instskip(SKIP_2) | instid1(VALU_DEP_1)
	v_rcp_iflag_f32_e32 v0, v0
	s_waitcnt_depctr 0xfff
	v_mul_f32_e32 v0, 0x4f7ffffe, v0
	v_cvt_u32_f32_e32 v0, v0
	s_delay_alu instid0(VALU_DEP_1) | instskip(NEXT) | instid1(VALU_DEP_1)
	v_mul_lo_u32 v1, s6, v0
	v_mul_hi_u32 v1, v0, v1
	s_delay_alu instid0(VALU_DEP_1) | instskip(NEXT) | instid1(VALU_DEP_1)
	v_add_nc_u32_e32 v0, v0, v1
	v_mul_hi_u32 v0, v2, v0
	s_delay_alu instid0(VALU_DEP_1) | instskip(SKIP_1) | instid1(VALU_DEP_2)
	v_mul_lo_u32 v1, v0, s3
	v_add_nc_u32_e32 v3, 1, v0
	v_sub_nc_u32_e32 v1, v2, v1
	s_delay_alu instid0(VALU_DEP_1) | instskip(SKIP_1) | instid1(VALU_DEP_2)
	v_subrev_nc_u32_e32 v4, s3, v1
	v_cmp_le_u32_e32 vcc_lo, s3, v1
	v_dual_cndmask_b32 v1, v1, v4 :: v_dual_cndmask_b32 v0, v0, v3
	s_delay_alu instid0(VALU_DEP_1) | instskip(NEXT) | instid1(VALU_DEP_2)
	v_cmp_le_u32_e32 vcc_lo, s3, v1
	v_add_nc_u32_e32 v3, 1, v0
	s_delay_alu instid0(VALU_DEP_1)
	v_dual_mov_b32 v1, 0 :: v_dual_cndmask_b32 v0, v0, v3
.LBB14_4:
	s_or_b32 exec_lo, exec_lo, s2
	s_load_b64 s[8:9], s[0:1], 0x18
	s_delay_alu instid0(VALU_DEP_1) | instskip(NEXT) | instid1(VALU_DEP_1)
	v_mad_u64_u32 v[3:4], null, v0, s3, 0
	v_sub_co_u32 v4, null, v2, v3
	s_delay_alu instid0(VALU_DEP_1) | instskip(SKIP_2) | instid1(VALU_DEP_2)
	v_cmp_gt_i32_e64 s2, s5, v4
	s_waitcnt lgkmcnt(0)
	v_cmp_gt_i64_e32 vcc_lo, s[8:9], v[0:1]
	s_and_b32 s2, vcc_lo, s2
	s_delay_alu instid0(SALU_CYCLE_1)
	s_and_saveexec_b32 s3, s2
	s_cbranch_execz .LBB14_394
; %bb.5:
	s_ashr_i32 s6, s4, 31
	s_load_b64 s[2:3], s[0:1], 0x0
	v_mul_lo_u32 v2, v1, s4
	v_mad_u64_u32 v[5:6], null, v0, s4, 0
	v_mul_lo_u32 v3, v0, s6
	s_delay_alu instid0(VALU_DEP_1) | instskip(SKIP_1) | instid1(VALU_DEP_2)
	v_add3_u32 v6, v6, v3, v2
	v_dual_mov_b32 v3, 0 :: v_dual_lshlrev_b32 v2, 5, v4
	v_lshlrev_b64 v[5:6], 1, v[5:6]
	s_delay_alu instid0(VALU_DEP_2) | instskip(SKIP_1) | instid1(VALU_DEP_2)
	v_lshlrev_b64 v[7:8], 1, v[2:3]
	s_waitcnt lgkmcnt(0)
	v_add_co_u32 v3, vcc_lo, s2, v5
	s_delay_alu instid0(VALU_DEP_3) | instskip(SKIP_1) | instid1(VALU_DEP_2)
	v_add_co_ci_u32_e32 v6, vcc_lo, s3, v6, vcc_lo
	s_mov_b32 s2, 0xc2fe0000
	v_add_co_u32 v5, vcc_lo, v3, v7
	s_delay_alu instid0(VALU_DEP_2)
	v_add_co_ci_u32_e32 v6, vcc_lo, v6, v8, vcc_lo
	s_clause 0x3
	global_load_b128 v[9:12], v[5:6], off
	global_load_b128 v[29:32], v[5:6], off offset:16
	global_load_b128 v[53:56], v[5:6], off offset:32
	global_load_b128 v[57:60], v[5:6], off offset:48
	s_waitcnt vmcnt(3)
	v_lshrrev_b32_e32 v3, 16, v9
	v_cvt_f32_f16_e32 v5, v9
	v_lshrrev_b32_e32 v6, 16, v10
	v_cvt_f32_f16_e32 v10, v10
	v_cvt_f32_f16_e32 v17, v11
	;; [unrolled: 1-line block ×3, first 2 shown]
	v_lshrrev_b32_e32 v3, 16, v11
	v_cvt_f32_f16_e32 v15, v6
	v_lshrrev_b32_e32 v7, 16, v12
	v_cvt_f32_f16_e32 v23, v12
	v_max3_f32 v6, |v5|, 0, |v8|
	v_cvt_f32_f16_e32 v21, v3
	s_waitcnt vmcnt(2)
	v_cvt_f32_f16_e32 v35, v30
	v_cvt_f32_f16_e32 v27, v7
	v_lshrrev_b32_e32 v7, 16, v30
	v_max3_f32 v3, v6, |v10|, |v15|
	v_lshrrev_b32_e32 v6, 16, v29
	v_cvt_f32_f16_e32 v29, v29
	v_cvt_f32_f16_e32 v41, v31
	;; [unrolled: 1-line block ×3, first 2 shown]
	v_max3_f32 v3, v3, |v17|, |v21|
	v_cvt_f32_f16_e32 v33, v6
	v_lshrrev_b32_e32 v6, 16, v31
	v_lshrrev_b32_e32 v7, 16, v32
	v_cvt_f32_f16_e32 v46, v32
	v_max3_f32 v3, v3, |v23|, |v27|
	s_waitcnt vmcnt(1)
	v_cvt_f32_f16_e32 v48, v54
	v_cvt_f32_f16_e32 v43, v6
	v_lshrrev_b32_e32 v6, 16, v53
	v_cvt_f32_f16_e32 v49, v7
	v_max3_f32 v3, v3, |v29|, |v33|
	v_cvt_f32_f16_e32 v53, v53
	v_lshrrev_b32_e32 v7, 16, v54
	v_cvt_f32_f16_e32 v52, v6
	v_lshrrev_b32_e32 v6, 16, v55
	v_max3_f32 v3, v3, |v35|, |v39|
	v_cvt_f32_f16_e32 v42, v55
	v_cvt_f32_f16_e32 v47, v7
	v_lshrrev_b32_e32 v7, 16, v56
	v_cvt_f32_f16_e32 v40, v6
	v_max3_f32 v3, v3, |v41|, |v43|
	v_cvt_f32_f16_e32 v36, v56
	s_waitcnt vmcnt(0)
	v_lshrrev_b32_e32 v6, 16, v57
	v_cvt_f32_f16_e32 v34, v7
	v_cvt_f32_f16_e32 v31, v57
	v_max3_f32 v3, v3, |v46|, |v49|
	v_lshrrev_b32_e32 v7, 16, v58
	v_cvt_f32_f16_e32 v28, v6
	v_cvt_f32_f16_e32 v26, v58
	v_lshrrev_b32_e32 v6, 16, v59
	v_max3_f32 v3, v3, |v53|, |v52|
	v_cvt_f32_f16_e32 v22, v7
	v_cvt_f32_f16_e32 v20, v59
	v_lshrrev_b32_e32 v7, 16, v60
	v_cvt_f32_f16_e32 v16, v6
	v_max3_f32 v3, v3, |v48|, |v47|
	v_cvt_f32_f16_e32 v14, v60
	s_delay_alu instid0(VALU_DEP_4) | instskip(NEXT) | instid1(VALU_DEP_3)
	v_cvt_f32_f16_e32 v9, v7
	v_max3_f32 v3, v3, |v42|, |v40|
	s_delay_alu instid0(VALU_DEP_1) | instskip(NEXT) | instid1(VALU_DEP_1)
	v_max3_f32 v3, v3, |v36|, |v34|
	v_max3_f32 v3, v3, |v31|, |v28|
	s_delay_alu instid0(VALU_DEP_1) | instskip(NEXT) | instid1(VALU_DEP_1)
	v_max3_f32 v3, v3, |v26|, |v22|
	;; [unrolled: 3-line block ×3, first 2 shown]
	v_add_nc_u32_e32 v3, 0x200000, v3
	s_delay_alu instid0(VALU_DEP_1) | instskip(NEXT) | instid1(VALU_DEP_1)
	v_and_b32_e32 v3, 0x7f800000, v3
	v_cmp_gt_f32_e32 vcc_lo, 0x800000, v3
	v_cndmask_b32_e64 v6, 1.0, 0x4f800000, vcc_lo
	s_delay_alu instid0(VALU_DEP_1) | instskip(SKIP_1) | instid1(VALU_DEP_2)
	v_mul_f32_e32 v3, v3, v6
	v_cndmask_b32_e64 v6, 0, 0x42000000, vcc_lo
	v_log_f32_e32 v3, v3
	s_waitcnt_depctr 0xfff
	v_sub_f32_e32 v3, v3, v6
	s_delay_alu instid0(VALU_DEP_1) | instskip(NEXT) | instid1(VALU_DEP_1)
	v_floor_f32_e32 v3, v3
	v_add_f32_e32 v3, -2.0, v3
	s_delay_alu instid0(VALU_DEP_1) | instskip(SKIP_1) | instid1(VALU_DEP_1)
	v_maxmin_f32 v3, v3, s2, 0x42fe0000
	s_mov_b32 s2, exec_lo
	v_cmp_gt_f32_e32 vcc_lo, 0xc2fc0000, v3
	v_cndmask_b32_e64 v6, 0, 0x42800000, vcc_lo
	s_delay_alu instid0(VALU_DEP_1) | instskip(SKIP_1) | instid1(VALU_DEP_2)
	v_add_f32_e32 v3, v3, v6
	v_cndmask_b32_e64 v6, 1.0, 0x1f800000, vcc_lo
	v_exp_f32_e32 v3, v3
	s_waitcnt_depctr 0xfff
	v_mul_f32_e32 v3, v3, v6
	s_delay_alu instid0(VALU_DEP_1) | instskip(SKIP_1) | instid1(VALU_DEP_2)
	v_div_scale_f32 v6, null, v3, v3, 1.0
	v_div_scale_f32 v12, vcc_lo, 1.0, v3, 1.0
	v_rcp_f32_e32 v7, v6
	s_waitcnt_depctr 0xfff
	v_fma_f32 v11, -v6, v7, 1.0
	s_delay_alu instid0(VALU_DEP_1) | instskip(NEXT) | instid1(VALU_DEP_1)
	v_fmac_f32_e32 v7, v11, v7
	v_mul_f32_e32 v11, v12, v7
	s_delay_alu instid0(VALU_DEP_1) | instskip(NEXT) | instid1(VALU_DEP_1)
	v_fma_f32 v13, -v6, v11, v12
	v_fmac_f32_e32 v11, v13, v7
	s_delay_alu instid0(VALU_DEP_1) | instskip(NEXT) | instid1(VALU_DEP_1)
	v_fma_f32 v6, -v6, v11, v12
	v_div_fmas_f32 v6, v6, v7, v11
	v_cmp_neq_f32_e32 vcc_lo, 0, v3
	v_mov_b32_e32 v7, 7
	s_delay_alu instid0(VALU_DEP_3) | instskip(NEXT) | instid1(VALU_DEP_1)
	v_div_fixup_f32 v6, v6, v3, 1.0
	v_cndmask_b32_e32 v11, 0, v6, vcc_lo
	s_delay_alu instid0(VALU_DEP_1) | instskip(NEXT) | instid1(VALU_DEP_1)
	v_dual_mul_f32 v6, v11, v5 :: v_dual_mov_b32 v5, 7
	v_cmpx_nle_f32_e64 0x40a00000, |v6|
	s_cbranch_execz .LBB14_17
; %bb.6:
	v_mov_b32_e32 v5, 6
	s_mov_b32 s3, exec_lo
	v_cmpx_nle_f32_e64 0x40600000, |v6|
	s_cbranch_execz .LBB14_16
; %bb.7:
	v_mov_b32_e32 v5, 5
	s_mov_b32 s6, exec_lo
	;; [unrolled: 5-line block ×5, first 2 shown]
	v_cmpx_nle_f32_e64 0x3f400000, |v6|
; %bb.11:
	v_cmp_le_f32_e64 s12, 0x3e800000, |v6|
	s_delay_alu instid0(VALU_DEP_1)
	v_cndmask_b32_e64 v5, 0, 1, s12
; %bb.12:
	s_or_b32 exec_lo, exec_lo, s11
.LBB14_13:
	s_delay_alu instid0(SALU_CYCLE_1)
	s_or_b32 exec_lo, exec_lo, s10
.LBB14_14:
	s_delay_alu instid0(SALU_CYCLE_1)
	s_or_b32 exec_lo, exec_lo, s9
.LBB14_15:
	s_delay_alu instid0(SALU_CYCLE_1)
	s_or_b32 exec_lo, exec_lo, s6
.LBB14_16:
	s_delay_alu instid0(SALU_CYCLE_1)
	s_or_b32 exec_lo, exec_lo, s3
.LBB14_17:
	s_delay_alu instid0(SALU_CYCLE_1) | instskip(SKIP_2) | instid1(VALU_DEP_1)
	s_or_b32 exec_lo, exec_lo, s2
	v_mul_f32_e32 v8, v11, v8
	s_mov_b32 s2, exec_lo
	v_cmpx_nle_f32_e64 0x40a00000, |v8|
	s_cbranch_execz .LBB14_29
; %bb.18:
	v_mov_b32_e32 v7, 6
	s_mov_b32 s3, exec_lo
	v_cmpx_nle_f32_e64 0x40600000, |v8|
	s_cbranch_execz .LBB14_28
; %bb.19:
	v_mov_b32_e32 v7, 5
	;; [unrolled: 5-line block ×5, first 2 shown]
	s_mov_b32 s11, exec_lo
	v_cmpx_nle_f32_e64 0x3f400000, |v8|
; %bb.23:
	v_cmp_le_f32_e64 s12, 0x3e800000, |v8|
	s_delay_alu instid0(VALU_DEP_1)
	v_cndmask_b32_e64 v7, 0, 1, s12
; %bb.24:
	s_or_b32 exec_lo, exec_lo, s11
.LBB14_25:
	s_delay_alu instid0(SALU_CYCLE_1)
	s_or_b32 exec_lo, exec_lo, s10
.LBB14_26:
	s_delay_alu instid0(SALU_CYCLE_1)
	s_or_b32 exec_lo, exec_lo, s9
.LBB14_27:
	s_delay_alu instid0(SALU_CYCLE_1)
	s_or_b32 exec_lo, exec_lo, s6
.LBB14_28:
	s_delay_alu instid0(SALU_CYCLE_1)
	s_or_b32 exec_lo, exec_lo, s3
.LBB14_29:
	s_delay_alu instid0(SALU_CYCLE_1) | instskip(SKIP_3) | instid1(VALU_DEP_2)
	s_or_b32 exec_lo, exec_lo, s2
	v_dual_mul_f32 v12, v11, v10 :: v_dual_mov_b32 v13, 7
	v_mov_b32_e32 v10, 7
	s_mov_b32 s2, exec_lo
	v_cmpx_nle_f32_e64 0x40a00000, |v12|
	s_cbranch_execz .LBB14_41
; %bb.30:
	v_mov_b32_e32 v13, 6
	s_mov_b32 s3, exec_lo
	v_cmpx_nle_f32_e64 0x40600000, |v12|
	s_cbranch_execz .LBB14_40
; %bb.31:
	;; [unrolled: 5-line block ×5, first 2 shown]
	v_mov_b32_e32 v13, 2
	s_mov_b32 s11, exec_lo
	v_cmpx_nle_f32_e64 0x3f400000, |v12|
; %bb.35:
	v_cmp_le_f32_e64 s12, 0x3e800000, |v12|
	s_delay_alu instid0(VALU_DEP_1)
	v_cndmask_b32_e64 v13, 0, 1, s12
; %bb.36:
	s_or_b32 exec_lo, exec_lo, s11
.LBB14_37:
	s_delay_alu instid0(SALU_CYCLE_1)
	s_or_b32 exec_lo, exec_lo, s10
.LBB14_38:
	s_delay_alu instid0(SALU_CYCLE_1)
	s_or_b32 exec_lo, exec_lo, s9
.LBB14_39:
	s_delay_alu instid0(SALU_CYCLE_1)
	s_or_b32 exec_lo, exec_lo, s6
.LBB14_40:
	s_delay_alu instid0(SALU_CYCLE_1)
	s_or_b32 exec_lo, exec_lo, s3
.LBB14_41:
	s_delay_alu instid0(SALU_CYCLE_1) | instskip(SKIP_2) | instid1(VALU_DEP_1)
	s_or_b32 exec_lo, exec_lo, s2
	v_mul_f32_e32 v15, v11, v15
	s_mov_b32 s2, exec_lo
	v_cmpx_nle_f32_e64 0x40a00000, |v15|
	s_cbranch_execz .LBB14_53
; %bb.42:
	v_mov_b32_e32 v10, 6
	s_mov_b32 s3, exec_lo
	v_cmpx_nle_f32_e64 0x40600000, |v15|
	s_cbranch_execz .LBB14_52
; %bb.43:
	v_mov_b32_e32 v10, 5
	;; [unrolled: 5-line block ×5, first 2 shown]
	s_mov_b32 s11, exec_lo
	v_cmpx_nle_f32_e64 0x3f400000, |v15|
; %bb.47:
	v_cmp_le_f32_e64 s12, 0x3e800000, |v15|
	s_delay_alu instid0(VALU_DEP_1)
	v_cndmask_b32_e64 v10, 0, 1, s12
; %bb.48:
	s_or_b32 exec_lo, exec_lo, s11
.LBB14_49:
	s_delay_alu instid0(SALU_CYCLE_1)
	s_or_b32 exec_lo, exec_lo, s10
.LBB14_50:
	s_delay_alu instid0(SALU_CYCLE_1)
	s_or_b32 exec_lo, exec_lo, s9
.LBB14_51:
	s_delay_alu instid0(SALU_CYCLE_1)
	s_or_b32 exec_lo, exec_lo, s6
.LBB14_52:
	s_delay_alu instid0(SALU_CYCLE_1)
	s_or_b32 exec_lo, exec_lo, s3
.LBB14_53:
	s_delay_alu instid0(SALU_CYCLE_1) | instskip(SKIP_3) | instid1(VALU_DEP_2)
	s_or_b32 exec_lo, exec_lo, s2
	v_dual_mul_f32 v19, v11, v17 :: v_dual_mov_b32 v18, 7
	v_mov_b32_e32 v17, 7
	s_mov_b32 s2, exec_lo
	v_cmpx_nle_f32_e64 0x40a00000, |v19|
	s_cbranch_execz .LBB14_65
; %bb.54:
	v_mov_b32_e32 v17, 6
	s_mov_b32 s3, exec_lo
	v_cmpx_nle_f32_e64 0x40600000, |v19|
	s_cbranch_execz .LBB14_64
; %bb.55:
	;; [unrolled: 5-line block ×5, first 2 shown]
	v_mov_b32_e32 v17, 2
	s_mov_b32 s11, exec_lo
	v_cmpx_nle_f32_e64 0x3f400000, |v19|
; %bb.59:
	v_cmp_le_f32_e64 s12, 0x3e800000, |v19|
	s_delay_alu instid0(VALU_DEP_1)
	v_cndmask_b32_e64 v17, 0, 1, s12
; %bb.60:
	s_or_b32 exec_lo, exec_lo, s11
.LBB14_61:
	s_delay_alu instid0(SALU_CYCLE_1)
	s_or_b32 exec_lo, exec_lo, s10
.LBB14_62:
	s_delay_alu instid0(SALU_CYCLE_1)
	s_or_b32 exec_lo, exec_lo, s9
.LBB14_63:
	s_delay_alu instid0(SALU_CYCLE_1)
	s_or_b32 exec_lo, exec_lo, s6
.LBB14_64:
	s_delay_alu instid0(SALU_CYCLE_1)
	s_or_b32 exec_lo, exec_lo, s3
.LBB14_65:
	s_delay_alu instid0(SALU_CYCLE_1) | instskip(SKIP_2) | instid1(VALU_DEP_1)
	s_or_b32 exec_lo, exec_lo, s2
	v_mul_f32_e32 v21, v11, v21
	s_mov_b32 s2, exec_lo
	v_cmpx_nle_f32_e64 0x40a00000, |v21|
	s_cbranch_execz .LBB14_77
; %bb.66:
	v_mov_b32_e32 v18, 6
	s_mov_b32 s3, exec_lo
	v_cmpx_nle_f32_e64 0x40600000, |v21|
	s_cbranch_execz .LBB14_76
; %bb.67:
	v_mov_b32_e32 v18, 5
	;; [unrolled: 5-line block ×5, first 2 shown]
	s_mov_b32 s11, exec_lo
	v_cmpx_nle_f32_e64 0x3f400000, |v21|
; %bb.71:
	v_cmp_le_f32_e64 s12, 0x3e800000, |v21|
	s_delay_alu instid0(VALU_DEP_1)
	v_cndmask_b32_e64 v18, 0, 1, s12
; %bb.72:
	s_or_b32 exec_lo, exec_lo, s11
.LBB14_73:
	s_delay_alu instid0(SALU_CYCLE_1)
	s_or_b32 exec_lo, exec_lo, s10
.LBB14_74:
	s_delay_alu instid0(SALU_CYCLE_1)
	s_or_b32 exec_lo, exec_lo, s9
.LBB14_75:
	s_delay_alu instid0(SALU_CYCLE_1)
	s_or_b32 exec_lo, exec_lo, s6
.LBB14_76:
	s_delay_alu instid0(SALU_CYCLE_1)
	s_or_b32 exec_lo, exec_lo, s3
.LBB14_77:
	s_delay_alu instid0(SALU_CYCLE_1) | instskip(SKIP_3) | instid1(VALU_DEP_2)
	s_or_b32 exec_lo, exec_lo, s2
	v_dual_mul_f32 v25, v11, v23 :: v_dual_mov_b32 v24, 7
	v_mov_b32_e32 v23, 7
	s_mov_b32 s2, exec_lo
	v_cmpx_nle_f32_e64 0x40a00000, |v25|
	s_cbranch_execz .LBB14_89
; %bb.78:
	v_mov_b32_e32 v24, 6
	s_mov_b32 s3, exec_lo
	v_cmpx_nle_f32_e64 0x40600000, |v25|
	s_cbranch_execz .LBB14_88
; %bb.79:
	;; [unrolled: 5-line block ×5, first 2 shown]
	v_mov_b32_e32 v24, 2
	s_mov_b32 s11, exec_lo
	v_cmpx_nle_f32_e64 0x3f400000, |v25|
; %bb.83:
	v_cmp_le_f32_e64 s12, 0x3e800000, |v25|
	s_delay_alu instid0(VALU_DEP_1)
	v_cndmask_b32_e64 v24, 0, 1, s12
; %bb.84:
	s_or_b32 exec_lo, exec_lo, s11
.LBB14_85:
	s_delay_alu instid0(SALU_CYCLE_1)
	s_or_b32 exec_lo, exec_lo, s10
.LBB14_86:
	s_delay_alu instid0(SALU_CYCLE_1)
	s_or_b32 exec_lo, exec_lo, s9
.LBB14_87:
	s_delay_alu instid0(SALU_CYCLE_1)
	s_or_b32 exec_lo, exec_lo, s6
.LBB14_88:
	s_delay_alu instid0(SALU_CYCLE_1)
	s_or_b32 exec_lo, exec_lo, s3
.LBB14_89:
	s_delay_alu instid0(SALU_CYCLE_1) | instskip(SKIP_2) | instid1(VALU_DEP_1)
	s_or_b32 exec_lo, exec_lo, s2
	v_mul_f32_e32 v27, v11, v27
	s_mov_b32 s2, exec_lo
	v_cmpx_nle_f32_e64 0x40a00000, |v27|
	s_cbranch_execz .LBB14_101
; %bb.90:
	v_mov_b32_e32 v23, 6
	s_mov_b32 s3, exec_lo
	v_cmpx_nle_f32_e64 0x40600000, |v27|
	s_cbranch_execz .LBB14_100
; %bb.91:
	v_mov_b32_e32 v23, 5
	;; [unrolled: 5-line block ×5, first 2 shown]
	s_mov_b32 s11, exec_lo
	v_cmpx_nle_f32_e64 0x3f400000, |v27|
; %bb.95:
	v_cmp_le_f32_e64 s12, 0x3e800000, |v27|
	s_delay_alu instid0(VALU_DEP_1)
	v_cndmask_b32_e64 v23, 0, 1, s12
; %bb.96:
	s_or_b32 exec_lo, exec_lo, s11
.LBB14_97:
	s_delay_alu instid0(SALU_CYCLE_1)
	s_or_b32 exec_lo, exec_lo, s10
.LBB14_98:
	s_delay_alu instid0(SALU_CYCLE_1)
	s_or_b32 exec_lo, exec_lo, s9
.LBB14_99:
	s_delay_alu instid0(SALU_CYCLE_1)
	s_or_b32 exec_lo, exec_lo, s6
.LBB14_100:
	s_delay_alu instid0(SALU_CYCLE_1)
	s_or_b32 exec_lo, exec_lo, s3
.LBB14_101:
	s_delay_alu instid0(SALU_CYCLE_1) | instskip(SKIP_3) | instid1(VALU_DEP_2)
	s_or_b32 exec_lo, exec_lo, s2
	v_dual_mul_f32 v32, v11, v29 :: v_dual_mov_b32 v29, 7
	v_mov_b32_e32 v30, 7
	s_mov_b32 s2, exec_lo
	v_cmpx_nle_f32_e64 0x40a00000, |v32|
	s_cbranch_execz .LBB14_113
; %bb.102:
	v_mov_b32_e32 v30, 6
	s_mov_b32 s3, exec_lo
	v_cmpx_nle_f32_e64 0x40600000, |v32|
	s_cbranch_execz .LBB14_112
; %bb.103:
	;; [unrolled: 5-line block ×5, first 2 shown]
	v_mov_b32_e32 v30, 2
	s_mov_b32 s11, exec_lo
	v_cmpx_nle_f32_e64 0x3f400000, |v32|
; %bb.107:
	v_cmp_le_f32_e64 s12, 0x3e800000, |v32|
	s_delay_alu instid0(VALU_DEP_1)
	v_cndmask_b32_e64 v30, 0, 1, s12
; %bb.108:
	s_or_b32 exec_lo, exec_lo, s11
.LBB14_109:
	s_delay_alu instid0(SALU_CYCLE_1)
	s_or_b32 exec_lo, exec_lo, s10
.LBB14_110:
	s_delay_alu instid0(SALU_CYCLE_1)
	s_or_b32 exec_lo, exec_lo, s9
.LBB14_111:
	s_delay_alu instid0(SALU_CYCLE_1)
	s_or_b32 exec_lo, exec_lo, s6
.LBB14_112:
	s_delay_alu instid0(SALU_CYCLE_1)
	s_or_b32 exec_lo, exec_lo, s3
.LBB14_113:
	s_delay_alu instid0(SALU_CYCLE_1) | instskip(SKIP_2) | instid1(VALU_DEP_1)
	s_or_b32 exec_lo, exec_lo, s2
	v_mul_f32_e32 v33, v11, v33
	s_mov_b32 s2, exec_lo
	v_cmpx_nle_f32_e64 0x40a00000, |v33|
	s_cbranch_execz .LBB14_125
; %bb.114:
	v_mov_b32_e32 v29, 6
	s_mov_b32 s3, exec_lo
	v_cmpx_nle_f32_e64 0x40600000, |v33|
	s_cbranch_execz .LBB14_124
; %bb.115:
	v_mov_b32_e32 v29, 5
	;; [unrolled: 5-line block ×5, first 2 shown]
	s_mov_b32 s11, exec_lo
	v_cmpx_nle_f32_e64 0x3f400000, |v33|
; %bb.119:
	v_cmp_le_f32_e64 s12, 0x3e800000, |v33|
	s_delay_alu instid0(VALU_DEP_1)
	v_cndmask_b32_e64 v29, 0, 1, s12
; %bb.120:
	s_or_b32 exec_lo, exec_lo, s11
.LBB14_121:
	s_delay_alu instid0(SALU_CYCLE_1)
	s_or_b32 exec_lo, exec_lo, s10
.LBB14_122:
	s_delay_alu instid0(SALU_CYCLE_1)
	s_or_b32 exec_lo, exec_lo, s9
.LBB14_123:
	s_delay_alu instid0(SALU_CYCLE_1)
	s_or_b32 exec_lo, exec_lo, s6
.LBB14_124:
	s_delay_alu instid0(SALU_CYCLE_1)
	s_or_b32 exec_lo, exec_lo, s3
.LBB14_125:
	s_delay_alu instid0(SALU_CYCLE_1) | instskip(SKIP_3) | instid1(VALU_DEP_2)
	s_or_b32 exec_lo, exec_lo, s2
	v_dual_mul_f32 v38, v11, v35 :: v_dual_mov_b32 v35, 7
	v_mov_b32_e32 v37, 7
	s_mov_b32 s2, exec_lo
	v_cmpx_nle_f32_e64 0x40a00000, |v38|
	s_cbranch_execz .LBB14_137
; %bb.126:
	v_mov_b32_e32 v37, 6
	s_mov_b32 s3, exec_lo
	v_cmpx_nle_f32_e64 0x40600000, |v38|
	s_cbranch_execz .LBB14_136
; %bb.127:
	;; [unrolled: 5-line block ×5, first 2 shown]
	v_mov_b32_e32 v37, 2
	s_mov_b32 s11, exec_lo
	v_cmpx_nle_f32_e64 0x3f400000, |v38|
; %bb.131:
	v_cmp_le_f32_e64 s12, 0x3e800000, |v38|
	s_delay_alu instid0(VALU_DEP_1)
	v_cndmask_b32_e64 v37, 0, 1, s12
; %bb.132:
	s_or_b32 exec_lo, exec_lo, s11
.LBB14_133:
	s_delay_alu instid0(SALU_CYCLE_1)
	s_or_b32 exec_lo, exec_lo, s10
.LBB14_134:
	s_delay_alu instid0(SALU_CYCLE_1)
	s_or_b32 exec_lo, exec_lo, s9
.LBB14_135:
	s_delay_alu instid0(SALU_CYCLE_1)
	s_or_b32 exec_lo, exec_lo, s6
.LBB14_136:
	s_delay_alu instid0(SALU_CYCLE_1)
	s_or_b32 exec_lo, exec_lo, s3
.LBB14_137:
	s_delay_alu instid0(SALU_CYCLE_1) | instskip(SKIP_2) | instid1(VALU_DEP_1)
	s_or_b32 exec_lo, exec_lo, s2
	v_mul_f32_e32 v39, v11, v39
	s_mov_b32 s2, exec_lo
	v_cmpx_nle_f32_e64 0x40a00000, |v39|
	s_cbranch_execz .LBB14_149
; %bb.138:
	v_mov_b32_e32 v35, 6
	s_mov_b32 s3, exec_lo
	v_cmpx_nle_f32_e64 0x40600000, |v39|
	s_cbranch_execz .LBB14_148
; %bb.139:
	v_mov_b32_e32 v35, 5
	;; [unrolled: 5-line block ×5, first 2 shown]
	s_mov_b32 s11, exec_lo
	v_cmpx_nle_f32_e64 0x3f400000, |v39|
; %bb.143:
	v_cmp_le_f32_e64 s12, 0x3e800000, |v39|
	s_delay_alu instid0(VALU_DEP_1)
	v_cndmask_b32_e64 v35, 0, 1, s12
; %bb.144:
	s_or_b32 exec_lo, exec_lo, s11
.LBB14_145:
	s_delay_alu instid0(SALU_CYCLE_1)
	s_or_b32 exec_lo, exec_lo, s10
.LBB14_146:
	s_delay_alu instid0(SALU_CYCLE_1)
	s_or_b32 exec_lo, exec_lo, s9
.LBB14_147:
	s_delay_alu instid0(SALU_CYCLE_1)
	s_or_b32 exec_lo, exec_lo, s6
.LBB14_148:
	s_delay_alu instid0(SALU_CYCLE_1)
	s_or_b32 exec_lo, exec_lo, s3
.LBB14_149:
	s_delay_alu instid0(SALU_CYCLE_1) | instskip(SKIP_3) | instid1(VALU_DEP_2)
	s_or_b32 exec_lo, exec_lo, s2
	v_dual_mul_f32 v44, v11, v41 :: v_dual_mov_b32 v41, 7
	v_mov_b32_e32 v45, 7
	s_mov_b32 s2, exec_lo
	v_cmpx_nle_f32_e64 0x40a00000, |v44|
	s_cbranch_execz .LBB14_161
; %bb.150:
	v_mov_b32_e32 v45, 6
	s_mov_b32 s3, exec_lo
	v_cmpx_nle_f32_e64 0x40600000, |v44|
	s_cbranch_execz .LBB14_160
; %bb.151:
	;; [unrolled: 5-line block ×5, first 2 shown]
	v_mov_b32_e32 v45, 2
	s_mov_b32 s11, exec_lo
	v_cmpx_nle_f32_e64 0x3f400000, |v44|
; %bb.155:
	v_cmp_le_f32_e64 s12, 0x3e800000, |v44|
	s_delay_alu instid0(VALU_DEP_1)
	v_cndmask_b32_e64 v45, 0, 1, s12
; %bb.156:
	s_or_b32 exec_lo, exec_lo, s11
.LBB14_157:
	s_delay_alu instid0(SALU_CYCLE_1)
	s_or_b32 exec_lo, exec_lo, s10
.LBB14_158:
	s_delay_alu instid0(SALU_CYCLE_1)
	s_or_b32 exec_lo, exec_lo, s9
.LBB14_159:
	s_delay_alu instid0(SALU_CYCLE_1)
	s_or_b32 exec_lo, exec_lo, s6
.LBB14_160:
	s_delay_alu instid0(SALU_CYCLE_1)
	s_or_b32 exec_lo, exec_lo, s3
.LBB14_161:
	s_delay_alu instid0(SALU_CYCLE_1) | instskip(SKIP_2) | instid1(VALU_DEP_1)
	s_or_b32 exec_lo, exec_lo, s2
	v_mul_f32_e32 v43, v11, v43
	s_mov_b32 s2, exec_lo
	v_cmpx_nle_f32_e64 0x40a00000, |v43|
	s_cbranch_execz .LBB14_173
; %bb.162:
	v_mov_b32_e32 v41, 6
	s_mov_b32 s3, exec_lo
	v_cmpx_nle_f32_e64 0x40600000, |v43|
	s_cbranch_execz .LBB14_172
; %bb.163:
	v_mov_b32_e32 v41, 5
	;; [unrolled: 5-line block ×5, first 2 shown]
	s_mov_b32 s11, exec_lo
	v_cmpx_nle_f32_e64 0x3f400000, |v43|
; %bb.167:
	v_cmp_le_f32_e64 s12, 0x3e800000, |v43|
	s_delay_alu instid0(VALU_DEP_1)
	v_cndmask_b32_e64 v41, 0, 1, s12
; %bb.168:
	s_or_b32 exec_lo, exec_lo, s11
.LBB14_169:
	s_delay_alu instid0(SALU_CYCLE_1)
	s_or_b32 exec_lo, exec_lo, s10
.LBB14_170:
	s_delay_alu instid0(SALU_CYCLE_1)
	s_or_b32 exec_lo, exec_lo, s9
.LBB14_171:
	s_delay_alu instid0(SALU_CYCLE_1)
	s_or_b32 exec_lo, exec_lo, s6
.LBB14_172:
	s_delay_alu instid0(SALU_CYCLE_1)
	s_or_b32 exec_lo, exec_lo, s3
.LBB14_173:
	s_delay_alu instid0(SALU_CYCLE_1) | instskip(SKIP_3) | instid1(VALU_DEP_2)
	s_or_b32 exec_lo, exec_lo, s2
	v_dual_mul_f32 v51, v11, v46 :: v_dual_mov_b32 v46, 7
	v_mov_b32_e32 v50, 7
	s_mov_b32 s2, exec_lo
	v_cmpx_nle_f32_e64 0x40a00000, |v51|
	s_cbranch_execz .LBB14_185
; %bb.174:
	v_mov_b32_e32 v50, 6
	s_mov_b32 s3, exec_lo
	v_cmpx_nle_f32_e64 0x40600000, |v51|
	s_cbranch_execz .LBB14_184
; %bb.175:
	;; [unrolled: 5-line block ×5, first 2 shown]
	v_mov_b32_e32 v50, 2
	s_mov_b32 s11, exec_lo
	v_cmpx_nle_f32_e64 0x3f400000, |v51|
; %bb.179:
	v_cmp_le_f32_e64 s12, 0x3e800000, |v51|
	s_delay_alu instid0(VALU_DEP_1)
	v_cndmask_b32_e64 v50, 0, 1, s12
; %bb.180:
	s_or_b32 exec_lo, exec_lo, s11
.LBB14_181:
	s_delay_alu instid0(SALU_CYCLE_1)
	s_or_b32 exec_lo, exec_lo, s10
.LBB14_182:
	s_delay_alu instid0(SALU_CYCLE_1)
	s_or_b32 exec_lo, exec_lo, s9
.LBB14_183:
	s_delay_alu instid0(SALU_CYCLE_1)
	s_or_b32 exec_lo, exec_lo, s6
.LBB14_184:
	s_delay_alu instid0(SALU_CYCLE_1)
	s_or_b32 exec_lo, exec_lo, s3
.LBB14_185:
	s_delay_alu instid0(SALU_CYCLE_1) | instskip(SKIP_2) | instid1(VALU_DEP_1)
	s_or_b32 exec_lo, exec_lo, s2
	v_mul_f32_e32 v49, v11, v49
	s_mov_b32 s2, exec_lo
	v_cmpx_nle_f32_e64 0x40a00000, |v49|
	s_cbranch_execz .LBB14_197
; %bb.186:
	v_mov_b32_e32 v46, 6
	s_mov_b32 s3, exec_lo
	v_cmpx_nle_f32_e64 0x40600000, |v49|
	s_cbranch_execz .LBB14_196
; %bb.187:
	v_mov_b32_e32 v46, 5
	;; [unrolled: 5-line block ×5, first 2 shown]
	s_mov_b32 s11, exec_lo
	v_cmpx_nle_f32_e64 0x3f400000, |v49|
; %bb.191:
	v_cmp_le_f32_e64 s12, 0x3e800000, |v49|
	s_delay_alu instid0(VALU_DEP_1)
	v_cndmask_b32_e64 v46, 0, 1, s12
; %bb.192:
	s_or_b32 exec_lo, exec_lo, s11
.LBB14_193:
	s_delay_alu instid0(SALU_CYCLE_1)
	s_or_b32 exec_lo, exec_lo, s10
.LBB14_194:
	s_delay_alu instid0(SALU_CYCLE_1)
	s_or_b32 exec_lo, exec_lo, s9
.LBB14_195:
	s_delay_alu instid0(SALU_CYCLE_1)
	s_or_b32 exec_lo, exec_lo, s6
.LBB14_196:
	s_delay_alu instid0(SALU_CYCLE_1)
	s_or_b32 exec_lo, exec_lo, s3
.LBB14_197:
	s_delay_alu instid0(SALU_CYCLE_1) | instskip(SKIP_3) | instid1(VALU_DEP_2)
	s_or_b32 exec_lo, exec_lo, s2
	v_dual_mul_f32 v55, v11, v53 :: v_dual_mov_b32 v54, 7
	v_mov_b32_e32 v53, 7
	s_mov_b32 s2, exec_lo
	v_cmpx_nle_f32_e64 0x40a00000, |v55|
	s_cbranch_execz .LBB14_209
; %bb.198:
	v_mov_b32_e32 v54, 6
	s_mov_b32 s3, exec_lo
	v_cmpx_nle_f32_e64 0x40600000, |v55|
	s_cbranch_execz .LBB14_208
; %bb.199:
	v_mov_b32_e32 v54, 5
	s_mov_b32 s6, exec_lo
	v_cmpx_nle_f32_e64 0x40200000, |v55|
	s_cbranch_execz .LBB14_207
; %bb.200:
	v_mov_b32_e32 v54, 4
	s_mov_b32 s9, exec_lo
	v_cmpx_nle_f32_e64 0x3fe00000, |v55|
	s_cbranch_execz .LBB14_206
; %bb.201:
	v_mov_b32_e32 v54, 3
	s_mov_b32 s10, exec_lo
	v_cmpx_nle_f32_e64 0x3fa00000, |v55|
	s_cbranch_execz .LBB14_205
; %bb.202:
	v_mov_b32_e32 v54, 2
	s_mov_b32 s11, exec_lo
	v_cmpx_nle_f32_e64 0x3f400000, |v55|
; %bb.203:
	v_cmp_le_f32_e64 s12, 0x3e800000, |v55|
	s_delay_alu instid0(VALU_DEP_1)
	v_cndmask_b32_e64 v54, 0, 1, s12
; %bb.204:
	s_or_b32 exec_lo, exec_lo, s11
.LBB14_205:
	s_delay_alu instid0(SALU_CYCLE_1)
	s_or_b32 exec_lo, exec_lo, s10
.LBB14_206:
	s_delay_alu instid0(SALU_CYCLE_1)
	s_or_b32 exec_lo, exec_lo, s9
.LBB14_207:
	s_delay_alu instid0(SALU_CYCLE_1)
	s_or_b32 exec_lo, exec_lo, s6
.LBB14_208:
	s_delay_alu instid0(SALU_CYCLE_1)
	s_or_b32 exec_lo, exec_lo, s3
.LBB14_209:
	s_delay_alu instid0(SALU_CYCLE_1) | instskip(SKIP_2) | instid1(VALU_DEP_1)
	s_or_b32 exec_lo, exec_lo, s2
	v_mul_f32_e32 v52, v11, v52
	s_mov_b32 s2, exec_lo
	v_cmpx_nle_f32_e64 0x40a00000, |v52|
	s_cbranch_execz .LBB14_221
; %bb.210:
	v_mov_b32_e32 v53, 6
	s_mov_b32 s3, exec_lo
	v_cmpx_nle_f32_e64 0x40600000, |v52|
	s_cbranch_execz .LBB14_220
; %bb.211:
	v_mov_b32_e32 v53, 5
	;; [unrolled: 5-line block ×5, first 2 shown]
	s_mov_b32 s11, exec_lo
	v_cmpx_nle_f32_e64 0x3f400000, |v52|
; %bb.215:
	v_cmp_le_f32_e64 s12, 0x3e800000, |v52|
	s_delay_alu instid0(VALU_DEP_1)
	v_cndmask_b32_e64 v53, 0, 1, s12
; %bb.216:
	s_or_b32 exec_lo, exec_lo, s11
.LBB14_217:
	s_delay_alu instid0(SALU_CYCLE_1)
	s_or_b32 exec_lo, exec_lo, s10
.LBB14_218:
	s_delay_alu instid0(SALU_CYCLE_1)
	s_or_b32 exec_lo, exec_lo, s9
.LBB14_219:
	s_delay_alu instid0(SALU_CYCLE_1)
	s_or_b32 exec_lo, exec_lo, s6
.LBB14_220:
	s_delay_alu instid0(SALU_CYCLE_1)
	s_or_b32 exec_lo, exec_lo, s3
.LBB14_221:
	s_delay_alu instid0(SALU_CYCLE_1) | instskip(SKIP_3) | instid1(VALU_DEP_2)
	s_or_b32 exec_lo, exec_lo, s2
	v_dual_mul_f32 v57, v11, v48 :: v_dual_mov_b32 v48, 7
	v_mov_b32_e32 v56, 7
	s_mov_b32 s2, exec_lo
	v_cmpx_nle_f32_e64 0x40a00000, |v57|
	s_cbranch_execz .LBB14_233
; %bb.222:
	v_mov_b32_e32 v56, 6
	s_mov_b32 s3, exec_lo
	v_cmpx_nle_f32_e64 0x40600000, |v57|
	s_cbranch_execz .LBB14_232
; %bb.223:
	;; [unrolled: 5-line block ×5, first 2 shown]
	v_mov_b32_e32 v56, 2
	s_mov_b32 s11, exec_lo
	v_cmpx_nle_f32_e64 0x3f400000, |v57|
; %bb.227:
	v_cmp_le_f32_e64 s12, 0x3e800000, |v57|
	s_delay_alu instid0(VALU_DEP_1)
	v_cndmask_b32_e64 v56, 0, 1, s12
; %bb.228:
	s_or_b32 exec_lo, exec_lo, s11
.LBB14_229:
	s_delay_alu instid0(SALU_CYCLE_1)
	s_or_b32 exec_lo, exec_lo, s10
.LBB14_230:
	s_delay_alu instid0(SALU_CYCLE_1)
	s_or_b32 exec_lo, exec_lo, s9
.LBB14_231:
	s_delay_alu instid0(SALU_CYCLE_1)
	s_or_b32 exec_lo, exec_lo, s6
.LBB14_232:
	s_delay_alu instid0(SALU_CYCLE_1)
	s_or_b32 exec_lo, exec_lo, s3
.LBB14_233:
	s_delay_alu instid0(SALU_CYCLE_1) | instskip(SKIP_2) | instid1(VALU_DEP_1)
	s_or_b32 exec_lo, exec_lo, s2
	v_mul_f32_e32 v47, v11, v47
	s_mov_b32 s2, exec_lo
	v_cmpx_nle_f32_e64 0x40a00000, |v47|
	s_cbranch_execz .LBB14_245
; %bb.234:
	v_mov_b32_e32 v48, 6
	s_mov_b32 s3, exec_lo
	v_cmpx_nle_f32_e64 0x40600000, |v47|
	s_cbranch_execz .LBB14_244
; %bb.235:
	v_mov_b32_e32 v48, 5
	;; [unrolled: 5-line block ×5, first 2 shown]
	s_mov_b32 s11, exec_lo
	v_cmpx_nle_f32_e64 0x3f400000, |v47|
; %bb.239:
	v_cmp_le_f32_e64 s12, 0x3e800000, |v47|
	s_delay_alu instid0(VALU_DEP_1)
	v_cndmask_b32_e64 v48, 0, 1, s12
; %bb.240:
	s_or_b32 exec_lo, exec_lo, s11
.LBB14_241:
	s_delay_alu instid0(SALU_CYCLE_1)
	s_or_b32 exec_lo, exec_lo, s10
.LBB14_242:
	s_delay_alu instid0(SALU_CYCLE_1)
	s_or_b32 exec_lo, exec_lo, s9
.LBB14_243:
	s_delay_alu instid0(SALU_CYCLE_1)
	s_or_b32 exec_lo, exec_lo, s6
.LBB14_244:
	s_delay_alu instid0(SALU_CYCLE_1)
	s_or_b32 exec_lo, exec_lo, s3
.LBB14_245:
	s_delay_alu instid0(SALU_CYCLE_1) | instskip(SKIP_3) | instid1(VALU_DEP_2)
	s_or_b32 exec_lo, exec_lo, s2
	v_dual_mul_f32 v59, v11, v42 :: v_dual_mov_b32 v42, 7
	v_mov_b32_e32 v58, 7
	s_mov_b32 s2, exec_lo
	v_cmpx_nle_f32_e64 0x40a00000, |v59|
	s_cbranch_execz .LBB14_257
; %bb.246:
	v_mov_b32_e32 v58, 6
	s_mov_b32 s3, exec_lo
	v_cmpx_nle_f32_e64 0x40600000, |v59|
	s_cbranch_execz .LBB14_256
; %bb.247:
	;; [unrolled: 5-line block ×5, first 2 shown]
	v_mov_b32_e32 v58, 2
	s_mov_b32 s11, exec_lo
	v_cmpx_nle_f32_e64 0x3f400000, |v59|
; %bb.251:
	v_cmp_le_f32_e64 s12, 0x3e800000, |v59|
	s_delay_alu instid0(VALU_DEP_1)
	v_cndmask_b32_e64 v58, 0, 1, s12
; %bb.252:
	s_or_b32 exec_lo, exec_lo, s11
.LBB14_253:
	s_delay_alu instid0(SALU_CYCLE_1)
	s_or_b32 exec_lo, exec_lo, s10
.LBB14_254:
	s_delay_alu instid0(SALU_CYCLE_1)
	s_or_b32 exec_lo, exec_lo, s9
.LBB14_255:
	s_delay_alu instid0(SALU_CYCLE_1)
	s_or_b32 exec_lo, exec_lo, s6
.LBB14_256:
	s_delay_alu instid0(SALU_CYCLE_1)
	s_or_b32 exec_lo, exec_lo, s3
.LBB14_257:
	s_delay_alu instid0(SALU_CYCLE_1) | instskip(SKIP_2) | instid1(VALU_DEP_1)
	s_or_b32 exec_lo, exec_lo, s2
	v_mul_f32_e32 v40, v11, v40
	s_mov_b32 s2, exec_lo
	v_cmpx_nle_f32_e64 0x40a00000, |v40|
	s_cbranch_execz .LBB14_269
; %bb.258:
	v_mov_b32_e32 v42, 6
	s_mov_b32 s3, exec_lo
	v_cmpx_nle_f32_e64 0x40600000, |v40|
	s_cbranch_execz .LBB14_268
; %bb.259:
	v_mov_b32_e32 v42, 5
	;; [unrolled: 5-line block ×5, first 2 shown]
	s_mov_b32 s11, exec_lo
	v_cmpx_nle_f32_e64 0x3f400000, |v40|
; %bb.263:
	v_cmp_le_f32_e64 s12, 0x3e800000, |v40|
	s_delay_alu instid0(VALU_DEP_1)
	v_cndmask_b32_e64 v42, 0, 1, s12
; %bb.264:
	s_or_b32 exec_lo, exec_lo, s11
.LBB14_265:
	s_delay_alu instid0(SALU_CYCLE_1)
	s_or_b32 exec_lo, exec_lo, s10
.LBB14_266:
	s_delay_alu instid0(SALU_CYCLE_1)
	s_or_b32 exec_lo, exec_lo, s9
.LBB14_267:
	s_delay_alu instid0(SALU_CYCLE_1)
	s_or_b32 exec_lo, exec_lo, s6
.LBB14_268:
	s_delay_alu instid0(SALU_CYCLE_1)
	s_or_b32 exec_lo, exec_lo, s3
.LBB14_269:
	s_delay_alu instid0(SALU_CYCLE_1) | instskip(SKIP_3) | instid1(VALU_DEP_2)
	s_or_b32 exec_lo, exec_lo, s2
	v_dual_mul_f32 v60, v11, v36 :: v_dual_mov_b32 v61, 7
	v_mov_b32_e32 v36, 7
	s_mov_b32 s2, exec_lo
	v_cmpx_nle_f32_e64 0x40a00000, |v60|
	s_cbranch_execz .LBB14_281
; %bb.270:
	v_mov_b32_e32 v61, 6
	s_mov_b32 s3, exec_lo
	v_cmpx_nle_f32_e64 0x40600000, |v60|
	s_cbranch_execz .LBB14_280
; %bb.271:
	;; [unrolled: 5-line block ×5, first 2 shown]
	v_mov_b32_e32 v61, 2
	s_mov_b32 s11, exec_lo
	v_cmpx_nle_f32_e64 0x3f400000, |v60|
; %bb.275:
	v_cmp_le_f32_e64 s12, 0x3e800000, |v60|
	s_delay_alu instid0(VALU_DEP_1)
	v_cndmask_b32_e64 v61, 0, 1, s12
; %bb.276:
	s_or_b32 exec_lo, exec_lo, s11
.LBB14_277:
	s_delay_alu instid0(SALU_CYCLE_1)
	s_or_b32 exec_lo, exec_lo, s10
.LBB14_278:
	s_delay_alu instid0(SALU_CYCLE_1)
	s_or_b32 exec_lo, exec_lo, s9
.LBB14_279:
	s_delay_alu instid0(SALU_CYCLE_1)
	s_or_b32 exec_lo, exec_lo, s6
.LBB14_280:
	s_delay_alu instid0(SALU_CYCLE_1)
	s_or_b32 exec_lo, exec_lo, s3
.LBB14_281:
	s_delay_alu instid0(SALU_CYCLE_1) | instskip(SKIP_2) | instid1(VALU_DEP_1)
	s_or_b32 exec_lo, exec_lo, s2
	v_mul_f32_e32 v34, v11, v34
	s_mov_b32 s2, exec_lo
	v_cmpx_nle_f32_e64 0x40a00000, |v34|
	s_cbranch_execz .LBB14_293
; %bb.282:
	v_mov_b32_e32 v36, 6
	s_mov_b32 s3, exec_lo
	v_cmpx_nle_f32_e64 0x40600000, |v34|
	s_cbranch_execz .LBB14_292
; %bb.283:
	v_mov_b32_e32 v36, 5
	;; [unrolled: 5-line block ×5, first 2 shown]
	s_mov_b32 s11, exec_lo
	v_cmpx_nle_f32_e64 0x3f400000, |v34|
; %bb.287:
	v_cmp_le_f32_e64 s12, 0x3e800000, |v34|
	s_delay_alu instid0(VALU_DEP_1)
	v_cndmask_b32_e64 v36, 0, 1, s12
; %bb.288:
	s_or_b32 exec_lo, exec_lo, s11
.LBB14_289:
	s_delay_alu instid0(SALU_CYCLE_1)
	s_or_b32 exec_lo, exec_lo, s10
.LBB14_290:
	s_delay_alu instid0(SALU_CYCLE_1)
	s_or_b32 exec_lo, exec_lo, s9
.LBB14_291:
	s_delay_alu instid0(SALU_CYCLE_1)
	s_or_b32 exec_lo, exec_lo, s6
.LBB14_292:
	s_delay_alu instid0(SALU_CYCLE_1)
	s_or_b32 exec_lo, exec_lo, s3
.LBB14_293:
	s_delay_alu instid0(SALU_CYCLE_1) | instskip(SKIP_3) | instid1(VALU_DEP_2)
	s_or_b32 exec_lo, exec_lo, s2
	v_dual_mul_f32 v63, v11, v31 :: v_dual_mov_b32 v62, 7
	v_mov_b32_e32 v31, 7
	s_mov_b32 s2, exec_lo
	v_cmpx_nle_f32_e64 0x40a00000, |v63|
	s_cbranch_execz .LBB14_305
; %bb.294:
	v_mov_b32_e32 v62, 6
	s_mov_b32 s3, exec_lo
	v_cmpx_nle_f32_e64 0x40600000, |v63|
	s_cbranch_execz .LBB14_304
; %bb.295:
	v_mov_b32_e32 v62, 5
	s_mov_b32 s6, exec_lo
	v_cmpx_nle_f32_e64 0x40200000, |v63|
	s_cbranch_execz .LBB14_303
; %bb.296:
	v_mov_b32_e32 v62, 4
	s_mov_b32 s9, exec_lo
	v_cmpx_nle_f32_e64 0x3fe00000, |v63|
	s_cbranch_execz .LBB14_302
; %bb.297:
	v_mov_b32_e32 v62, 3
	s_mov_b32 s10, exec_lo
	v_cmpx_nle_f32_e64 0x3fa00000, |v63|
	s_cbranch_execz .LBB14_301
; %bb.298:
	v_mov_b32_e32 v62, 2
	s_mov_b32 s11, exec_lo
	v_cmpx_nle_f32_e64 0x3f400000, |v63|
; %bb.299:
	v_cmp_le_f32_e64 s12, 0x3e800000, |v63|
	s_delay_alu instid0(VALU_DEP_1)
	v_cndmask_b32_e64 v62, 0, 1, s12
; %bb.300:
	s_or_b32 exec_lo, exec_lo, s11
.LBB14_301:
	s_delay_alu instid0(SALU_CYCLE_1)
	s_or_b32 exec_lo, exec_lo, s10
.LBB14_302:
	s_delay_alu instid0(SALU_CYCLE_1)
	s_or_b32 exec_lo, exec_lo, s9
.LBB14_303:
	s_delay_alu instid0(SALU_CYCLE_1)
	s_or_b32 exec_lo, exec_lo, s6
.LBB14_304:
	s_delay_alu instid0(SALU_CYCLE_1)
	s_or_b32 exec_lo, exec_lo, s3
.LBB14_305:
	s_delay_alu instid0(SALU_CYCLE_1) | instskip(SKIP_2) | instid1(VALU_DEP_1)
	s_or_b32 exec_lo, exec_lo, s2
	v_mul_f32_e32 v28, v11, v28
	s_mov_b32 s2, exec_lo
	v_cmpx_nle_f32_e64 0x40a00000, |v28|
	s_cbranch_execz .LBB14_317
; %bb.306:
	v_mov_b32_e32 v31, 6
	s_mov_b32 s3, exec_lo
	v_cmpx_nle_f32_e64 0x40600000, |v28|
	s_cbranch_execz .LBB14_316
; %bb.307:
	v_mov_b32_e32 v31, 5
	;; [unrolled: 5-line block ×5, first 2 shown]
	s_mov_b32 s11, exec_lo
	v_cmpx_nle_f32_e64 0x3f400000, |v28|
; %bb.311:
	v_cmp_le_f32_e64 s12, 0x3e800000, |v28|
	s_delay_alu instid0(VALU_DEP_1)
	v_cndmask_b32_e64 v31, 0, 1, s12
; %bb.312:
	s_or_b32 exec_lo, exec_lo, s11
.LBB14_313:
	s_delay_alu instid0(SALU_CYCLE_1)
	s_or_b32 exec_lo, exec_lo, s10
.LBB14_314:
	s_delay_alu instid0(SALU_CYCLE_1)
	s_or_b32 exec_lo, exec_lo, s9
.LBB14_315:
	s_delay_alu instid0(SALU_CYCLE_1)
	s_or_b32 exec_lo, exec_lo, s6
.LBB14_316:
	s_delay_alu instid0(SALU_CYCLE_1)
	s_or_b32 exec_lo, exec_lo, s3
.LBB14_317:
	s_delay_alu instid0(SALU_CYCLE_1) | instskip(SKIP_3) | instid1(VALU_DEP_2)
	s_or_b32 exec_lo, exec_lo, s2
	v_dual_mul_f32 v65, v11, v26 :: v_dual_mov_b32 v26, 7
	v_mov_b32_e32 v64, 7
	s_mov_b32 s2, exec_lo
	v_cmpx_nle_f32_e64 0x40a00000, |v65|
	s_cbranch_execz .LBB14_329
; %bb.318:
	v_mov_b32_e32 v64, 6
	s_mov_b32 s3, exec_lo
	v_cmpx_nle_f32_e64 0x40600000, |v65|
	s_cbranch_execz .LBB14_328
; %bb.319:
	;; [unrolled: 5-line block ×5, first 2 shown]
	v_mov_b32_e32 v64, 2
	s_mov_b32 s11, exec_lo
	v_cmpx_nle_f32_e64 0x3f400000, |v65|
; %bb.323:
	v_cmp_le_f32_e64 s12, 0x3e800000, |v65|
	s_delay_alu instid0(VALU_DEP_1)
	v_cndmask_b32_e64 v64, 0, 1, s12
; %bb.324:
	s_or_b32 exec_lo, exec_lo, s11
.LBB14_325:
	s_delay_alu instid0(SALU_CYCLE_1)
	s_or_b32 exec_lo, exec_lo, s10
.LBB14_326:
	s_delay_alu instid0(SALU_CYCLE_1)
	s_or_b32 exec_lo, exec_lo, s9
.LBB14_327:
	s_delay_alu instid0(SALU_CYCLE_1)
	s_or_b32 exec_lo, exec_lo, s6
.LBB14_328:
	s_delay_alu instid0(SALU_CYCLE_1)
	s_or_b32 exec_lo, exec_lo, s3
.LBB14_329:
	s_delay_alu instid0(SALU_CYCLE_1) | instskip(SKIP_2) | instid1(VALU_DEP_1)
	s_or_b32 exec_lo, exec_lo, s2
	v_mul_f32_e32 v22, v11, v22
	s_mov_b32 s2, exec_lo
	v_cmpx_nle_f32_e64 0x40a00000, |v22|
	s_cbranch_execz .LBB14_341
; %bb.330:
	v_mov_b32_e32 v26, 6
	s_mov_b32 s3, exec_lo
	v_cmpx_nle_f32_e64 0x40600000, |v22|
	s_cbranch_execz .LBB14_340
; %bb.331:
	v_mov_b32_e32 v26, 5
	;; [unrolled: 5-line block ×5, first 2 shown]
	s_mov_b32 s11, exec_lo
	v_cmpx_nle_f32_e64 0x3f400000, |v22|
; %bb.335:
	v_cmp_le_f32_e64 s12, 0x3e800000, |v22|
	s_delay_alu instid0(VALU_DEP_1)
	v_cndmask_b32_e64 v26, 0, 1, s12
; %bb.336:
	s_or_b32 exec_lo, exec_lo, s11
.LBB14_337:
	s_delay_alu instid0(SALU_CYCLE_1)
	s_or_b32 exec_lo, exec_lo, s10
.LBB14_338:
	s_delay_alu instid0(SALU_CYCLE_1)
	s_or_b32 exec_lo, exec_lo, s9
.LBB14_339:
	s_delay_alu instid0(SALU_CYCLE_1)
	s_or_b32 exec_lo, exec_lo, s6
.LBB14_340:
	s_delay_alu instid0(SALU_CYCLE_1)
	s_or_b32 exec_lo, exec_lo, s3
.LBB14_341:
	s_delay_alu instid0(SALU_CYCLE_1) | instskip(SKIP_3) | instid1(VALU_DEP_2)
	s_or_b32 exec_lo, exec_lo, s2
	v_dual_mul_f32 v67, v11, v20 :: v_dual_mov_b32 v20, 7
	v_mov_b32_e32 v66, 7
	s_mov_b32 s2, exec_lo
	v_cmpx_nle_f32_e64 0x40a00000, |v67|
	s_cbranch_execz .LBB14_353
; %bb.342:
	v_mov_b32_e32 v66, 6
	s_mov_b32 s3, exec_lo
	v_cmpx_nle_f32_e64 0x40600000, |v67|
	s_cbranch_execz .LBB14_352
; %bb.343:
	;; [unrolled: 5-line block ×5, first 2 shown]
	v_mov_b32_e32 v66, 2
	s_mov_b32 s11, exec_lo
	v_cmpx_nle_f32_e64 0x3f400000, |v67|
; %bb.347:
	v_cmp_le_f32_e64 s12, 0x3e800000, |v67|
	s_delay_alu instid0(VALU_DEP_1)
	v_cndmask_b32_e64 v66, 0, 1, s12
; %bb.348:
	s_or_b32 exec_lo, exec_lo, s11
.LBB14_349:
	s_delay_alu instid0(SALU_CYCLE_1)
	s_or_b32 exec_lo, exec_lo, s10
.LBB14_350:
	s_delay_alu instid0(SALU_CYCLE_1)
	s_or_b32 exec_lo, exec_lo, s9
.LBB14_351:
	s_delay_alu instid0(SALU_CYCLE_1)
	s_or_b32 exec_lo, exec_lo, s6
.LBB14_352:
	s_delay_alu instid0(SALU_CYCLE_1)
	s_or_b32 exec_lo, exec_lo, s3
.LBB14_353:
	s_delay_alu instid0(SALU_CYCLE_1) | instskip(SKIP_2) | instid1(VALU_DEP_1)
	s_or_b32 exec_lo, exec_lo, s2
	v_mul_f32_e32 v16, v11, v16
	s_mov_b32 s2, exec_lo
	v_cmpx_nle_f32_e64 0x40a00000, |v16|
	s_cbranch_execz .LBB14_365
; %bb.354:
	v_mov_b32_e32 v20, 6
	s_mov_b32 s3, exec_lo
	v_cmpx_nle_f32_e64 0x40600000, |v16|
	s_cbranch_execz .LBB14_364
; %bb.355:
	v_mov_b32_e32 v20, 5
	;; [unrolled: 5-line block ×5, first 2 shown]
	s_mov_b32 s11, exec_lo
	v_cmpx_nle_f32_e64 0x3f400000, |v16|
; %bb.359:
	v_cmp_le_f32_e64 s12, 0x3e800000, |v16|
	s_delay_alu instid0(VALU_DEP_1)
	v_cndmask_b32_e64 v20, 0, 1, s12
; %bb.360:
	s_or_b32 exec_lo, exec_lo, s11
.LBB14_361:
	s_delay_alu instid0(SALU_CYCLE_1)
	s_or_b32 exec_lo, exec_lo, s10
.LBB14_362:
	s_delay_alu instid0(SALU_CYCLE_1)
	s_or_b32 exec_lo, exec_lo, s9
.LBB14_363:
	s_delay_alu instid0(SALU_CYCLE_1)
	s_or_b32 exec_lo, exec_lo, s6
.LBB14_364:
	s_delay_alu instid0(SALU_CYCLE_1)
	s_or_b32 exec_lo, exec_lo, s3
.LBB14_365:
	s_delay_alu instid0(SALU_CYCLE_1) | instskip(SKIP_3) | instid1(VALU_DEP_2)
	s_or_b32 exec_lo, exec_lo, s2
	v_dual_mul_f32 v69, v11, v14 :: v_dual_mov_b32 v14, 7
	v_mov_b32_e32 v68, 7
	s_mov_b32 s2, exec_lo
	v_cmpx_nle_f32_e64 0x40a00000, |v69|
	s_cbranch_execz .LBB14_377
; %bb.366:
	v_mov_b32_e32 v68, 6
	s_mov_b32 s3, exec_lo
	v_cmpx_nle_f32_e64 0x40600000, |v69|
	s_cbranch_execz .LBB14_376
; %bb.367:
	;; [unrolled: 5-line block ×5, first 2 shown]
	v_mov_b32_e32 v68, 2
	s_mov_b32 s11, exec_lo
	v_cmpx_nle_f32_e64 0x3f400000, |v69|
; %bb.371:
	v_cmp_le_f32_e64 s12, 0x3e800000, |v69|
	s_delay_alu instid0(VALU_DEP_1)
	v_cndmask_b32_e64 v68, 0, 1, s12
; %bb.372:
	s_or_b32 exec_lo, exec_lo, s11
.LBB14_373:
	s_delay_alu instid0(SALU_CYCLE_1)
	s_or_b32 exec_lo, exec_lo, s10
.LBB14_374:
	s_delay_alu instid0(SALU_CYCLE_1)
	s_or_b32 exec_lo, exec_lo, s9
.LBB14_375:
	s_delay_alu instid0(SALU_CYCLE_1)
	s_or_b32 exec_lo, exec_lo, s6
.LBB14_376:
	s_delay_alu instid0(SALU_CYCLE_1)
	s_or_b32 exec_lo, exec_lo, s3
.LBB14_377:
	s_delay_alu instid0(SALU_CYCLE_1) | instskip(SKIP_3) | instid1(VALU_DEP_1)
	s_or_b32 exec_lo, exec_lo, s2
	s_load_b64 s[2:3], s[0:1], 0x8
	v_mul_f32_e32 v9, v11, v9
	s_mov_b32 s6, exec_lo
	v_cmpx_nle_f32_e64 0x40a00000, |v9|
	s_cbranch_execz .LBB14_389
; %bb.378:
	v_mov_b32_e32 v14, 6
	s_mov_b32 s9, exec_lo
	v_cmpx_nle_f32_e64 0x40600000, |v9|
	s_cbranch_execz .LBB14_388
; %bb.379:
	v_mov_b32_e32 v14, 5
	;; [unrolled: 5-line block ×5, first 2 shown]
	s_mov_b32 s13, exec_lo
	v_cmpx_nle_f32_e64 0x3f400000, |v9|
; %bb.383:
	v_cmp_le_f32_e64 s14, 0x3e800000, |v9|
	s_delay_alu instid0(VALU_DEP_1)
	v_cndmask_b32_e64 v14, 0, 1, s14
; %bb.384:
	s_or_b32 exec_lo, exec_lo, s13
.LBB14_385:
	s_delay_alu instid0(SALU_CYCLE_1)
	s_or_b32 exec_lo, exec_lo, s12
.LBB14_386:
	s_delay_alu instid0(SALU_CYCLE_1)
	s_or_b32 exec_lo, exec_lo, s11
.LBB14_387:
	s_delay_alu instid0(SALU_CYCLE_1)
	s_or_b32 exec_lo, exec_lo, s10
.LBB14_388:
	s_delay_alu instid0(SALU_CYCLE_1)
	s_or_b32 exec_lo, exec_lo, s9
.LBB14_389:
	s_delay_alu instid0(SALU_CYCLE_1)
	s_or_b32 exec_lo, exec_lo, s6
	v_cmp_gt_f32_e32 vcc_lo, 0, v69
	v_lshlrev_b16 v7, 4, v7
	v_lshlrev_b16 v10, 4, v10
	;; [unrolled: 1-line block ×4, first 2 shown]
	v_cndmask_b32_e64 v11, 0, 1, vcc_lo
	v_cmp_gt_f32_e32 vcc_lo, 0, v67
	s_lshr_b32 s6, s4, 31
	s_load_b64 s[0:1], s[0:1], 0x10
	s_add_i32 s4, s4, s6
	v_lshlrev_b16 v11, 3, v11
	v_cndmask_b32_e64 v67, 0, 1, vcc_lo
	v_cmp_gt_f32_e32 vcc_lo, 0, v65
	s_ashr_i32 s4, s4, 1
	s_delay_alu instid0(SALU_CYCLE_1) | instskip(NEXT) | instid1(VALU_DEP_2)
	s_ashr_i32 s6, s4, 31
	v_lshlrev_b16 v67, 3, v67
	v_cndmask_b32_e64 v65, 0, 1, vcc_lo
	v_cmp_gt_f32_e32 vcc_lo, 0, v63
	v_or_b32_e32 v11, v11, v68
	v_mul_lo_u32 v1, v1, s4
	v_or_b32_e32 v66, v67, v66
	v_lshlrev_b16 v65, 3, v65
	v_cndmask_b32_e64 v63, 0, 1, vcc_lo
	v_cmp_gt_f32_e32 vcc_lo, 0, v60
	s_delay_alu instid0(VALU_DEP_3) | instskip(NEXT) | instid1(VALU_DEP_3)
	v_or_b32_e32 v64, v65, v64
	v_lshlrev_b16 v63, 3, v63
	v_cndmask_b32_e64 v60, 0, 1, vcc_lo
	v_cmp_gt_f32_e32 vcc_lo, 0, v59
	s_delay_alu instid0(VALU_DEP_3) | instskip(NEXT) | instid1(VALU_DEP_3)
	;; [unrolled: 5-line block ×11, first 2 shown]
	v_or_b32_e32 v12, v12, v13
	v_lshlrev_b16 v25, 3, v25
	v_cndmask_b32_e64 v19, 0, 1, vcc_lo
	v_cmp_gt_f32_e32 vcc_lo, 0, v6
	s_delay_alu instid0(VALU_DEP_2) | instskip(SKIP_2) | instid1(VALU_DEP_2)
	v_lshlrev_b16 v19, 3, v19
	v_cndmask_b32_e64 v6, 0, 1, vcc_lo
	v_cmp_gt_f32_e32 vcc_lo, 0, v8
	v_lshlrev_b16 v6, 3, v6
	v_cndmask_b32_e64 v8, 0, 1, vcc_lo
	v_cmp_gt_f32_e32 vcc_lo, 0, v15
	s_delay_alu instid0(VALU_DEP_3) | instskip(NEXT) | instid1(VALU_DEP_3)
	v_or_b32_e32 v5, v6, v5
	v_lshlrev_b16 v8, 7, v8
	v_cndmask_b32_e64 v13, 0, 1, vcc_lo
	v_cmp_gt_f32_e32 vcc_lo, 0, v21
	s_delay_alu instid0(VALU_DEP_3) | instskip(NEXT) | instid1(VALU_DEP_3)
	v_or_b32_e32 v6, v8, v7
	v_lshlrev_b16 v13, 7, v13
	v_cndmask_b32_e64 v15, 0, 1, vcc_lo
	v_lshlrev_b16 v8, 4, v18
	v_cmp_gt_f32_e32 vcc_lo, 0, v27
	v_or_b32_e32 v5, v6, v5
	v_or_b32_e32 v7, v13, v10
	v_lshlrev_b16 v10, 7, v15
	v_or_b32_e32 v15, v19, v17
	v_lshlrev_b16 v18, 4, v29
	v_lshlrev_b16 v19, 4, v35
	v_or_b32_e32 v6, v7, v12
	v_or_b32_e32 v7, v10, v8
	v_cndmask_b32_e64 v10, 0, 1, vcc_lo
	v_cmp_gt_f32_e32 vcc_lo, 0, v33
	v_lshlrev_b16 v8, 4, v23
	v_or_b32_e32 v13, v25, v24
	v_or_b32_e32 v7, v7, v15
	v_lshlrev_b16 v10, 7, v10
	v_cndmask_b32_e64 v12, 0, 1, vcc_lo
	v_cmp_gt_f32_e32 vcc_lo, 0, v39
	v_lshlrev_b16 v23, 4, v48
	v_lshlrev_b16 v24, 4, v42
	v_or_b32_e32 v8, v10, v8
	v_lshlrev_b16 v12, 7, v12
	v_cndmask_b32_e64 v17, 0, 1, vcc_lo
	v_cmp_gt_f32_e32 vcc_lo, 0, v43
	v_lshlrev_b16 v25, 4, v46
	v_or_b32_e32 v13, v8, v13
	v_or_b32_e32 v10, v12, v18
	v_lshlrev_b16 v17, 7, v17
	v_cndmask_b32_e64 v21, 0, 1, vcc_lo
	v_cmp_gt_f32_e32 vcc_lo, 0, v49
	v_lshlrev_b16 v6, 8, v6
	v_or_b32_e32 v10, v10, v30
	v_or_b32_e32 v12, v17, v19
	v_lshlrev_b16 v17, 4, v41
	v_lshlrev_b16 v18, 7, v21
	v_cndmask_b32_e64 v15, 0, 1, vcc_lo
	v_cmp_gt_f32_e32 vcc_lo, 0, v52
	v_or_b32_e32 v12, v12, v37
	v_lshlrev_b16 v13, 8, v13
	v_or_b32_e32 v8, v18, v17
	v_lshlrev_b16 v17, 4, v53
	v_cndmask_b32_e64 v18, 0, 1, vcc_lo
	v_cmp_gt_f32_e32 vcc_lo, 0, v47
	v_lshlrev_b16 v15, 7, v15
	v_or_b32_e32 v5, v5, v6
	v_or_b32_e32 v6, v7, v13
	v_lshlrev_b16 v18, 7, v18
	v_cndmask_b32_e64 v19, 0, 1, vcc_lo
	v_cmp_gt_f32_e32 vcc_lo, 0, v40
	v_mul_lo_u32 v13, v0, s6
	v_and_b32_e32 v5, 0xffff, v5
	v_or_b32_e32 v17, v18, v17
	v_lshlrev_b16 v19, 7, v19
	v_cndmask_b32_e64 v21, 0, 1, vcc_lo
	v_cmp_gt_f32_e32 vcc_lo, 0, v22
	s_delay_alu instid0(VALU_DEP_3) | instskip(NEXT) | instid1(VALU_DEP_3)
	v_or_b32_e32 v18, v19, v23
	v_lshlrev_b16 v21, 7, v21
	v_cndmask_b32_e64 v22, 0, 1, vcc_lo
	v_cmp_gt_f32_e32 vcc_lo, 0, v28
	v_lshlrev_b16 v23, 4, v31
	s_delay_alu instid0(VALU_DEP_4)
	v_or_b32_e32 v19, v21, v24
	v_or_b32_e32 v21, v8, v44
	v_cndmask_b32_e64 v24, 0, 1, vcc_lo
	v_cmp_gt_f32_e32 vcc_lo, 0, v9
	v_or_b32_e32 v8, v15, v25
	v_lshlrev_b16 v25, 4, v26
	v_lshlrev_b16 v22, 7, v22
	;; [unrolled: 1-line block ×3, first 2 shown]
	v_cndmask_b32_e64 v9, 0, 1, vcc_lo
	v_cmp_gt_f32_e32 vcc_lo, 0, v16
	v_or_b32_e32 v15, v17, v54
	v_or_b32_e32 v22, v22, v25
	;; [unrolled: 1-line block ×3, first 2 shown]
	v_lshlrev_b16 v9, 7, v9
	v_cndmask_b32_e64 v16, 0, 1, vcc_lo
	v_cmp_gt_f32_e32 vcc_lo, 0, v34
	v_or_b32_e32 v18, v19, v58
	v_lshlrev_b16 v19, 4, v36
	v_or_b32_e32 v9, v9, v14
	v_lshlrev_b16 v16, 7, v16
	v_cndmask_b32_e64 v14, 0, 1, vcc_lo
	v_or_b32_e32 v23, v24, v23
	s_delay_alu instid0(VALU_DEP_4) | instskip(NEXT) | instid1(VALU_DEP_4)
	v_or_b32_e32 v9, v9, v11
	v_or_b32_e32 v16, v16, v20
	;; [unrolled: 1-line block ×3, first 2 shown]
	v_lshlrev_b16 v11, 7, v14
	v_or_b32_e32 v14, v23, v62
	v_lshlrev_b16 v9, 8, v9
	v_or_b32_e32 v16, v16, v66
	;; [unrolled: 2-line block ×3, first 2 shown]
	s_delay_alu instid0(VALU_DEP_3) | instskip(NEXT) | instid1(VALU_DEP_3)
	v_or_b32_e32 v9, v16, v9
	v_or_b32_e32 v14, v14, v20
	s_delay_alu instid0(VALU_DEP_3) | instskip(SKIP_1) | instid1(VALU_DEP_4)
	v_or_b32_e32 v11, v11, v60
	v_lshlrev_b16 v16, 8, v17
	v_lshlrev_b32_e32 v9, 16, v9
	s_delay_alu instid0(VALU_DEP_4) | instskip(NEXT) | instid1(VALU_DEP_4)
	v_and_b32_e32 v14, 0xffff, v14
	v_lshlrev_b16 v11, 8, v11
	s_delay_alu instid0(VALU_DEP_4) | instskip(SKIP_1) | instid1(VALU_DEP_4)
	v_or_b32_e32 v15, v15, v16
	v_or_b32_e32 v16, v8, v50
	;; [unrolled: 1-line block ×3, first 2 shown]
	s_delay_alu instid0(VALU_DEP_4) | instskip(SKIP_1) | instid1(VALU_DEP_4)
	v_or_b32_e32 v9, v18, v11
	v_lshlrev_b16 v11, 8, v12
	v_lshlrev_b16 v12, 8, v16
	v_and_b32_e32 v14, 0xffff, v15
	v_lshlrev_b32_e32 v16, 16, v6
	v_lshlrev_b32_e32 v15, 16, v9
	v_or_b32_e32 v11, v10, v11
	s_waitcnt lgkmcnt(0)
	v_mad_u64_u32 v[9:10], null, v0, s4, s[2:3]
	v_or_b32_e32 v12, v21, v12
	v_or_b32_e32 v7, v14, v15
	v_lshlrev_b32_e32 v14, 4, v4
	v_and_b32_e32 v11, 0xffff, v11
	v_or_b32_e32 v5, v5, v16
	v_lshlrev_b32_e32 v12, 16, v12
	v_add3_u32 v1, v1, v10, v13
	v_add_co_u32 v9, vcc_lo, v9, v14
	s_and_b32 s2, s7, 1
	s_delay_alu instid0(VALU_DEP_3) | instskip(NEXT) | instid1(VALU_DEP_3)
	v_or_b32_e32 v6, v11, v12
	v_add_co_ci_u32_e32 v10, vcc_lo, 0, v1, vcc_lo
	s_cmp_eq_u32 s2, 0
	s_mov_b32 s2, 0
	global_store_b128 v[9:10], v[5:8], off
	s_cbranch_scc0 .LBB14_391
; %bb.390:
	v_ashrrev_i32_e32 v1, 31, v0
	s_delay_alu instid0(VALU_DEP_1) | instskip(NEXT) | instid1(VALU_DEP_1)
	v_lshrrev_b32_e32 v1, 27, v1
	v_add_nc_u32_e32 v1, v0, v1
	s_delay_alu instid0(VALU_DEP_1) | instskip(NEXT) | instid1(VALU_DEP_1)
	v_and_b32_e32 v5, 0xffe0, v1
	v_sub_nc_u32_e32 v5, v0, v5
	s_delay_alu instid0(VALU_DEP_1) | instskip(NEXT) | instid1(VALU_DEP_1)
	v_bfe_i32 v6, v5, 0, 8
	v_lshrrev_b16 v6, 11, v6
	s_delay_alu instid0(VALU_DEP_1) | instskip(NEXT) | instid1(VALU_DEP_1)
	v_and_b32_e32 v6, 15, v6
	v_add_nc_u16 v5, v5, v6
	s_delay_alu instid0(VALU_DEP_1) | instskip(NEXT) | instid1(VALU_DEP_1)
	v_bfe_i32 v5, v5, 0, 8
	v_ashrrev_i16 v6, 4, v5
	v_ashrrev_i32_e32 v5, 5, v1
	s_delay_alu instid0(VALU_DEP_2)
	v_bfe_i32 v1, v6, 0, 16
	s_and_not1_b32 vcc_lo, exec_lo, s2
	s_cbranch_vccz .LBB14_392
	s_branch .LBB14_393
.LBB14_391:
                                        ; implicit-def: $vgpr5
                                        ; implicit-def: $vgpr1
.LBB14_392:
	s_lshr_b32 s2, s8, 31
	v_sub_nc_u32_e32 v6, 0, v0
	s_add_i32 s2, s8, s2
	s_delay_alu instid0(SALU_CYCLE_1) | instskip(NEXT) | instid1(VALU_DEP_1)
	s_ashr_i32 s2, s2, 1
	v_max_i32_e32 v6, v0, v6
	s_abs_i32 s3, s2
	s_delay_alu instid0(SALU_CYCLE_1) | instskip(SKIP_1) | instid1(VALU_DEP_1)
	v_cvt_f32_u32_e32 v1, s3
	s_sub_i32 s4, 0, s3
	v_rcp_iflag_f32_e32 v1, v1
	s_waitcnt_depctr 0xfff
	v_mul_f32_e32 v1, 0x4f7ffffe, v1
	s_delay_alu instid0(VALU_DEP_1) | instskip(NEXT) | instid1(VALU_DEP_1)
	v_cvt_u32_f32_e32 v1, v1
	v_mul_lo_u32 v5, s4, v1
	s_delay_alu instid0(VALU_DEP_1) | instskip(NEXT) | instid1(VALU_DEP_1)
	v_mul_hi_u32 v5, v1, v5
	v_add_nc_u32_e32 v1, v1, v5
	s_delay_alu instid0(VALU_DEP_1) | instskip(NEXT) | instid1(VALU_DEP_1)
	v_mul_hi_u32 v1, v6, v1
	v_mul_lo_u32 v5, v1, s3
	s_delay_alu instid0(VALU_DEP_1) | instskip(NEXT) | instid1(VALU_DEP_1)
	v_sub_nc_u32_e32 v5, v6, v5
	v_subrev_nc_u32_e32 v7, s3, v5
	v_cmp_le_u32_e32 vcc_lo, s3, v5
	s_delay_alu instid0(VALU_DEP_2) | instskip(NEXT) | instid1(VALU_DEP_1)
	v_dual_cndmask_b32 v5, v5, v7 :: v_dual_add_nc_u32 v6, 1, v1
	v_cndmask_b32_e32 v1, v1, v6, vcc_lo
	v_xor_b32_e32 v6, s2, v0
	s_delay_alu instid0(VALU_DEP_3) | instskip(NEXT) | instid1(VALU_DEP_3)
	v_cmp_le_u32_e32 vcc_lo, s3, v5
	v_add_nc_u32_e32 v7, 1, v1
	s_delay_alu instid0(VALU_DEP_3) | instskip(NEXT) | instid1(VALU_DEP_2)
	v_ashrrev_i32_e32 v6, 31, v6
	v_cndmask_b32_e32 v1, v1, v7, vcc_lo
	s_delay_alu instid0(VALU_DEP_1) | instskip(NEXT) | instid1(VALU_DEP_1)
	v_xor_b32_e32 v1, v1, v6
	v_sub_nc_u32_e32 v1, v1, v6
	s_delay_alu instid0(VALU_DEP_1) | instskip(NEXT) | instid1(VALU_DEP_1)
	v_mul_lo_u32 v5, v1, s2
	v_sub_nc_u32_e32 v0, v0, v5
	s_delay_alu instid0(VALU_DEP_1) | instskip(NEXT) | instid1(VALU_DEP_1)
	v_ashrrev_i32_e32 v5, 31, v0
	v_lshrrev_b32_e32 v5, 28, v5
	s_delay_alu instid0(VALU_DEP_1) | instskip(NEXT) | instid1(VALU_DEP_1)
	v_add_nc_u32_e32 v5, v0, v5
	v_ashrrev_i32_e32 v5, 4, v5
.LBB14_393:
	v_ashrrev_i32_e32 v6, 31, v0
	v_lshlrev_b32_e32 v7, 6, v4
	v_lshrrev_b32_e32 v4, 1, v4
	v_and_b32_e32 v2, 0x7fffff00, v2
	s_lshl_b32 s2, s5, 5
	v_lshrrev_b32_e32 v6, 28, v6
	v_and_b32_e32 v7, 0xc0, v7
	v_and_b32_e32 v4, 2, v4
	s_and_b32 s2, s2, 0x7fffff00
	s_delay_alu instid0(VALU_DEP_3) | instskip(NEXT) | instid1(VALU_DEP_2)
	v_add_nc_u32_e32 v6, v0, v6
	v_or3_b32 v2, v7, v2, v4
	v_mul_lo_u32 v4, v5, s2
	s_delay_alu instid0(VALU_DEP_3) | instskip(NEXT) | instid1(VALU_DEP_3)
	v_and_b32_e32 v6, 0x3ffffff0, v6
	v_add_nc_u32_e32 v1, v2, v1
	v_lshrrev_b32_e32 v2, 23, v3
	s_delay_alu instid0(VALU_DEP_3) | instskip(NEXT) | instid1(VALU_DEP_1)
	v_sub_nc_u32_e32 v0, v0, v6
	v_lshlrev_b32_e32 v0, 2, v0
	s_delay_alu instid0(VALU_DEP_1) | instskip(NEXT) | instid1(VALU_DEP_1)
	v_add3_u32 v0, v1, v0, v4
	v_ashrrev_i32_e32 v1, 31, v0
	v_add_co_u32 v0, vcc_lo, s0, v0
	s_delay_alu instid0(VALU_DEP_2)
	v_add_co_ci_u32_e32 v1, vcc_lo, s1, v1, vcc_lo
	global_store_b8 v[0:1], v2, off
.LBB14_394:
	s_nop 0
	s_sendmsg sendmsg(MSG_DEALLOC_VGPRS)
	s_endpgm
	.section	.rodata,"a",@progbits
	.p2align	6, 0x0
	.amdhsa_kernel _ZN5aiter18quant_mxfp4_kernelI6__halfLNS_16MxScaleRoundModeE2ELb0ELb1ELb0EEEvPKT_PhPfliiib
		.amdhsa_group_segment_fixed_size 0
		.amdhsa_private_segment_fixed_size 0
		.amdhsa_kernarg_size 304
		.amdhsa_user_sgpr_count 15
		.amdhsa_user_sgpr_dispatch_ptr 0
		.amdhsa_user_sgpr_queue_ptr 0
		.amdhsa_user_sgpr_kernarg_segment_ptr 1
		.amdhsa_user_sgpr_dispatch_id 0
		.amdhsa_user_sgpr_private_segment_size 0
		.amdhsa_wavefront_size32 1
		.amdhsa_uses_dynamic_stack 0
		.amdhsa_enable_private_segment 0
		.amdhsa_system_sgpr_workgroup_id_x 1
		.amdhsa_system_sgpr_workgroup_id_y 0
		.amdhsa_system_sgpr_workgroup_id_z 0
		.amdhsa_system_sgpr_workgroup_info 0
		.amdhsa_system_vgpr_workitem_id 0
		.amdhsa_next_free_vgpr 70
		.amdhsa_next_free_sgpr 16
		.amdhsa_reserve_vcc 1
		.amdhsa_float_round_mode_32 0
		.amdhsa_float_round_mode_16_64 0
		.amdhsa_float_denorm_mode_32 3
		.amdhsa_float_denorm_mode_16_64 3
		.amdhsa_dx10_clamp 1
		.amdhsa_ieee_mode 1
		.amdhsa_fp16_overflow 0
		.amdhsa_workgroup_processor_mode 1
		.amdhsa_memory_ordered 1
		.amdhsa_forward_progress 0
		.amdhsa_shared_vgpr_count 0
		.amdhsa_exception_fp_ieee_invalid_op 0
		.amdhsa_exception_fp_denorm_src 0
		.amdhsa_exception_fp_ieee_div_zero 0
		.amdhsa_exception_fp_ieee_overflow 0
		.amdhsa_exception_fp_ieee_underflow 0
		.amdhsa_exception_fp_ieee_inexact 0
		.amdhsa_exception_int_div_zero 0
	.end_amdhsa_kernel
	.section	.text._ZN5aiter18quant_mxfp4_kernelI6__halfLNS_16MxScaleRoundModeE2ELb0ELb1ELb0EEEvPKT_PhPfliiib,"axG",@progbits,_ZN5aiter18quant_mxfp4_kernelI6__halfLNS_16MxScaleRoundModeE2ELb0ELb1ELb0EEEvPKT_PhPfliiib,comdat
.Lfunc_end14:
	.size	_ZN5aiter18quant_mxfp4_kernelI6__halfLNS_16MxScaleRoundModeE2ELb0ELb1ELb0EEEvPKT_PhPfliiib, .Lfunc_end14-_ZN5aiter18quant_mxfp4_kernelI6__halfLNS_16MxScaleRoundModeE2ELb0ELb1ELb0EEEvPKT_PhPfliiib
                                        ; -- End function
	.section	.AMDGPU.csdata,"",@progbits
; Kernel info:
; codeLenInByte = 10488
; NumSgprs: 18
; NumVgprs: 70
; ScratchSize: 0
; MemoryBound: 0
; FloatMode: 240
; IeeeMode: 1
; LDSByteSize: 0 bytes/workgroup (compile time only)
; SGPRBlocks: 2
; VGPRBlocks: 8
; NumSGPRsForWavesPerEU: 18
; NumVGPRsForWavesPerEU: 70
; Occupancy: 16
; WaveLimiterHint : 0
; COMPUTE_PGM_RSRC2:SCRATCH_EN: 0
; COMPUTE_PGM_RSRC2:USER_SGPR: 15
; COMPUTE_PGM_RSRC2:TRAP_HANDLER: 0
; COMPUTE_PGM_RSRC2:TGID_X_EN: 1
; COMPUTE_PGM_RSRC2:TGID_Y_EN: 0
; COMPUTE_PGM_RSRC2:TGID_Z_EN: 0
; COMPUTE_PGM_RSRC2:TIDIG_COMP_CNT: 0
	.section	.text._ZN5aiter18quant_mxfp4_kernelI6__halfLNS_16MxScaleRoundModeE2ELb0ELb0ELb0EEEvPKT_PhPfliiib,"axG",@progbits,_ZN5aiter18quant_mxfp4_kernelI6__halfLNS_16MxScaleRoundModeE2ELb0ELb0ELb0EEEvPKT_PhPfliiib,comdat
	.protected	_ZN5aiter18quant_mxfp4_kernelI6__halfLNS_16MxScaleRoundModeE2ELb0ELb0ELb0EEEvPKT_PhPfliiib ; -- Begin function _ZN5aiter18quant_mxfp4_kernelI6__halfLNS_16MxScaleRoundModeE2ELb0ELb0ELb0EEEvPKT_PhPfliiib
	.globl	_ZN5aiter18quant_mxfp4_kernelI6__halfLNS_16MxScaleRoundModeE2ELb0ELb0ELb0EEEvPKT_PhPfliiib
	.p2align	8
	.type	_ZN5aiter18quant_mxfp4_kernelI6__halfLNS_16MxScaleRoundModeE2ELb0ELb0ELb0EEEvPKT_PhPfliiib,@function
_ZN5aiter18quant_mxfp4_kernelI6__halfLNS_16MxScaleRoundModeE2ELb0ELb0ELb0EEEvPKT_PhPfliiib: ; @_ZN5aiter18quant_mxfp4_kernelI6__halfLNS_16MxScaleRoundModeE2ELb0ELb0ELb0EEEvPKT_PhPfliiib
; %bb.0:
	s_clause 0x1
	s_load_b32 s2, s[0:1], 0x3c
	s_load_b128 s[4:7], s[0:1], 0x20
	v_mov_b32_e32 v1, 0
	s_mov_b32 s3, exec_lo
	s_delay_alu instid0(VALU_DEP_1) | instskip(SKIP_2) | instid1(SALU_CYCLE_1)
	v_mov_b32_e32 v4, v1
	s_waitcnt lgkmcnt(0)
	s_and_b32 s2, s2, 0xffff
	v_mad_u64_u32 v[2:3], null, s2, s15, v[0:1]
	s_ashr_i32 s2, s6, 31
                                        ; implicit-def: $vgpr0_vgpr1
	s_delay_alu instid0(VALU_DEP_1) | instid1(SALU_CYCLE_1)
	v_or_b32_e32 v5, s2, v3
	s_delay_alu instid0(VALU_DEP_1)
	v_cmpx_ne_u64_e32 0, v[4:5]
	s_xor_b32 s3, exec_lo, s3
	s_cbranch_execz .LBB15_2
; %bb.1:
	s_add_u32 s10, s6, s2
	s_mov_b32 s8, s2
	s_mov_b32 s9, s2
	s_addc_u32 s11, s2, s2
	s_delay_alu instid0(SALU_CYCLE_1) | instskip(NEXT) | instid1(SALU_CYCLE_1)
	s_xor_b64 s[10:11], s[10:11], s[8:9]
	v_cvt_f32_u32_e32 v0, s10
	v_cvt_f32_u32_e32 v1, s11
	s_sub_u32 s2, 0, s10
	s_subb_u32 s7, 0, s11
	s_delay_alu instid0(VALU_DEP_1) | instskip(NEXT) | instid1(VALU_DEP_1)
	v_fmamk_f32 v0, v1, 0x4f800000, v0
	v_rcp_f32_e32 v0, v0
	s_waitcnt_depctr 0xfff
	v_mul_f32_e32 v0, 0x5f7ffffc, v0
	s_delay_alu instid0(VALU_DEP_1) | instskip(NEXT) | instid1(VALU_DEP_1)
	v_mul_f32_e32 v1, 0x2f800000, v0
	v_trunc_f32_e32 v1, v1
	s_delay_alu instid0(VALU_DEP_1) | instskip(SKIP_1) | instid1(VALU_DEP_2)
	v_fmamk_f32 v0, v1, 0xcf800000, v0
	v_cvt_u32_f32_e32 v1, v1
	v_cvt_u32_f32_e32 v0, v0
	s_delay_alu instid0(VALU_DEP_2) | instskip(NEXT) | instid1(VALU_DEP_2)
	v_mul_lo_u32 v4, s2, v1
	v_mul_hi_u32 v5, s2, v0
	v_mul_lo_u32 v6, s7, v0
	s_delay_alu instid0(VALU_DEP_2) | instskip(SKIP_1) | instid1(VALU_DEP_2)
	v_add_nc_u32_e32 v4, v5, v4
	v_mul_lo_u32 v5, s2, v0
	v_add_nc_u32_e32 v4, v4, v6
	s_delay_alu instid0(VALU_DEP_2) | instskip(NEXT) | instid1(VALU_DEP_2)
	v_mul_hi_u32 v6, v0, v5
	v_mul_lo_u32 v7, v0, v4
	v_mul_hi_u32 v8, v0, v4
	v_mul_hi_u32 v9, v1, v5
	v_mul_lo_u32 v5, v1, v5
	v_mul_hi_u32 v10, v1, v4
	v_mul_lo_u32 v4, v1, v4
	v_add_co_u32 v6, vcc_lo, v6, v7
	v_add_co_ci_u32_e32 v7, vcc_lo, 0, v8, vcc_lo
	s_delay_alu instid0(VALU_DEP_2) | instskip(NEXT) | instid1(VALU_DEP_2)
	v_add_co_u32 v5, vcc_lo, v6, v5
	v_add_co_ci_u32_e32 v5, vcc_lo, v7, v9, vcc_lo
	v_add_co_ci_u32_e32 v6, vcc_lo, 0, v10, vcc_lo
	v_ashrrev_i32_e32 v9, 31, v3
	s_delay_alu instid0(VALU_DEP_3) | instskip(NEXT) | instid1(VALU_DEP_3)
	v_add_co_u32 v4, vcc_lo, v5, v4
	v_add_co_ci_u32_e32 v5, vcc_lo, 0, v6, vcc_lo
	s_delay_alu instid0(VALU_DEP_2) | instskip(NEXT) | instid1(VALU_DEP_2)
	v_add_co_u32 v0, vcc_lo, v0, v4
	v_add_co_ci_u32_e32 v1, vcc_lo, v1, v5, vcc_lo
	s_delay_alu instid0(VALU_DEP_2) | instskip(SKIP_1) | instid1(VALU_DEP_3)
	v_mul_hi_u32 v4, s2, v0
	v_mul_lo_u32 v6, s7, v0
	v_mul_lo_u32 v5, s2, v1
	s_delay_alu instid0(VALU_DEP_1) | instskip(SKIP_1) | instid1(VALU_DEP_2)
	v_add_nc_u32_e32 v4, v4, v5
	v_mul_lo_u32 v5, s2, v0
	v_add_nc_u32_e32 v4, v4, v6
	s_delay_alu instid0(VALU_DEP_2) | instskip(NEXT) | instid1(VALU_DEP_2)
	v_mul_hi_u32 v6, v0, v5
	v_mul_lo_u32 v7, v0, v4
	v_mul_hi_u32 v8, v0, v4
	v_mul_hi_u32 v10, v1, v5
	v_mul_lo_u32 v5, v1, v5
	v_mul_hi_u32 v11, v1, v4
	v_mul_lo_u32 v4, v1, v4
	v_add_co_u32 v6, vcc_lo, v6, v7
	v_add_co_ci_u32_e32 v7, vcc_lo, 0, v8, vcc_lo
	s_delay_alu instid0(VALU_DEP_2) | instskip(NEXT) | instid1(VALU_DEP_2)
	v_add_co_u32 v5, vcc_lo, v6, v5
	v_add_co_ci_u32_e32 v5, vcc_lo, v7, v10, vcc_lo
	v_add_co_ci_u32_e32 v6, vcc_lo, 0, v11, vcc_lo
	v_add_co_u32 v7, vcc_lo, v2, v9
	v_add_co_ci_u32_e32 v3, vcc_lo, v3, v9, vcc_lo
	s_delay_alu instid0(VALU_DEP_4) | instskip(NEXT) | instid1(VALU_DEP_4)
	v_add_co_u32 v4, vcc_lo, v5, v4
	v_add_co_ci_u32_e32 v5, vcc_lo, 0, v6, vcc_lo
	s_delay_alu instid0(VALU_DEP_4) | instskip(NEXT) | instid1(VALU_DEP_3)
	v_xor_b32_e32 v7, v7, v9
	v_add_co_u32 v6, vcc_lo, v0, v4
	s_delay_alu instid0(VALU_DEP_3) | instskip(SKIP_1) | instid1(VALU_DEP_3)
	v_add_co_ci_u32_e32 v8, vcc_lo, v1, v5, vcc_lo
	v_xor_b32_e32 v10, v3, v9
	v_mul_hi_u32 v11, v7, v6
	s_delay_alu instid0(VALU_DEP_3) | instskip(NEXT) | instid1(VALU_DEP_3)
	v_mad_u64_u32 v[0:1], null, v7, v8, 0
	v_mad_u64_u32 v[3:4], null, v10, v6, 0
	;; [unrolled: 1-line block ×3, first 2 shown]
	s_delay_alu instid0(VALU_DEP_3) | instskip(NEXT) | instid1(VALU_DEP_4)
	v_add_co_u32 v0, vcc_lo, v11, v0
	v_add_co_ci_u32_e32 v1, vcc_lo, 0, v1, vcc_lo
	s_delay_alu instid0(VALU_DEP_2) | instskip(NEXT) | instid1(VALU_DEP_2)
	v_add_co_u32 v0, vcc_lo, v0, v3
	v_add_co_ci_u32_e32 v0, vcc_lo, v1, v4, vcc_lo
	v_add_co_ci_u32_e32 v1, vcc_lo, 0, v6, vcc_lo
	s_delay_alu instid0(VALU_DEP_2) | instskip(NEXT) | instid1(VALU_DEP_2)
	v_add_co_u32 v3, vcc_lo, v0, v5
	v_add_co_ci_u32_e32 v4, vcc_lo, 0, v1, vcc_lo
	s_delay_alu instid0(VALU_DEP_2) | instskip(SKIP_1) | instid1(VALU_DEP_3)
	v_mul_lo_u32 v5, s11, v3
	v_mad_u64_u32 v[0:1], null, s10, v3, 0
	v_mul_lo_u32 v6, s10, v4
	s_delay_alu instid0(VALU_DEP_2) | instskip(NEXT) | instid1(VALU_DEP_2)
	v_sub_co_u32 v0, vcc_lo, v7, v0
	v_add3_u32 v1, v1, v6, v5
	s_delay_alu instid0(VALU_DEP_1) | instskip(NEXT) | instid1(VALU_DEP_1)
	v_sub_nc_u32_e32 v5, v10, v1
	v_subrev_co_ci_u32_e64 v5, s2, s11, v5, vcc_lo
	v_add_co_u32 v6, s2, v3, 2
	s_delay_alu instid0(VALU_DEP_1) | instskip(SKIP_3) | instid1(VALU_DEP_3)
	v_add_co_ci_u32_e64 v7, s2, 0, v4, s2
	v_sub_co_u32 v8, s2, v0, s10
	v_sub_co_ci_u32_e32 v1, vcc_lo, v10, v1, vcc_lo
	v_subrev_co_ci_u32_e64 v5, s2, 0, v5, s2
	v_cmp_le_u32_e32 vcc_lo, s10, v8
	s_delay_alu instid0(VALU_DEP_3) | instskip(SKIP_1) | instid1(VALU_DEP_4)
	v_cmp_eq_u32_e64 s2, s11, v1
	v_cndmask_b32_e64 v8, 0, -1, vcc_lo
	v_cmp_le_u32_e32 vcc_lo, s11, v5
	v_cndmask_b32_e64 v10, 0, -1, vcc_lo
	v_cmp_le_u32_e32 vcc_lo, s10, v0
	;; [unrolled: 2-line block ×3, first 2 shown]
	v_cndmask_b32_e64 v11, 0, -1, vcc_lo
	v_cmp_eq_u32_e32 vcc_lo, s11, v5
	s_delay_alu instid0(VALU_DEP_2) | instskip(SKIP_3) | instid1(VALU_DEP_3)
	v_cndmask_b32_e64 v0, v11, v0, s2
	v_cndmask_b32_e32 v5, v10, v8, vcc_lo
	v_add_co_u32 v8, vcc_lo, v3, 1
	v_add_co_ci_u32_e32 v10, vcc_lo, 0, v4, vcc_lo
	v_cmp_ne_u32_e32 vcc_lo, 0, v5
	s_delay_alu instid0(VALU_DEP_2) | instskip(NEXT) | instid1(VALU_DEP_4)
	v_cndmask_b32_e32 v1, v10, v7, vcc_lo
	v_cndmask_b32_e32 v5, v8, v6, vcc_lo
	v_cmp_ne_u32_e32 vcc_lo, 0, v0
	v_xor_b32_e32 v0, s8, v9
	s_delay_alu instid0(VALU_DEP_3) | instskip(SKIP_2) | instid1(VALU_DEP_3)
	v_cndmask_b32_e32 v3, v3, v5, vcc_lo
	v_cndmask_b32_e32 v1, v4, v1, vcc_lo
	v_xor_b32_e32 v4, s9, v9
	v_xor_b32_e32 v3, v3, v0
	s_delay_alu instid0(VALU_DEP_2) | instskip(NEXT) | instid1(VALU_DEP_2)
	v_xor_b32_e32 v1, v1, v4
	v_sub_co_u32 v0, vcc_lo, v3, v0
	s_delay_alu instid0(VALU_DEP_2)
	v_sub_co_ci_u32_e32 v1, vcc_lo, v1, v4, vcc_lo
.LBB15_2:
	s_and_not1_saveexec_b32 s2, s3
	s_cbranch_execz .LBB15_4
; %bb.3:
	v_cvt_f32_u32_e32 v0, s6
	s_sub_i32 s3, 0, s6
	s_delay_alu instid0(VALU_DEP_1) | instskip(SKIP_2) | instid1(VALU_DEP_1)
	v_rcp_iflag_f32_e32 v0, v0
	s_waitcnt_depctr 0xfff
	v_mul_f32_e32 v0, 0x4f7ffffe, v0
	v_cvt_u32_f32_e32 v0, v0
	s_delay_alu instid0(VALU_DEP_1) | instskip(NEXT) | instid1(VALU_DEP_1)
	v_mul_lo_u32 v1, s3, v0
	v_mul_hi_u32 v1, v0, v1
	s_delay_alu instid0(VALU_DEP_1) | instskip(NEXT) | instid1(VALU_DEP_1)
	v_add_nc_u32_e32 v0, v0, v1
	v_mul_hi_u32 v0, v2, v0
	s_delay_alu instid0(VALU_DEP_1) | instskip(SKIP_1) | instid1(VALU_DEP_2)
	v_mul_lo_u32 v1, v0, s6
	v_add_nc_u32_e32 v3, 1, v0
	v_sub_nc_u32_e32 v1, v2, v1
	s_delay_alu instid0(VALU_DEP_1) | instskip(SKIP_1) | instid1(VALU_DEP_2)
	v_subrev_nc_u32_e32 v4, s6, v1
	v_cmp_le_u32_e32 vcc_lo, s6, v1
	v_dual_cndmask_b32 v1, v1, v4 :: v_dual_cndmask_b32 v0, v0, v3
	s_delay_alu instid0(VALU_DEP_1) | instskip(NEXT) | instid1(VALU_DEP_2)
	v_cmp_le_u32_e32 vcc_lo, s6, v1
	v_add_nc_u32_e32 v3, 1, v0
	s_delay_alu instid0(VALU_DEP_1)
	v_dual_mov_b32 v1, 0 :: v_dual_cndmask_b32 v0, v0, v3
.LBB15_4:
	s_or_b32 exec_lo, exec_lo, s2
	s_load_b64 s[2:3], s[0:1], 0x18
	s_delay_alu instid0(VALU_DEP_1) | instskip(NEXT) | instid1(VALU_DEP_1)
	v_mad_u64_u32 v[3:4], null, v0, s6, 0
	v_sub_co_u32 v2, null, v2, v3
	s_waitcnt lgkmcnt(0)
	v_cmp_gt_i64_e32 vcc_lo, s[2:3], v[0:1]
	s_delay_alu instid0(VALU_DEP_2) | instskip(NEXT) | instid1(VALU_DEP_1)
	v_cmp_gt_i32_e64 s2, s5, v2
	s_and_b32 s2, vcc_lo, s2
	s_delay_alu instid0(SALU_CYCLE_1)
	s_and_saveexec_b32 s3, s2
	s_cbranch_execz .LBB15_390
; %bb.5:
	s_ashr_i32 s6, s4, 31
	s_load_b64 s[2:3], s[0:1], 0x0
	v_mul_lo_u32 v5, v1, s4
	v_mad_u64_u32 v[3:4], null, v0, s4, 0
	v_mul_lo_u32 v6, v0, s6
	s_delay_alu instid0(VALU_DEP_1) | instskip(SKIP_1) | instid1(VALU_DEP_2)
	v_add3_u32 v4, v4, v6, v5
	v_dual_mov_b32 v6, 0 :: v_dual_lshlrev_b32 v5, 5, v2
	v_lshlrev_b64 v[3:4], 1, v[3:4]
	s_delay_alu instid0(VALU_DEP_2) | instskip(SKIP_1) | instid1(VALU_DEP_2)
	v_lshlrev_b64 v[5:6], 1, v[5:6]
	s_waitcnt lgkmcnt(0)
	v_add_co_u32 v3, vcc_lo, s2, v3
	s_delay_alu instid0(VALU_DEP_3) | instskip(SKIP_1) | instid1(VALU_DEP_2)
	v_add_co_ci_u32_e32 v4, vcc_lo, s3, v4, vcc_lo
	s_mov_b32 s2, 0xc2fe0000
	v_add_co_u32 v7, vcc_lo, v3, v5
	s_delay_alu instid0(VALU_DEP_2)
	v_add_co_ci_u32_e32 v8, vcc_lo, v4, v6, vcc_lo
	s_clause 0x3
	global_load_b128 v[3:6], v[7:8], off
	global_load_b128 v[10:13], v[7:8], off offset:16
	global_load_b128 v[52:55], v[7:8], off offset:32
	;; [unrolled: 1-line block ×3, first 2 shown]
	s_waitcnt vmcnt(3)
	v_lshrrev_b32_e32 v7, 16, v3
	v_cvt_f32_f16_e32 v17, v3
	v_lshrrev_b32_e32 v3, 16, v4
	v_cvt_f32_f16_e32 v9, v4
	;; [unrolled: 2-line block ×3, first 2 shown]
	v_cvt_f32_f16_e32 v16, v5
	v_cvt_f32_f16_e32 v14, v3
	v_lshrrev_b32_e32 v5, 16, v6
	v_cvt_f32_f16_e32 v20, v4
	v_max3_f32 v3, |v17|, 0, |v7|
	v_cvt_f32_f16_e32 v22, v6
	s_waitcnt vmcnt(2)
	v_lshrrev_b32_e32 v4, 16, v10
	v_cvt_f32_f16_e32 v26, v5
	v_cvt_f32_f16_e32 v28, v10
	v_max3_f32 v3, v3, |v9|, |v14|
	v_lshrrev_b32_e32 v5, 16, v11
	v_cvt_f32_f16_e32 v32, v4
	v_cvt_f32_f16_e32 v34, v11
	v_lshrrev_b32_e32 v4, 16, v12
	v_max3_f32 v3, v3, |v16|, |v20|
	v_cvt_f32_f16_e32 v38, v5
	v_cvt_f32_f16_e32 v40, v12
	v_lshrrev_b32_e32 v5, 16, v13
	v_cvt_f32_f16_e32 v42, v4
	v_max3_f32 v3, v3, |v22|, |v26|
	v_cvt_f32_f16_e32 v46, v13
	s_waitcnt vmcnt(1)
	v_lshrrev_b32_e32 v4, 16, v52
	v_cvt_f32_f16_e32 v48, v5
	v_cvt_f32_f16_e32 v52, v52
	v_max3_f32 v3, v3, |v28|, |v32|
	v_lshrrev_b32_e32 v5, 16, v53
	v_cvt_f32_f16_e32 v51, v4
	v_cvt_f32_f16_e32 v47, v53
	v_lshrrev_b32_e32 v4, 16, v54
	v_max3_f32 v3, v3, |v34|, |v38|
	v_cvt_f32_f16_e32 v45, v5
	v_cvt_f32_f16_e32 v41, v54
	v_lshrrev_b32_e32 v5, 16, v55
	v_cvt_f32_f16_e32 v39, v4
	v_max3_f32 v3, v3, |v40|, |v42|
	;; [unrolled: 16-line block ×3, first 2 shown]
	v_cvt_f32_f16_e32 v13, v59
	s_delay_alu instid0(VALU_DEP_4) | instskip(NEXT) | instid1(VALU_DEP_3)
	v_cvt_f32_f16_e32 v8, v5
	v_max3_f32 v3, v3, |v41|, |v39|
	s_delay_alu instid0(VALU_DEP_1) | instskip(NEXT) | instid1(VALU_DEP_1)
	v_max3_f32 v3, v3, |v35|, |v33|
	v_max3_f32 v3, v3, |v30|, |v27|
	s_delay_alu instid0(VALU_DEP_1) | instskip(NEXT) | instid1(VALU_DEP_1)
	v_max3_f32 v3, v3, |v25|, |v21|
	;; [unrolled: 3-line block ×3, first 2 shown]
	v_add_nc_u32_e32 v3, 0x200000, v3
	s_delay_alu instid0(VALU_DEP_1) | instskip(NEXT) | instid1(VALU_DEP_1)
	v_and_b32_e32 v3, 0x7f800000, v3
	v_cmp_gt_f32_e32 vcc_lo, 0x800000, v3
	v_cndmask_b32_e64 v4, 1.0, 0x4f800000, vcc_lo
	s_delay_alu instid0(VALU_DEP_1) | instskip(SKIP_1) | instid1(VALU_DEP_2)
	v_mul_f32_e32 v3, v3, v4
	v_cndmask_b32_e64 v4, 0, 0x42000000, vcc_lo
	v_log_f32_e32 v3, v3
	s_waitcnt_depctr 0xfff
	v_sub_f32_e32 v3, v3, v4
	s_delay_alu instid0(VALU_DEP_1) | instskip(NEXT) | instid1(VALU_DEP_1)
	v_floor_f32_e32 v3, v3
	v_add_f32_e32 v3, -2.0, v3
	s_delay_alu instid0(VALU_DEP_1) | instskip(SKIP_1) | instid1(VALU_DEP_1)
	v_maxmin_f32 v3, v3, s2, 0x42fe0000
	s_mov_b32 s2, exec_lo
	v_cmp_gt_f32_e32 vcc_lo, 0xc2fc0000, v3
	v_cndmask_b32_e64 v4, 0, 0x42800000, vcc_lo
	s_delay_alu instid0(VALU_DEP_1) | instskip(SKIP_1) | instid1(VALU_DEP_2)
	v_add_f32_e32 v3, v3, v4
	v_cndmask_b32_e64 v4, 1.0, 0x1f800000, vcc_lo
	v_exp_f32_e32 v3, v3
	s_waitcnt_depctr 0xfff
	v_mul_f32_e32 v3, v3, v4
	s_delay_alu instid0(VALU_DEP_1) | instskip(SKIP_1) | instid1(VALU_DEP_2)
	v_div_scale_f32 v4, null, v3, v3, 1.0
	v_div_scale_f32 v10, vcc_lo, 1.0, v3, 1.0
	v_rcp_f32_e32 v5, v4
	s_waitcnt_depctr 0xfff
	v_fma_f32 v6, -v4, v5, 1.0
	s_delay_alu instid0(VALU_DEP_1) | instskip(NEXT) | instid1(VALU_DEP_1)
	v_fmac_f32_e32 v5, v6, v5
	v_mul_f32_e32 v6, v10, v5
	s_delay_alu instid0(VALU_DEP_1) | instskip(NEXT) | instid1(VALU_DEP_1)
	v_fma_f32 v11, -v4, v6, v10
	v_fmac_f32_e32 v6, v11, v5
	s_delay_alu instid0(VALU_DEP_1) | instskip(NEXT) | instid1(VALU_DEP_1)
	v_fma_f32 v4, -v4, v6, v10
	v_div_fmas_f32 v4, v4, v5, v6
	v_cmp_neq_f32_e32 vcc_lo, 0, v3
	v_mov_b32_e32 v6, 7
	s_delay_alu instid0(VALU_DEP_3) | instskip(NEXT) | instid1(VALU_DEP_1)
	v_div_fixup_f32 v4, v4, v3, 1.0
	v_cndmask_b32_e32 v10, 0, v4, vcc_lo
	s_delay_alu instid0(VALU_DEP_1) | instskip(NEXT) | instid1(VALU_DEP_1)
	v_dual_mov_b32 v4, 7 :: v_dual_mul_f32 v5, v10, v17
	v_cmpx_nle_f32_e64 0x40a00000, |v5|
	s_cbranch_execz .LBB15_17
; %bb.6:
	v_mov_b32_e32 v4, 6
	s_mov_b32 s3, exec_lo
	v_cmpx_nle_f32_e64 0x40600000, |v5|
	s_cbranch_execz .LBB15_16
; %bb.7:
	v_mov_b32_e32 v4, 5
	s_mov_b32 s6, exec_lo
	;; [unrolled: 5-line block ×5, first 2 shown]
	v_cmpx_nle_f32_e64 0x3f400000, |v5|
; %bb.11:
	v_cmp_le_f32_e64 s10, 0x3e800000, |v5|
	s_delay_alu instid0(VALU_DEP_1)
	v_cndmask_b32_e64 v4, 0, 1, s10
; %bb.12:
	s_or_b32 exec_lo, exec_lo, s9
.LBB15_13:
	s_delay_alu instid0(SALU_CYCLE_1)
	s_or_b32 exec_lo, exec_lo, s8
.LBB15_14:
	s_delay_alu instid0(SALU_CYCLE_1)
	s_or_b32 exec_lo, exec_lo, s7
.LBB15_15:
	s_delay_alu instid0(SALU_CYCLE_1)
	s_or_b32 exec_lo, exec_lo, s6
.LBB15_16:
	s_delay_alu instid0(SALU_CYCLE_1)
	s_or_b32 exec_lo, exec_lo, s3
.LBB15_17:
	s_delay_alu instid0(SALU_CYCLE_1) | instskip(SKIP_2) | instid1(VALU_DEP_1)
	s_or_b32 exec_lo, exec_lo, s2
	v_mul_f32_e32 v7, v10, v7
	s_mov_b32 s2, exec_lo
	v_cmpx_nle_f32_e64 0x40a00000, |v7|
	s_cbranch_execz .LBB15_29
; %bb.18:
	v_mov_b32_e32 v6, 6
	s_mov_b32 s3, exec_lo
	v_cmpx_nle_f32_e64 0x40600000, |v7|
	s_cbranch_execz .LBB15_28
; %bb.19:
	v_mov_b32_e32 v6, 5
	;; [unrolled: 5-line block ×5, first 2 shown]
	s_mov_b32 s9, exec_lo
	v_cmpx_nle_f32_e64 0x3f400000, |v7|
; %bb.23:
	v_cmp_le_f32_e64 s10, 0x3e800000, |v7|
	s_delay_alu instid0(VALU_DEP_1)
	v_cndmask_b32_e64 v6, 0, 1, s10
; %bb.24:
	s_or_b32 exec_lo, exec_lo, s9
.LBB15_25:
	s_delay_alu instid0(SALU_CYCLE_1)
	s_or_b32 exec_lo, exec_lo, s8
.LBB15_26:
	s_delay_alu instid0(SALU_CYCLE_1)
	s_or_b32 exec_lo, exec_lo, s7
.LBB15_27:
	s_delay_alu instid0(SALU_CYCLE_1)
	s_or_b32 exec_lo, exec_lo, s6
.LBB15_28:
	s_delay_alu instid0(SALU_CYCLE_1)
	s_or_b32 exec_lo, exec_lo, s3
.LBB15_29:
	s_delay_alu instid0(SALU_CYCLE_1) | instskip(SKIP_3) | instid1(VALU_DEP_2)
	s_or_b32 exec_lo, exec_lo, s2
	v_dual_mul_f32 v11, v10, v9 :: v_dual_mov_b32 v12, 7
	v_mov_b32_e32 v9, 7
	s_mov_b32 s2, exec_lo
	v_cmpx_nle_f32_e64 0x40a00000, |v11|
	s_cbranch_execz .LBB15_41
; %bb.30:
	v_mov_b32_e32 v12, 6
	s_mov_b32 s3, exec_lo
	v_cmpx_nle_f32_e64 0x40600000, |v11|
	s_cbranch_execz .LBB15_40
; %bb.31:
	;; [unrolled: 5-line block ×5, first 2 shown]
	v_mov_b32_e32 v12, 2
	s_mov_b32 s9, exec_lo
	v_cmpx_nle_f32_e64 0x3f400000, |v11|
; %bb.35:
	v_cmp_le_f32_e64 s10, 0x3e800000, |v11|
	s_delay_alu instid0(VALU_DEP_1)
	v_cndmask_b32_e64 v12, 0, 1, s10
; %bb.36:
	s_or_b32 exec_lo, exec_lo, s9
.LBB15_37:
	s_delay_alu instid0(SALU_CYCLE_1)
	s_or_b32 exec_lo, exec_lo, s8
.LBB15_38:
	s_delay_alu instid0(SALU_CYCLE_1)
	s_or_b32 exec_lo, exec_lo, s7
.LBB15_39:
	s_delay_alu instid0(SALU_CYCLE_1)
	s_or_b32 exec_lo, exec_lo, s6
.LBB15_40:
	s_delay_alu instid0(SALU_CYCLE_1)
	s_or_b32 exec_lo, exec_lo, s3
.LBB15_41:
	s_delay_alu instid0(SALU_CYCLE_1) | instskip(SKIP_2) | instid1(VALU_DEP_1)
	s_or_b32 exec_lo, exec_lo, s2
	v_mul_f32_e32 v14, v10, v14
	s_mov_b32 s2, exec_lo
	v_cmpx_nle_f32_e64 0x40a00000, |v14|
	s_cbranch_execz .LBB15_53
; %bb.42:
	v_mov_b32_e32 v9, 6
	s_mov_b32 s3, exec_lo
	v_cmpx_nle_f32_e64 0x40600000, |v14|
	s_cbranch_execz .LBB15_52
; %bb.43:
	v_mov_b32_e32 v9, 5
	;; [unrolled: 5-line block ×5, first 2 shown]
	s_mov_b32 s9, exec_lo
	v_cmpx_nle_f32_e64 0x3f400000, |v14|
; %bb.47:
	v_cmp_le_f32_e64 s10, 0x3e800000, |v14|
	s_delay_alu instid0(VALU_DEP_1)
	v_cndmask_b32_e64 v9, 0, 1, s10
; %bb.48:
	s_or_b32 exec_lo, exec_lo, s9
.LBB15_49:
	s_delay_alu instid0(SALU_CYCLE_1)
	s_or_b32 exec_lo, exec_lo, s8
.LBB15_50:
	s_delay_alu instid0(SALU_CYCLE_1)
	s_or_b32 exec_lo, exec_lo, s7
.LBB15_51:
	s_delay_alu instid0(SALU_CYCLE_1)
	s_or_b32 exec_lo, exec_lo, s6
.LBB15_52:
	s_delay_alu instid0(SALU_CYCLE_1)
	s_or_b32 exec_lo, exec_lo, s3
.LBB15_53:
	s_delay_alu instid0(SALU_CYCLE_1) | instskip(SKIP_3) | instid1(VALU_DEP_2)
	s_or_b32 exec_lo, exec_lo, s2
	v_dual_mul_f32 v18, v10, v16 :: v_dual_mov_b32 v17, 7
	v_mov_b32_e32 v16, 7
	s_mov_b32 s2, exec_lo
	v_cmpx_nle_f32_e64 0x40a00000, |v18|
	s_cbranch_execz .LBB15_65
; %bb.54:
	v_mov_b32_e32 v16, 6
	s_mov_b32 s3, exec_lo
	v_cmpx_nle_f32_e64 0x40600000, |v18|
	s_cbranch_execz .LBB15_64
; %bb.55:
	v_mov_b32_e32 v16, 5
	s_mov_b32 s6, exec_lo
	v_cmpx_nle_f32_e64 0x40200000, |v18|
	s_cbranch_execz .LBB15_63
; %bb.56:
	v_mov_b32_e32 v16, 4
	s_mov_b32 s7, exec_lo
	v_cmpx_nle_f32_e64 0x3fe00000, |v18|
	s_cbranch_execz .LBB15_62
; %bb.57:
	v_mov_b32_e32 v16, 3
	s_mov_b32 s8, exec_lo
	v_cmpx_nle_f32_e64 0x3fa00000, |v18|
	s_cbranch_execz .LBB15_61
; %bb.58:
	v_mov_b32_e32 v16, 2
	s_mov_b32 s9, exec_lo
	v_cmpx_nle_f32_e64 0x3f400000, |v18|
; %bb.59:
	v_cmp_le_f32_e64 s10, 0x3e800000, |v18|
	s_delay_alu instid0(VALU_DEP_1)
	v_cndmask_b32_e64 v16, 0, 1, s10
; %bb.60:
	s_or_b32 exec_lo, exec_lo, s9
.LBB15_61:
	s_delay_alu instid0(SALU_CYCLE_1)
	s_or_b32 exec_lo, exec_lo, s8
.LBB15_62:
	s_delay_alu instid0(SALU_CYCLE_1)
	s_or_b32 exec_lo, exec_lo, s7
.LBB15_63:
	s_delay_alu instid0(SALU_CYCLE_1)
	s_or_b32 exec_lo, exec_lo, s6
.LBB15_64:
	s_delay_alu instid0(SALU_CYCLE_1)
	s_or_b32 exec_lo, exec_lo, s3
.LBB15_65:
	s_delay_alu instid0(SALU_CYCLE_1) | instskip(SKIP_2) | instid1(VALU_DEP_1)
	s_or_b32 exec_lo, exec_lo, s2
	v_mul_f32_e32 v20, v10, v20
	s_mov_b32 s2, exec_lo
	v_cmpx_nle_f32_e64 0x40a00000, |v20|
	s_cbranch_execz .LBB15_77
; %bb.66:
	v_mov_b32_e32 v17, 6
	s_mov_b32 s3, exec_lo
	v_cmpx_nle_f32_e64 0x40600000, |v20|
	s_cbranch_execz .LBB15_76
; %bb.67:
	v_mov_b32_e32 v17, 5
	;; [unrolled: 5-line block ×5, first 2 shown]
	s_mov_b32 s9, exec_lo
	v_cmpx_nle_f32_e64 0x3f400000, |v20|
; %bb.71:
	v_cmp_le_f32_e64 s10, 0x3e800000, |v20|
	s_delay_alu instid0(VALU_DEP_1)
	v_cndmask_b32_e64 v17, 0, 1, s10
; %bb.72:
	s_or_b32 exec_lo, exec_lo, s9
.LBB15_73:
	s_delay_alu instid0(SALU_CYCLE_1)
	s_or_b32 exec_lo, exec_lo, s8
.LBB15_74:
	s_delay_alu instid0(SALU_CYCLE_1)
	s_or_b32 exec_lo, exec_lo, s7
.LBB15_75:
	s_delay_alu instid0(SALU_CYCLE_1)
	s_or_b32 exec_lo, exec_lo, s6
.LBB15_76:
	s_delay_alu instid0(SALU_CYCLE_1)
	s_or_b32 exec_lo, exec_lo, s3
.LBB15_77:
	s_delay_alu instid0(SALU_CYCLE_1) | instskip(SKIP_3) | instid1(VALU_DEP_2)
	s_or_b32 exec_lo, exec_lo, s2
	v_dual_mul_f32 v24, v10, v22 :: v_dual_mov_b32 v23, 7
	v_mov_b32_e32 v22, 7
	s_mov_b32 s2, exec_lo
	v_cmpx_nle_f32_e64 0x40a00000, |v24|
	s_cbranch_execz .LBB15_89
; %bb.78:
	v_mov_b32_e32 v23, 6
	s_mov_b32 s3, exec_lo
	v_cmpx_nle_f32_e64 0x40600000, |v24|
	s_cbranch_execz .LBB15_88
; %bb.79:
	;; [unrolled: 5-line block ×5, first 2 shown]
	v_mov_b32_e32 v23, 2
	s_mov_b32 s9, exec_lo
	v_cmpx_nle_f32_e64 0x3f400000, |v24|
; %bb.83:
	v_cmp_le_f32_e64 s10, 0x3e800000, |v24|
	s_delay_alu instid0(VALU_DEP_1)
	v_cndmask_b32_e64 v23, 0, 1, s10
; %bb.84:
	s_or_b32 exec_lo, exec_lo, s9
.LBB15_85:
	s_delay_alu instid0(SALU_CYCLE_1)
	s_or_b32 exec_lo, exec_lo, s8
.LBB15_86:
	s_delay_alu instid0(SALU_CYCLE_1)
	s_or_b32 exec_lo, exec_lo, s7
.LBB15_87:
	s_delay_alu instid0(SALU_CYCLE_1)
	s_or_b32 exec_lo, exec_lo, s6
.LBB15_88:
	s_delay_alu instid0(SALU_CYCLE_1)
	s_or_b32 exec_lo, exec_lo, s3
.LBB15_89:
	s_delay_alu instid0(SALU_CYCLE_1) | instskip(SKIP_2) | instid1(VALU_DEP_1)
	s_or_b32 exec_lo, exec_lo, s2
	v_mul_f32_e32 v26, v10, v26
	s_mov_b32 s2, exec_lo
	v_cmpx_nle_f32_e64 0x40a00000, |v26|
	s_cbranch_execz .LBB15_101
; %bb.90:
	v_mov_b32_e32 v22, 6
	s_mov_b32 s3, exec_lo
	v_cmpx_nle_f32_e64 0x40600000, |v26|
	s_cbranch_execz .LBB15_100
; %bb.91:
	v_mov_b32_e32 v22, 5
	s_mov_b32 s6, exec_lo
	v_cmpx_nle_f32_e64 0x40200000, |v26|
	s_cbranch_execz .LBB15_99
; %bb.92:
	v_mov_b32_e32 v22, 4
	s_mov_b32 s7, exec_lo
	v_cmpx_nle_f32_e64 0x3fe00000, |v26|
	s_cbranch_execz .LBB15_98
; %bb.93:
	v_mov_b32_e32 v22, 3
	s_mov_b32 s8, exec_lo
	v_cmpx_nle_f32_e64 0x3fa00000, |v26|
	s_cbranch_execz .LBB15_97
; %bb.94:
	v_mov_b32_e32 v22, 2
	s_mov_b32 s9, exec_lo
	v_cmpx_nle_f32_e64 0x3f400000, |v26|
; %bb.95:
	v_cmp_le_f32_e64 s10, 0x3e800000, |v26|
	s_delay_alu instid0(VALU_DEP_1)
	v_cndmask_b32_e64 v22, 0, 1, s10
; %bb.96:
	s_or_b32 exec_lo, exec_lo, s9
.LBB15_97:
	s_delay_alu instid0(SALU_CYCLE_1)
	s_or_b32 exec_lo, exec_lo, s8
.LBB15_98:
	s_delay_alu instid0(SALU_CYCLE_1)
	s_or_b32 exec_lo, exec_lo, s7
.LBB15_99:
	s_delay_alu instid0(SALU_CYCLE_1)
	s_or_b32 exec_lo, exec_lo, s6
.LBB15_100:
	s_delay_alu instid0(SALU_CYCLE_1)
	s_or_b32 exec_lo, exec_lo, s3
.LBB15_101:
	s_delay_alu instid0(SALU_CYCLE_1) | instskip(SKIP_3) | instid1(VALU_DEP_2)
	s_or_b32 exec_lo, exec_lo, s2
	v_dual_mul_f32 v31, v10, v28 :: v_dual_mov_b32 v28, 7
	v_mov_b32_e32 v29, 7
	s_mov_b32 s2, exec_lo
	v_cmpx_nle_f32_e64 0x40a00000, |v31|
	s_cbranch_execz .LBB15_113
; %bb.102:
	v_mov_b32_e32 v29, 6
	s_mov_b32 s3, exec_lo
	v_cmpx_nle_f32_e64 0x40600000, |v31|
	s_cbranch_execz .LBB15_112
; %bb.103:
	;; [unrolled: 5-line block ×5, first 2 shown]
	v_mov_b32_e32 v29, 2
	s_mov_b32 s9, exec_lo
	v_cmpx_nle_f32_e64 0x3f400000, |v31|
; %bb.107:
	v_cmp_le_f32_e64 s10, 0x3e800000, |v31|
	s_delay_alu instid0(VALU_DEP_1)
	v_cndmask_b32_e64 v29, 0, 1, s10
; %bb.108:
	s_or_b32 exec_lo, exec_lo, s9
.LBB15_109:
	s_delay_alu instid0(SALU_CYCLE_1)
	s_or_b32 exec_lo, exec_lo, s8
.LBB15_110:
	s_delay_alu instid0(SALU_CYCLE_1)
	s_or_b32 exec_lo, exec_lo, s7
.LBB15_111:
	s_delay_alu instid0(SALU_CYCLE_1)
	s_or_b32 exec_lo, exec_lo, s6
.LBB15_112:
	s_delay_alu instid0(SALU_CYCLE_1)
	s_or_b32 exec_lo, exec_lo, s3
.LBB15_113:
	s_delay_alu instid0(SALU_CYCLE_1) | instskip(SKIP_2) | instid1(VALU_DEP_1)
	s_or_b32 exec_lo, exec_lo, s2
	v_mul_f32_e32 v32, v10, v32
	s_mov_b32 s2, exec_lo
	v_cmpx_nle_f32_e64 0x40a00000, |v32|
	s_cbranch_execz .LBB15_125
; %bb.114:
	v_mov_b32_e32 v28, 6
	s_mov_b32 s3, exec_lo
	v_cmpx_nle_f32_e64 0x40600000, |v32|
	s_cbranch_execz .LBB15_124
; %bb.115:
	v_mov_b32_e32 v28, 5
	;; [unrolled: 5-line block ×5, first 2 shown]
	s_mov_b32 s9, exec_lo
	v_cmpx_nle_f32_e64 0x3f400000, |v32|
; %bb.119:
	v_cmp_le_f32_e64 s10, 0x3e800000, |v32|
	s_delay_alu instid0(VALU_DEP_1)
	v_cndmask_b32_e64 v28, 0, 1, s10
; %bb.120:
	s_or_b32 exec_lo, exec_lo, s9
.LBB15_121:
	s_delay_alu instid0(SALU_CYCLE_1)
	s_or_b32 exec_lo, exec_lo, s8
.LBB15_122:
	s_delay_alu instid0(SALU_CYCLE_1)
	s_or_b32 exec_lo, exec_lo, s7
.LBB15_123:
	s_delay_alu instid0(SALU_CYCLE_1)
	s_or_b32 exec_lo, exec_lo, s6
.LBB15_124:
	s_delay_alu instid0(SALU_CYCLE_1)
	s_or_b32 exec_lo, exec_lo, s3
.LBB15_125:
	s_delay_alu instid0(SALU_CYCLE_1) | instskip(SKIP_3) | instid1(VALU_DEP_2)
	s_or_b32 exec_lo, exec_lo, s2
	v_dual_mul_f32 v37, v10, v34 :: v_dual_mov_b32 v34, 7
	v_mov_b32_e32 v36, 7
	s_mov_b32 s2, exec_lo
	v_cmpx_nle_f32_e64 0x40a00000, |v37|
	s_cbranch_execz .LBB15_137
; %bb.126:
	v_mov_b32_e32 v36, 6
	s_mov_b32 s3, exec_lo
	v_cmpx_nle_f32_e64 0x40600000, |v37|
	s_cbranch_execz .LBB15_136
; %bb.127:
	;; [unrolled: 5-line block ×5, first 2 shown]
	v_mov_b32_e32 v36, 2
	s_mov_b32 s9, exec_lo
	v_cmpx_nle_f32_e64 0x3f400000, |v37|
; %bb.131:
	v_cmp_le_f32_e64 s10, 0x3e800000, |v37|
	s_delay_alu instid0(VALU_DEP_1)
	v_cndmask_b32_e64 v36, 0, 1, s10
; %bb.132:
	s_or_b32 exec_lo, exec_lo, s9
.LBB15_133:
	s_delay_alu instid0(SALU_CYCLE_1)
	s_or_b32 exec_lo, exec_lo, s8
.LBB15_134:
	s_delay_alu instid0(SALU_CYCLE_1)
	s_or_b32 exec_lo, exec_lo, s7
.LBB15_135:
	s_delay_alu instid0(SALU_CYCLE_1)
	s_or_b32 exec_lo, exec_lo, s6
.LBB15_136:
	s_delay_alu instid0(SALU_CYCLE_1)
	s_or_b32 exec_lo, exec_lo, s3
.LBB15_137:
	s_delay_alu instid0(SALU_CYCLE_1) | instskip(SKIP_2) | instid1(VALU_DEP_1)
	s_or_b32 exec_lo, exec_lo, s2
	v_mul_f32_e32 v38, v10, v38
	s_mov_b32 s2, exec_lo
	v_cmpx_nle_f32_e64 0x40a00000, |v38|
	s_cbranch_execz .LBB15_149
; %bb.138:
	v_mov_b32_e32 v34, 6
	s_mov_b32 s3, exec_lo
	v_cmpx_nle_f32_e64 0x40600000, |v38|
	s_cbranch_execz .LBB15_148
; %bb.139:
	v_mov_b32_e32 v34, 5
	;; [unrolled: 5-line block ×5, first 2 shown]
	s_mov_b32 s9, exec_lo
	v_cmpx_nle_f32_e64 0x3f400000, |v38|
; %bb.143:
	v_cmp_le_f32_e64 s10, 0x3e800000, |v38|
	s_delay_alu instid0(VALU_DEP_1)
	v_cndmask_b32_e64 v34, 0, 1, s10
; %bb.144:
	s_or_b32 exec_lo, exec_lo, s9
.LBB15_145:
	s_delay_alu instid0(SALU_CYCLE_1)
	s_or_b32 exec_lo, exec_lo, s8
.LBB15_146:
	s_delay_alu instid0(SALU_CYCLE_1)
	s_or_b32 exec_lo, exec_lo, s7
.LBB15_147:
	s_delay_alu instid0(SALU_CYCLE_1)
	s_or_b32 exec_lo, exec_lo, s6
.LBB15_148:
	s_delay_alu instid0(SALU_CYCLE_1)
	s_or_b32 exec_lo, exec_lo, s3
.LBB15_149:
	s_delay_alu instid0(SALU_CYCLE_1) | instskip(SKIP_3) | instid1(VALU_DEP_2)
	s_or_b32 exec_lo, exec_lo, s2
	v_dual_mul_f32 v43, v10, v40 :: v_dual_mov_b32 v40, 7
	v_mov_b32_e32 v44, 7
	s_mov_b32 s2, exec_lo
	v_cmpx_nle_f32_e64 0x40a00000, |v43|
	s_cbranch_execz .LBB15_161
; %bb.150:
	v_mov_b32_e32 v44, 6
	s_mov_b32 s3, exec_lo
	v_cmpx_nle_f32_e64 0x40600000, |v43|
	s_cbranch_execz .LBB15_160
; %bb.151:
	;; [unrolled: 5-line block ×5, first 2 shown]
	v_mov_b32_e32 v44, 2
	s_mov_b32 s9, exec_lo
	v_cmpx_nle_f32_e64 0x3f400000, |v43|
; %bb.155:
	v_cmp_le_f32_e64 s10, 0x3e800000, |v43|
	s_delay_alu instid0(VALU_DEP_1)
	v_cndmask_b32_e64 v44, 0, 1, s10
; %bb.156:
	s_or_b32 exec_lo, exec_lo, s9
.LBB15_157:
	s_delay_alu instid0(SALU_CYCLE_1)
	s_or_b32 exec_lo, exec_lo, s8
.LBB15_158:
	s_delay_alu instid0(SALU_CYCLE_1)
	s_or_b32 exec_lo, exec_lo, s7
.LBB15_159:
	s_delay_alu instid0(SALU_CYCLE_1)
	s_or_b32 exec_lo, exec_lo, s6
.LBB15_160:
	s_delay_alu instid0(SALU_CYCLE_1)
	s_or_b32 exec_lo, exec_lo, s3
.LBB15_161:
	s_delay_alu instid0(SALU_CYCLE_1) | instskip(SKIP_2) | instid1(VALU_DEP_1)
	s_or_b32 exec_lo, exec_lo, s2
	v_mul_f32_e32 v42, v10, v42
	s_mov_b32 s2, exec_lo
	v_cmpx_nle_f32_e64 0x40a00000, |v42|
	s_cbranch_execz .LBB15_173
; %bb.162:
	v_mov_b32_e32 v40, 6
	s_mov_b32 s3, exec_lo
	v_cmpx_nle_f32_e64 0x40600000, |v42|
	s_cbranch_execz .LBB15_172
; %bb.163:
	v_mov_b32_e32 v40, 5
	;; [unrolled: 5-line block ×5, first 2 shown]
	s_mov_b32 s9, exec_lo
	v_cmpx_nle_f32_e64 0x3f400000, |v42|
; %bb.167:
	v_cmp_le_f32_e64 s10, 0x3e800000, |v42|
	s_delay_alu instid0(VALU_DEP_1)
	v_cndmask_b32_e64 v40, 0, 1, s10
; %bb.168:
	s_or_b32 exec_lo, exec_lo, s9
.LBB15_169:
	s_delay_alu instid0(SALU_CYCLE_1)
	s_or_b32 exec_lo, exec_lo, s8
.LBB15_170:
	s_delay_alu instid0(SALU_CYCLE_1)
	s_or_b32 exec_lo, exec_lo, s7
.LBB15_171:
	s_delay_alu instid0(SALU_CYCLE_1)
	s_or_b32 exec_lo, exec_lo, s6
.LBB15_172:
	s_delay_alu instid0(SALU_CYCLE_1)
	s_or_b32 exec_lo, exec_lo, s3
.LBB15_173:
	s_delay_alu instid0(SALU_CYCLE_1) | instskip(SKIP_3) | instid1(VALU_DEP_2)
	s_or_b32 exec_lo, exec_lo, s2
	v_dual_mul_f32 v50, v10, v46 :: v_dual_mov_b32 v49, 7
	v_mov_b32_e32 v46, 7
	s_mov_b32 s2, exec_lo
	v_cmpx_nle_f32_e64 0x40a00000, |v50|
	s_cbranch_execz .LBB15_185
; %bb.174:
	v_mov_b32_e32 v49, 6
	s_mov_b32 s3, exec_lo
	v_cmpx_nle_f32_e64 0x40600000, |v50|
	s_cbranch_execz .LBB15_184
; %bb.175:
	;; [unrolled: 5-line block ×5, first 2 shown]
	v_mov_b32_e32 v49, 2
	s_mov_b32 s9, exec_lo
	v_cmpx_nle_f32_e64 0x3f400000, |v50|
; %bb.179:
	v_cmp_le_f32_e64 s10, 0x3e800000, |v50|
	s_delay_alu instid0(VALU_DEP_1)
	v_cndmask_b32_e64 v49, 0, 1, s10
; %bb.180:
	s_or_b32 exec_lo, exec_lo, s9
.LBB15_181:
	s_delay_alu instid0(SALU_CYCLE_1)
	s_or_b32 exec_lo, exec_lo, s8
.LBB15_182:
	s_delay_alu instid0(SALU_CYCLE_1)
	s_or_b32 exec_lo, exec_lo, s7
.LBB15_183:
	s_delay_alu instid0(SALU_CYCLE_1)
	s_or_b32 exec_lo, exec_lo, s6
.LBB15_184:
	s_delay_alu instid0(SALU_CYCLE_1)
	s_or_b32 exec_lo, exec_lo, s3
.LBB15_185:
	s_delay_alu instid0(SALU_CYCLE_1) | instskip(SKIP_2) | instid1(VALU_DEP_1)
	s_or_b32 exec_lo, exec_lo, s2
	v_mul_f32_e32 v48, v10, v48
	s_mov_b32 s2, exec_lo
	v_cmpx_nle_f32_e64 0x40a00000, |v48|
	s_cbranch_execz .LBB15_197
; %bb.186:
	v_mov_b32_e32 v46, 6
	s_mov_b32 s3, exec_lo
	v_cmpx_nle_f32_e64 0x40600000, |v48|
	s_cbranch_execz .LBB15_196
; %bb.187:
	v_mov_b32_e32 v46, 5
	s_mov_b32 s6, exec_lo
	v_cmpx_nle_f32_e64 0x40200000, |v48|
	s_cbranch_execz .LBB15_195
; %bb.188:
	v_mov_b32_e32 v46, 4
	s_mov_b32 s7, exec_lo
	v_cmpx_nle_f32_e64 0x3fe00000, |v48|
	s_cbranch_execz .LBB15_194
; %bb.189:
	v_mov_b32_e32 v46, 3
	s_mov_b32 s8, exec_lo
	v_cmpx_nle_f32_e64 0x3fa00000, |v48|
	s_cbranch_execz .LBB15_193
; %bb.190:
	v_mov_b32_e32 v46, 2
	s_mov_b32 s9, exec_lo
	v_cmpx_nle_f32_e64 0x3f400000, |v48|
; %bb.191:
	v_cmp_le_f32_e64 s10, 0x3e800000, |v48|
	s_delay_alu instid0(VALU_DEP_1)
	v_cndmask_b32_e64 v46, 0, 1, s10
; %bb.192:
	s_or_b32 exec_lo, exec_lo, s9
.LBB15_193:
	s_delay_alu instid0(SALU_CYCLE_1)
	s_or_b32 exec_lo, exec_lo, s8
.LBB15_194:
	s_delay_alu instid0(SALU_CYCLE_1)
	s_or_b32 exec_lo, exec_lo, s7
.LBB15_195:
	s_delay_alu instid0(SALU_CYCLE_1)
	s_or_b32 exec_lo, exec_lo, s6
.LBB15_196:
	s_delay_alu instid0(SALU_CYCLE_1)
	s_or_b32 exec_lo, exec_lo, s3
.LBB15_197:
	s_delay_alu instid0(SALU_CYCLE_1) | instskip(SKIP_3) | instid1(VALU_DEP_2)
	s_or_b32 exec_lo, exec_lo, s2
	v_dual_mul_f32 v54, v10, v52 :: v_dual_mov_b32 v53, 7
	v_mov_b32_e32 v52, 7
	s_mov_b32 s2, exec_lo
	v_cmpx_nle_f32_e64 0x40a00000, |v54|
	s_cbranch_execz .LBB15_209
; %bb.198:
	v_mov_b32_e32 v53, 6
	s_mov_b32 s3, exec_lo
	v_cmpx_nle_f32_e64 0x40600000, |v54|
	s_cbranch_execz .LBB15_208
; %bb.199:
	;; [unrolled: 5-line block ×5, first 2 shown]
	v_mov_b32_e32 v53, 2
	s_mov_b32 s9, exec_lo
	v_cmpx_nle_f32_e64 0x3f400000, |v54|
; %bb.203:
	v_cmp_le_f32_e64 s10, 0x3e800000, |v54|
	s_delay_alu instid0(VALU_DEP_1)
	v_cndmask_b32_e64 v53, 0, 1, s10
; %bb.204:
	s_or_b32 exec_lo, exec_lo, s9
.LBB15_205:
	s_delay_alu instid0(SALU_CYCLE_1)
	s_or_b32 exec_lo, exec_lo, s8
.LBB15_206:
	s_delay_alu instid0(SALU_CYCLE_1)
	s_or_b32 exec_lo, exec_lo, s7
.LBB15_207:
	s_delay_alu instid0(SALU_CYCLE_1)
	s_or_b32 exec_lo, exec_lo, s6
.LBB15_208:
	s_delay_alu instid0(SALU_CYCLE_1)
	s_or_b32 exec_lo, exec_lo, s3
.LBB15_209:
	s_delay_alu instid0(SALU_CYCLE_1) | instskip(SKIP_2) | instid1(VALU_DEP_1)
	s_or_b32 exec_lo, exec_lo, s2
	v_mul_f32_e32 v51, v10, v51
	s_mov_b32 s2, exec_lo
	v_cmpx_nle_f32_e64 0x40a00000, |v51|
	s_cbranch_execz .LBB15_221
; %bb.210:
	v_mov_b32_e32 v52, 6
	s_mov_b32 s3, exec_lo
	v_cmpx_nle_f32_e64 0x40600000, |v51|
	s_cbranch_execz .LBB15_220
; %bb.211:
	v_mov_b32_e32 v52, 5
	;; [unrolled: 5-line block ×5, first 2 shown]
	s_mov_b32 s9, exec_lo
	v_cmpx_nle_f32_e64 0x3f400000, |v51|
; %bb.215:
	v_cmp_le_f32_e64 s10, 0x3e800000, |v51|
	s_delay_alu instid0(VALU_DEP_1)
	v_cndmask_b32_e64 v52, 0, 1, s10
; %bb.216:
	s_or_b32 exec_lo, exec_lo, s9
.LBB15_217:
	s_delay_alu instid0(SALU_CYCLE_1)
	s_or_b32 exec_lo, exec_lo, s8
.LBB15_218:
	s_delay_alu instid0(SALU_CYCLE_1)
	s_or_b32 exec_lo, exec_lo, s7
.LBB15_219:
	s_delay_alu instid0(SALU_CYCLE_1)
	s_or_b32 exec_lo, exec_lo, s6
.LBB15_220:
	s_delay_alu instid0(SALU_CYCLE_1)
	s_or_b32 exec_lo, exec_lo, s3
.LBB15_221:
	s_delay_alu instid0(SALU_CYCLE_1) | instskip(SKIP_3) | instid1(VALU_DEP_2)
	s_or_b32 exec_lo, exec_lo, s2
	v_dual_mul_f32 v56, v10, v47 :: v_dual_mov_b32 v47, 7
	v_mov_b32_e32 v55, 7
	s_mov_b32 s2, exec_lo
	v_cmpx_nle_f32_e64 0x40a00000, |v56|
	s_cbranch_execz .LBB15_233
; %bb.222:
	v_mov_b32_e32 v55, 6
	s_mov_b32 s3, exec_lo
	v_cmpx_nle_f32_e64 0x40600000, |v56|
	s_cbranch_execz .LBB15_232
; %bb.223:
	;; [unrolled: 5-line block ×5, first 2 shown]
	v_mov_b32_e32 v55, 2
	s_mov_b32 s9, exec_lo
	v_cmpx_nle_f32_e64 0x3f400000, |v56|
; %bb.227:
	v_cmp_le_f32_e64 s10, 0x3e800000, |v56|
	s_delay_alu instid0(VALU_DEP_1)
	v_cndmask_b32_e64 v55, 0, 1, s10
; %bb.228:
	s_or_b32 exec_lo, exec_lo, s9
.LBB15_229:
	s_delay_alu instid0(SALU_CYCLE_1)
	s_or_b32 exec_lo, exec_lo, s8
.LBB15_230:
	s_delay_alu instid0(SALU_CYCLE_1)
	s_or_b32 exec_lo, exec_lo, s7
.LBB15_231:
	s_delay_alu instid0(SALU_CYCLE_1)
	s_or_b32 exec_lo, exec_lo, s6
.LBB15_232:
	s_delay_alu instid0(SALU_CYCLE_1)
	s_or_b32 exec_lo, exec_lo, s3
.LBB15_233:
	s_delay_alu instid0(SALU_CYCLE_1) | instskip(SKIP_2) | instid1(VALU_DEP_1)
	s_or_b32 exec_lo, exec_lo, s2
	v_mul_f32_e32 v45, v10, v45
	s_mov_b32 s2, exec_lo
	v_cmpx_nle_f32_e64 0x40a00000, |v45|
	s_cbranch_execz .LBB15_245
; %bb.234:
	v_mov_b32_e32 v47, 6
	s_mov_b32 s3, exec_lo
	v_cmpx_nle_f32_e64 0x40600000, |v45|
	s_cbranch_execz .LBB15_244
; %bb.235:
	v_mov_b32_e32 v47, 5
	;; [unrolled: 5-line block ×5, first 2 shown]
	s_mov_b32 s9, exec_lo
	v_cmpx_nle_f32_e64 0x3f400000, |v45|
; %bb.239:
	v_cmp_le_f32_e64 s10, 0x3e800000, |v45|
	s_delay_alu instid0(VALU_DEP_1)
	v_cndmask_b32_e64 v47, 0, 1, s10
; %bb.240:
	s_or_b32 exec_lo, exec_lo, s9
.LBB15_241:
	s_delay_alu instid0(SALU_CYCLE_1)
	s_or_b32 exec_lo, exec_lo, s8
.LBB15_242:
	s_delay_alu instid0(SALU_CYCLE_1)
	s_or_b32 exec_lo, exec_lo, s7
.LBB15_243:
	s_delay_alu instid0(SALU_CYCLE_1)
	s_or_b32 exec_lo, exec_lo, s6
.LBB15_244:
	s_delay_alu instid0(SALU_CYCLE_1)
	s_or_b32 exec_lo, exec_lo, s3
.LBB15_245:
	s_delay_alu instid0(SALU_CYCLE_1) | instskip(SKIP_3) | instid1(VALU_DEP_2)
	s_or_b32 exec_lo, exec_lo, s2
	v_dual_mul_f32 v58, v10, v41 :: v_dual_mov_b32 v41, 7
	v_mov_b32_e32 v57, 7
	s_mov_b32 s2, exec_lo
	v_cmpx_nle_f32_e64 0x40a00000, |v58|
	s_cbranch_execz .LBB15_257
; %bb.246:
	v_mov_b32_e32 v57, 6
	s_mov_b32 s3, exec_lo
	v_cmpx_nle_f32_e64 0x40600000, |v58|
	s_cbranch_execz .LBB15_256
; %bb.247:
	;; [unrolled: 5-line block ×5, first 2 shown]
	v_mov_b32_e32 v57, 2
	s_mov_b32 s9, exec_lo
	v_cmpx_nle_f32_e64 0x3f400000, |v58|
; %bb.251:
	v_cmp_le_f32_e64 s10, 0x3e800000, |v58|
	s_delay_alu instid0(VALU_DEP_1)
	v_cndmask_b32_e64 v57, 0, 1, s10
; %bb.252:
	s_or_b32 exec_lo, exec_lo, s9
.LBB15_253:
	s_delay_alu instid0(SALU_CYCLE_1)
	s_or_b32 exec_lo, exec_lo, s8
.LBB15_254:
	s_delay_alu instid0(SALU_CYCLE_1)
	s_or_b32 exec_lo, exec_lo, s7
.LBB15_255:
	s_delay_alu instid0(SALU_CYCLE_1)
	s_or_b32 exec_lo, exec_lo, s6
.LBB15_256:
	s_delay_alu instid0(SALU_CYCLE_1)
	s_or_b32 exec_lo, exec_lo, s3
.LBB15_257:
	s_delay_alu instid0(SALU_CYCLE_1) | instskip(SKIP_2) | instid1(VALU_DEP_1)
	s_or_b32 exec_lo, exec_lo, s2
	v_mul_f32_e32 v39, v10, v39
	s_mov_b32 s2, exec_lo
	v_cmpx_nle_f32_e64 0x40a00000, |v39|
	s_cbranch_execz .LBB15_269
; %bb.258:
	v_mov_b32_e32 v41, 6
	s_mov_b32 s3, exec_lo
	v_cmpx_nle_f32_e64 0x40600000, |v39|
	s_cbranch_execz .LBB15_268
; %bb.259:
	v_mov_b32_e32 v41, 5
	;; [unrolled: 5-line block ×5, first 2 shown]
	s_mov_b32 s9, exec_lo
	v_cmpx_nle_f32_e64 0x3f400000, |v39|
; %bb.263:
	v_cmp_le_f32_e64 s10, 0x3e800000, |v39|
	s_delay_alu instid0(VALU_DEP_1)
	v_cndmask_b32_e64 v41, 0, 1, s10
; %bb.264:
	s_or_b32 exec_lo, exec_lo, s9
.LBB15_265:
	s_delay_alu instid0(SALU_CYCLE_1)
	s_or_b32 exec_lo, exec_lo, s8
.LBB15_266:
	s_delay_alu instid0(SALU_CYCLE_1)
	s_or_b32 exec_lo, exec_lo, s7
.LBB15_267:
	s_delay_alu instid0(SALU_CYCLE_1)
	s_or_b32 exec_lo, exec_lo, s6
.LBB15_268:
	s_delay_alu instid0(SALU_CYCLE_1)
	s_or_b32 exec_lo, exec_lo, s3
.LBB15_269:
	s_delay_alu instid0(SALU_CYCLE_1) | instskip(SKIP_3) | instid1(VALU_DEP_2)
	s_or_b32 exec_lo, exec_lo, s2
	v_dual_mul_f32 v59, v10, v35 :: v_dual_mov_b32 v60, 7
	v_mov_b32_e32 v35, 7
	s_mov_b32 s2, exec_lo
	v_cmpx_nle_f32_e64 0x40a00000, |v59|
	s_cbranch_execz .LBB15_281
; %bb.270:
	v_mov_b32_e32 v60, 6
	s_mov_b32 s3, exec_lo
	v_cmpx_nle_f32_e64 0x40600000, |v59|
	s_cbranch_execz .LBB15_280
; %bb.271:
	;; [unrolled: 5-line block ×5, first 2 shown]
	v_mov_b32_e32 v60, 2
	s_mov_b32 s9, exec_lo
	v_cmpx_nle_f32_e64 0x3f400000, |v59|
; %bb.275:
	v_cmp_le_f32_e64 s10, 0x3e800000, |v59|
	s_delay_alu instid0(VALU_DEP_1)
	v_cndmask_b32_e64 v60, 0, 1, s10
; %bb.276:
	s_or_b32 exec_lo, exec_lo, s9
.LBB15_277:
	s_delay_alu instid0(SALU_CYCLE_1)
	s_or_b32 exec_lo, exec_lo, s8
.LBB15_278:
	s_delay_alu instid0(SALU_CYCLE_1)
	s_or_b32 exec_lo, exec_lo, s7
.LBB15_279:
	s_delay_alu instid0(SALU_CYCLE_1)
	s_or_b32 exec_lo, exec_lo, s6
.LBB15_280:
	s_delay_alu instid0(SALU_CYCLE_1)
	s_or_b32 exec_lo, exec_lo, s3
.LBB15_281:
	s_delay_alu instid0(SALU_CYCLE_1) | instskip(SKIP_2) | instid1(VALU_DEP_1)
	s_or_b32 exec_lo, exec_lo, s2
	v_mul_f32_e32 v33, v10, v33
	s_mov_b32 s2, exec_lo
	v_cmpx_nle_f32_e64 0x40a00000, |v33|
	s_cbranch_execz .LBB15_293
; %bb.282:
	v_mov_b32_e32 v35, 6
	s_mov_b32 s3, exec_lo
	v_cmpx_nle_f32_e64 0x40600000, |v33|
	s_cbranch_execz .LBB15_292
; %bb.283:
	v_mov_b32_e32 v35, 5
	s_mov_b32 s6, exec_lo
	v_cmpx_nle_f32_e64 0x40200000, |v33|
	s_cbranch_execz .LBB15_291
; %bb.284:
	v_mov_b32_e32 v35, 4
	s_mov_b32 s7, exec_lo
	v_cmpx_nle_f32_e64 0x3fe00000, |v33|
	s_cbranch_execz .LBB15_290
; %bb.285:
	v_mov_b32_e32 v35, 3
	s_mov_b32 s8, exec_lo
	v_cmpx_nle_f32_e64 0x3fa00000, |v33|
	s_cbranch_execz .LBB15_289
; %bb.286:
	v_mov_b32_e32 v35, 2
	s_mov_b32 s9, exec_lo
	v_cmpx_nle_f32_e64 0x3f400000, |v33|
; %bb.287:
	v_cmp_le_f32_e64 s10, 0x3e800000, |v33|
	s_delay_alu instid0(VALU_DEP_1)
	v_cndmask_b32_e64 v35, 0, 1, s10
; %bb.288:
	s_or_b32 exec_lo, exec_lo, s9
.LBB15_289:
	s_delay_alu instid0(SALU_CYCLE_1)
	s_or_b32 exec_lo, exec_lo, s8
.LBB15_290:
	s_delay_alu instid0(SALU_CYCLE_1)
	s_or_b32 exec_lo, exec_lo, s7
.LBB15_291:
	s_delay_alu instid0(SALU_CYCLE_1)
	s_or_b32 exec_lo, exec_lo, s6
.LBB15_292:
	s_delay_alu instid0(SALU_CYCLE_1)
	s_or_b32 exec_lo, exec_lo, s3
.LBB15_293:
	s_delay_alu instid0(SALU_CYCLE_1) | instskip(SKIP_3) | instid1(VALU_DEP_2)
	s_or_b32 exec_lo, exec_lo, s2
	v_dual_mul_f32 v62, v10, v30 :: v_dual_mov_b32 v61, 7
	v_mov_b32_e32 v30, 7
	s_mov_b32 s2, exec_lo
	v_cmpx_nle_f32_e64 0x40a00000, |v62|
	s_cbranch_execz .LBB15_305
; %bb.294:
	v_mov_b32_e32 v61, 6
	s_mov_b32 s3, exec_lo
	v_cmpx_nle_f32_e64 0x40600000, |v62|
	s_cbranch_execz .LBB15_304
; %bb.295:
	;; [unrolled: 5-line block ×5, first 2 shown]
	v_mov_b32_e32 v61, 2
	s_mov_b32 s9, exec_lo
	v_cmpx_nle_f32_e64 0x3f400000, |v62|
; %bb.299:
	v_cmp_le_f32_e64 s10, 0x3e800000, |v62|
	s_delay_alu instid0(VALU_DEP_1)
	v_cndmask_b32_e64 v61, 0, 1, s10
; %bb.300:
	s_or_b32 exec_lo, exec_lo, s9
.LBB15_301:
	s_delay_alu instid0(SALU_CYCLE_1)
	s_or_b32 exec_lo, exec_lo, s8
.LBB15_302:
	s_delay_alu instid0(SALU_CYCLE_1)
	s_or_b32 exec_lo, exec_lo, s7
.LBB15_303:
	s_delay_alu instid0(SALU_CYCLE_1)
	s_or_b32 exec_lo, exec_lo, s6
.LBB15_304:
	s_delay_alu instid0(SALU_CYCLE_1)
	s_or_b32 exec_lo, exec_lo, s3
.LBB15_305:
	s_delay_alu instid0(SALU_CYCLE_1) | instskip(SKIP_2) | instid1(VALU_DEP_1)
	s_or_b32 exec_lo, exec_lo, s2
	v_mul_f32_e32 v27, v10, v27
	s_mov_b32 s2, exec_lo
	v_cmpx_nle_f32_e64 0x40a00000, |v27|
	s_cbranch_execz .LBB15_317
; %bb.306:
	v_mov_b32_e32 v30, 6
	s_mov_b32 s3, exec_lo
	v_cmpx_nle_f32_e64 0x40600000, |v27|
	s_cbranch_execz .LBB15_316
; %bb.307:
	v_mov_b32_e32 v30, 5
	;; [unrolled: 5-line block ×5, first 2 shown]
	s_mov_b32 s9, exec_lo
	v_cmpx_nle_f32_e64 0x3f400000, |v27|
; %bb.311:
	v_cmp_le_f32_e64 s10, 0x3e800000, |v27|
	s_delay_alu instid0(VALU_DEP_1)
	v_cndmask_b32_e64 v30, 0, 1, s10
; %bb.312:
	s_or_b32 exec_lo, exec_lo, s9
.LBB15_313:
	s_delay_alu instid0(SALU_CYCLE_1)
	s_or_b32 exec_lo, exec_lo, s8
.LBB15_314:
	s_delay_alu instid0(SALU_CYCLE_1)
	s_or_b32 exec_lo, exec_lo, s7
.LBB15_315:
	s_delay_alu instid0(SALU_CYCLE_1)
	s_or_b32 exec_lo, exec_lo, s6
.LBB15_316:
	s_delay_alu instid0(SALU_CYCLE_1)
	s_or_b32 exec_lo, exec_lo, s3
.LBB15_317:
	s_delay_alu instid0(SALU_CYCLE_1) | instskip(SKIP_3) | instid1(VALU_DEP_2)
	s_or_b32 exec_lo, exec_lo, s2
	v_dual_mul_f32 v64, v10, v25 :: v_dual_mov_b32 v25, 7
	v_mov_b32_e32 v63, 7
	s_mov_b32 s2, exec_lo
	v_cmpx_nle_f32_e64 0x40a00000, |v64|
	s_cbranch_execz .LBB15_329
; %bb.318:
	v_mov_b32_e32 v63, 6
	s_mov_b32 s3, exec_lo
	v_cmpx_nle_f32_e64 0x40600000, |v64|
	s_cbranch_execz .LBB15_328
; %bb.319:
	;; [unrolled: 5-line block ×5, first 2 shown]
	v_mov_b32_e32 v63, 2
	s_mov_b32 s9, exec_lo
	v_cmpx_nle_f32_e64 0x3f400000, |v64|
; %bb.323:
	v_cmp_le_f32_e64 s10, 0x3e800000, |v64|
	s_delay_alu instid0(VALU_DEP_1)
	v_cndmask_b32_e64 v63, 0, 1, s10
; %bb.324:
	s_or_b32 exec_lo, exec_lo, s9
.LBB15_325:
	s_delay_alu instid0(SALU_CYCLE_1)
	s_or_b32 exec_lo, exec_lo, s8
.LBB15_326:
	s_delay_alu instid0(SALU_CYCLE_1)
	s_or_b32 exec_lo, exec_lo, s7
.LBB15_327:
	s_delay_alu instid0(SALU_CYCLE_1)
	s_or_b32 exec_lo, exec_lo, s6
.LBB15_328:
	s_delay_alu instid0(SALU_CYCLE_1)
	s_or_b32 exec_lo, exec_lo, s3
.LBB15_329:
	s_delay_alu instid0(SALU_CYCLE_1) | instskip(SKIP_2) | instid1(VALU_DEP_1)
	s_or_b32 exec_lo, exec_lo, s2
	v_mul_f32_e32 v21, v10, v21
	s_mov_b32 s2, exec_lo
	v_cmpx_nle_f32_e64 0x40a00000, |v21|
	s_cbranch_execz .LBB15_341
; %bb.330:
	v_mov_b32_e32 v25, 6
	s_mov_b32 s3, exec_lo
	v_cmpx_nle_f32_e64 0x40600000, |v21|
	s_cbranch_execz .LBB15_340
; %bb.331:
	v_mov_b32_e32 v25, 5
	;; [unrolled: 5-line block ×5, first 2 shown]
	s_mov_b32 s9, exec_lo
	v_cmpx_nle_f32_e64 0x3f400000, |v21|
; %bb.335:
	v_cmp_le_f32_e64 s10, 0x3e800000, |v21|
	s_delay_alu instid0(VALU_DEP_1)
	v_cndmask_b32_e64 v25, 0, 1, s10
; %bb.336:
	s_or_b32 exec_lo, exec_lo, s9
.LBB15_337:
	s_delay_alu instid0(SALU_CYCLE_1)
	s_or_b32 exec_lo, exec_lo, s8
.LBB15_338:
	s_delay_alu instid0(SALU_CYCLE_1)
	s_or_b32 exec_lo, exec_lo, s7
.LBB15_339:
	s_delay_alu instid0(SALU_CYCLE_1)
	s_or_b32 exec_lo, exec_lo, s6
.LBB15_340:
	s_delay_alu instid0(SALU_CYCLE_1)
	s_or_b32 exec_lo, exec_lo, s3
.LBB15_341:
	s_delay_alu instid0(SALU_CYCLE_1) | instskip(SKIP_3) | instid1(VALU_DEP_2)
	s_or_b32 exec_lo, exec_lo, s2
	v_dual_mul_f32 v65, v10, v19 :: v_dual_mov_b32 v66, 7
	v_mov_b32_e32 v19, 7
	s_mov_b32 s2, exec_lo
	v_cmpx_nle_f32_e64 0x40a00000, |v65|
	s_cbranch_execz .LBB15_353
; %bb.342:
	v_mov_b32_e32 v66, 6
	s_mov_b32 s3, exec_lo
	v_cmpx_nle_f32_e64 0x40600000, |v65|
	s_cbranch_execz .LBB15_352
; %bb.343:
	;; [unrolled: 5-line block ×5, first 2 shown]
	v_mov_b32_e32 v66, 2
	s_mov_b32 s9, exec_lo
	v_cmpx_nle_f32_e64 0x3f400000, |v65|
; %bb.347:
	v_cmp_le_f32_e64 s10, 0x3e800000, |v65|
	s_delay_alu instid0(VALU_DEP_1)
	v_cndmask_b32_e64 v66, 0, 1, s10
; %bb.348:
	s_or_b32 exec_lo, exec_lo, s9
.LBB15_349:
	s_delay_alu instid0(SALU_CYCLE_1)
	s_or_b32 exec_lo, exec_lo, s8
.LBB15_350:
	s_delay_alu instid0(SALU_CYCLE_1)
	s_or_b32 exec_lo, exec_lo, s7
.LBB15_351:
	s_delay_alu instid0(SALU_CYCLE_1)
	s_or_b32 exec_lo, exec_lo, s6
.LBB15_352:
	s_delay_alu instid0(SALU_CYCLE_1)
	s_or_b32 exec_lo, exec_lo, s3
.LBB15_353:
	s_delay_alu instid0(SALU_CYCLE_1) | instskip(SKIP_2) | instid1(VALU_DEP_1)
	s_or_b32 exec_lo, exec_lo, s2
	v_mul_f32_e32 v15, v10, v15
	s_mov_b32 s2, exec_lo
	v_cmpx_nle_f32_e64 0x40a00000, |v15|
	s_cbranch_execz .LBB15_365
; %bb.354:
	v_mov_b32_e32 v19, 6
	s_mov_b32 s3, exec_lo
	v_cmpx_nle_f32_e64 0x40600000, |v15|
	s_cbranch_execz .LBB15_364
; %bb.355:
	v_mov_b32_e32 v19, 5
	;; [unrolled: 5-line block ×5, first 2 shown]
	s_mov_b32 s9, exec_lo
	v_cmpx_nle_f32_e64 0x3f400000, |v15|
; %bb.359:
	v_cmp_le_f32_e64 s10, 0x3e800000, |v15|
	s_delay_alu instid0(VALU_DEP_1)
	v_cndmask_b32_e64 v19, 0, 1, s10
; %bb.360:
	s_or_b32 exec_lo, exec_lo, s9
.LBB15_361:
	s_delay_alu instid0(SALU_CYCLE_1)
	s_or_b32 exec_lo, exec_lo, s8
.LBB15_362:
	s_delay_alu instid0(SALU_CYCLE_1)
	s_or_b32 exec_lo, exec_lo, s7
.LBB15_363:
	s_delay_alu instid0(SALU_CYCLE_1)
	s_or_b32 exec_lo, exec_lo, s6
.LBB15_364:
	s_delay_alu instid0(SALU_CYCLE_1)
	s_or_b32 exec_lo, exec_lo, s3
.LBB15_365:
	s_delay_alu instid0(SALU_CYCLE_1) | instskip(SKIP_4) | instid1(VALU_DEP_2)
	s_or_b32 exec_lo, exec_lo, s2
	s_load_b64 s[2:3], s[0:1], 0x10
	v_dual_mul_f32 v68, v10, v13 :: v_dual_mov_b32 v13, 7
	v_mov_b32_e32 v67, 7
	s_mov_b32 s6, exec_lo
	v_cmpx_nle_f32_e64 0x40a00000, |v68|
	s_cbranch_execz .LBB15_377
; %bb.366:
	v_mov_b32_e32 v67, 6
	s_mov_b32 s7, exec_lo
	v_cmpx_nle_f32_e64 0x40600000, |v68|
	s_cbranch_execz .LBB15_376
; %bb.367:
	;; [unrolled: 5-line block ×5, first 2 shown]
	v_mov_b32_e32 v67, 2
	s_mov_b32 s11, exec_lo
	v_cmpx_nle_f32_e64 0x3f400000, |v68|
; %bb.371:
	v_cmp_le_f32_e64 s12, 0x3e800000, |v68|
	s_delay_alu instid0(VALU_DEP_1)
	v_cndmask_b32_e64 v67, 0, 1, s12
; %bb.372:
	s_or_b32 exec_lo, exec_lo, s11
.LBB15_373:
	s_delay_alu instid0(SALU_CYCLE_1)
	s_or_b32 exec_lo, exec_lo, s10
.LBB15_374:
	s_delay_alu instid0(SALU_CYCLE_1)
	s_or_b32 exec_lo, exec_lo, s9
.LBB15_375:
	s_delay_alu instid0(SALU_CYCLE_1)
	s_or_b32 exec_lo, exec_lo, s8
.LBB15_376:
	s_delay_alu instid0(SALU_CYCLE_1)
	s_or_b32 exec_lo, exec_lo, s7
.LBB15_377:
	s_delay_alu instid0(SALU_CYCLE_1) | instskip(SKIP_3) | instid1(VALU_DEP_1)
	s_or_b32 exec_lo, exec_lo, s6
	s_load_b64 s[0:1], s[0:1], 0x8
	v_mul_f32_e32 v8, v10, v8
	s_mov_b32 s6, exec_lo
	v_cmpx_nle_f32_e64 0x40a00000, |v8|
	s_cbranch_execz .LBB15_389
; %bb.378:
	v_mov_b32_e32 v13, 6
	s_mov_b32 s7, exec_lo
	v_cmpx_nle_f32_e64 0x40600000, |v8|
	s_cbranch_execz .LBB15_388
; %bb.379:
	v_mov_b32_e32 v13, 5
	;; [unrolled: 5-line block ×5, first 2 shown]
	s_mov_b32 s11, exec_lo
	v_cmpx_nle_f32_e64 0x3f400000, |v8|
; %bb.383:
	v_cmp_le_f32_e64 s12, 0x3e800000, |v8|
	s_delay_alu instid0(VALU_DEP_1)
	v_cndmask_b32_e64 v13, 0, 1, s12
; %bb.384:
	s_or_b32 exec_lo, exec_lo, s11
.LBB15_385:
	s_delay_alu instid0(SALU_CYCLE_1)
	s_or_b32 exec_lo, exec_lo, s10
.LBB15_386:
	s_delay_alu instid0(SALU_CYCLE_1)
	s_or_b32 exec_lo, exec_lo, s9
.LBB15_387:
	s_delay_alu instid0(SALU_CYCLE_1)
	s_or_b32 exec_lo, exec_lo, s8
.LBB15_388:
	s_delay_alu instid0(SALU_CYCLE_1)
	s_or_b32 exec_lo, exec_lo, s7
.LBB15_389:
	s_delay_alu instid0(SALU_CYCLE_1)
	s_or_b32 exec_lo, exec_lo, s6
	v_cmp_gt_f32_e32 vcc_lo, 0, v68
	v_lshlrev_b16 v6, 4, v6
	v_lshlrev_b16 v9, 4, v9
	;; [unrolled: 1-line block ×4, first 2 shown]
	v_cndmask_b32_e64 v10, 0, 1, vcc_lo
	v_cmp_gt_f32_e32 vcc_lo, 0, v65
	v_lshlrev_b16 v19, 4, v19
	s_lshr_b32 s6, s4, 31
	s_delay_alu instid0(SALU_CYCLE_1) | instskip(SKIP_4) | instid1(VALU_DEP_3)
	s_add_i32 s4, s4, s6
	v_cndmask_b32_e64 v65, 0, 1, vcc_lo
	v_cmp_gt_f32_e32 vcc_lo, 0, v64
	v_lshlrev_b16 v10, 3, v10
	s_ashr_i32 s4, s4, 1
	v_lshlrev_b16 v65, 3, v65
	v_cndmask_b32_e64 v64, 0, 1, vcc_lo
	v_cmp_gt_f32_e32 vcc_lo, 0, v62
	v_or_b32_e32 v10, v10, v67
	s_ashr_i32 s6, s4, 31
	v_or_b32_e32 v65, v65, v66
	v_lshlrev_b16 v64, 3, v64
	v_cndmask_b32_e64 v62, 0, 1, vcc_lo
	v_cmp_gt_f32_e32 vcc_lo, 0, v59
	v_mul_lo_u32 v1, v1, s4
	s_delay_alu instid0(VALU_DEP_4) | instskip(NEXT) | instid1(VALU_DEP_4)
	v_or_b32_e32 v63, v64, v63
	v_lshlrev_b16 v62, 3, v62
	v_cndmask_b32_e64 v59, 0, 1, vcc_lo
	v_cmp_gt_f32_e32 vcc_lo, 0, v58
	s_delay_alu instid0(VALU_DEP_3) | instskip(NEXT) | instid1(VALU_DEP_3)
	v_or_b32_e32 v61, v62, v61
	v_lshlrev_b16 v59, 3, v59
	v_cndmask_b32_e64 v58, 0, 1, vcc_lo
	v_cmp_gt_f32_e32 vcc_lo, 0, v56
	s_delay_alu instid0(VALU_DEP_3) | instskip(NEXT) | instid1(VALU_DEP_3)
	;; [unrolled: 5-line block ×10, first 2 shown]
	v_or_b32_e32 v11, v11, v12
	v_lshlrev_b16 v24, 3, v24
	v_cndmask_b32_e64 v18, 0, 1, vcc_lo
	v_cmp_gt_f32_e32 vcc_lo, 0, v5
	s_delay_alu instid0(VALU_DEP_2) | instskip(SKIP_2) | instid1(VALU_DEP_2)
	v_lshlrev_b16 v18, 3, v18
	v_cndmask_b32_e64 v5, 0, 1, vcc_lo
	v_cmp_gt_f32_e32 vcc_lo, 0, v7
	v_lshlrev_b16 v5, 3, v5
	v_cndmask_b32_e64 v7, 0, 1, vcc_lo
	v_cmp_gt_f32_e32 vcc_lo, 0, v14
	s_delay_alu instid0(VALU_DEP_3) | instskip(NEXT) | instid1(VALU_DEP_3)
	v_or_b32_e32 v4, v5, v4
	v_lshlrev_b16 v7, 7, v7
	v_cndmask_b32_e64 v12, 0, 1, vcc_lo
	v_cmp_gt_f32_e32 vcc_lo, 0, v20
	s_delay_alu instid0(VALU_DEP_3) | instskip(NEXT) | instid1(VALU_DEP_3)
	v_or_b32_e32 v5, v7, v6
	v_lshlrev_b16 v12, 7, v12
	v_cndmask_b32_e64 v14, 0, 1, vcc_lo
	v_lshlrev_b16 v7, 4, v17
	v_cmp_gt_f32_e32 vcc_lo, 0, v26
	v_or_b32_e32 v4, v5, v4
	v_or_b32_e32 v6, v12, v9
	v_lshlrev_b16 v9, 7, v14
	v_or_b32_e32 v14, v18, v16
	v_lshlrev_b16 v17, 4, v28
	v_lshlrev_b16 v18, 4, v34
	v_or_b32_e32 v5, v6, v11
	v_or_b32_e32 v6, v9, v7
	v_cndmask_b32_e64 v9, 0, 1, vcc_lo
	v_cmp_gt_f32_e32 vcc_lo, 0, v32
	v_lshlrev_b16 v7, 4, v22
	v_or_b32_e32 v12, v24, v23
	v_or_b32_e32 v6, v6, v14
	v_lshlrev_b16 v9, 7, v9
	v_cndmask_b32_e64 v11, 0, 1, vcc_lo
	v_cmp_gt_f32_e32 vcc_lo, 0, v38
	v_lshlrev_b16 v14, 4, v46
	v_lshlrev_b16 v22, 4, v47
	v_or_b32_e32 v7, v9, v7
	v_lshlrev_b16 v11, 7, v11
	v_cndmask_b32_e64 v16, 0, 1, vcc_lo
	v_cmp_gt_f32_e32 vcc_lo, 0, v42
	v_lshlrev_b16 v5, 8, v5
	v_or_b32_e32 v7, v7, v12
	v_or_b32_e32 v9, v11, v17
	v_lshlrev_b16 v16, 7, v16
	v_cndmask_b32_e64 v20, 0, 1, vcc_lo
	v_cmp_gt_f32_e32 vcc_lo, 0, v48
	v_or_b32_e32 v4, v4, v5
	v_or_b32_e32 v9, v9, v29
	;; [unrolled: 1-line block ×3, first 2 shown]
	v_lshlrev_b16 v16, 4, v40
	v_lshlrev_b16 v17, 7, v20
	;; [unrolled: 1-line block ×4, first 2 shown]
	v_or_b32_e32 v11, v11, v36
	s_delay_alu instid0(VALU_DEP_4) | instskip(SKIP_2) | instid1(VALU_DEP_4)
	v_or_b32_e32 v12, v17, v16
	v_cndmask_b32_e64 v16, 0, 1, vcc_lo
	v_cmp_gt_f32_e32 vcc_lo, 0, v51
	v_lshlrev_b16 v11, 8, v11
	s_delay_alu instid0(VALU_DEP_4) | instskip(NEXT) | instid1(VALU_DEP_4)
	v_or_b32_e32 v12, v12, v43
	v_lshlrev_b16 v16, 7, v16
	v_cndmask_b32_e64 v17, 0, 1, vcc_lo
	v_cmp_gt_f32_e32 vcc_lo, 0, v45
	v_or_b32_e32 v9, v9, v11
	s_delay_alu instid0(VALU_DEP_4) | instskip(NEXT) | instid1(VALU_DEP_4)
	v_or_b32_e32 v14, v16, v14
	v_lshlrev_b16 v17, 7, v17
	v_cndmask_b32_e64 v18, 0, 1, vcc_lo
	v_cmp_gt_f32_e32 vcc_lo, 0, v39
	s_delay_alu instid0(VALU_DEP_4) | instskip(NEXT) | instid1(VALU_DEP_4)
	v_or_b32_e32 v14, v14, v49
	v_or_b32_e32 v16, v17, v20
	s_delay_alu instid0(VALU_DEP_4)
	v_lshlrev_b16 v18, 7, v18
	v_cndmask_b32_e64 v23, 0, 1, vcc_lo
	v_cmp_gt_f32_e32 vcc_lo, 0, v33
	v_lshlrev_b16 v11, 8, v14
	v_or_b32_e32 v16, v16, v53
	v_or_b32_e32 v17, v18, v22
	v_lshlrev_b16 v18, 4, v41
	v_cndmask_b32_e64 v22, 0, 1, vcc_lo
	v_cmp_gt_f32_e32 vcc_lo, 0, v21
	v_lshlrev_b16 v20, 7, v23
	v_lshlrev_b16 v23, 4, v30
	v_or_b32_e32 v17, v17, v55
	v_and_b32_e32 v14, 0xffff, v9
	v_cndmask_b32_e64 v21, 0, 1, vcc_lo
	v_cmp_gt_f32_e32 vcc_lo, 0, v27
	v_or_b32_e32 v18, v20, v18
	v_lshlrev_b16 v20, 4, v35
	s_delay_alu instid0(VALU_DEP_4) | instskip(SKIP_3) | instid1(VALU_DEP_4)
	v_lshlrev_b16 v21, 7, v21
	v_cndmask_b32_e64 v24, 0, 1, vcc_lo
	v_cmp_gt_f32_e32 vcc_lo, 0, v8
	v_or_b32_e32 v18, v18, v57
	v_or_b32_e32 v21, v21, v25
	s_delay_alu instid0(VALU_DEP_4) | instskip(SKIP_2) | instid1(VALU_DEP_2)
	v_lshlrev_b16 v24, 7, v24
	v_cndmask_b32_e64 v8, 0, 1, vcc_lo
	v_cmp_gt_f32_e32 vcc_lo, 0, v15
	v_lshlrev_b16 v8, 7, v8
	v_cndmask_b32_e64 v15, 0, 1, vcc_lo
	s_delay_alu instid0(VALU_DEP_2) | instskip(NEXT) | instid1(VALU_DEP_2)
	v_or_b32_e32 v8, v8, v13
	v_lshlrev_b16 v15, 7, v15
	v_lshlrev_b16 v13, 7, v22
	v_or_b32_e32 v22, v24, v23
	s_delay_alu instid0(VALU_DEP_4) | instskip(NEXT) | instid1(VALU_DEP_4)
	v_or_b32_e32 v8, v8, v10
	v_or_b32_e32 v15, v15, v19
	;; [unrolled: 1-line block ×5, first 2 shown]
	v_lshlrev_b16 v8, 8, v8
	v_or_b32_e32 v15, v15, v65
	v_lshlrev_b16 v19, 8, v19
	v_lshrrev_b32_e32 v20, 23, v3
	v_or_b32_e32 v10, v10, v59
	s_delay_alu instid0(VALU_DEP_4) | instskip(NEXT) | instid1(VALU_DEP_4)
	v_or_b32_e32 v8, v15, v8
	v_or_b32_e32 v3, v13, v19
	v_lshlrev_b16 v13, 8, v17
	s_delay_alu instid0(VALU_DEP_4) | instskip(NEXT) | instid1(VALU_DEP_4)
	v_lshlrev_b16 v10, 8, v10
	v_lshlrev_b32_e32 v15, 16, v8
	s_delay_alu instid0(VALU_DEP_4) | instskip(NEXT) | instid1(VALU_DEP_4)
	v_and_b32_e32 v3, 0xffff, v3
	v_or_b32_e32 v8, v16, v13
	v_mul_lo_u32 v16, v0, s6
	v_or_b32_e32 v10, v18, v10
	s_delay_alu instid0(VALU_DEP_3)
	v_and_b32_e32 v13, 0xffff, v8
	v_or_b32_e32 v8, v12, v11
	v_and_b32_e32 v12, 0xffff, v4
	v_or_b32_e32 v4, v6, v5
	s_waitcnt lgkmcnt(0)
	v_mad_u64_u32 v[6:7], null, v0, s4, s[0:1]
	v_lshlrev_b32_e32 v11, 16, v8
	v_mad_u64_u32 v[8:9], null, v0, s5, v[2:3]
	v_lshlrev_b32_e32 v0, 16, v4
	v_lshlrev_b32_e32 v9, 4, v2
	;; [unrolled: 1-line block ×3, first 2 shown]
	v_add3_u32 v1, v1, v7, v16
	v_or_b32_e32 v5, v3, v15
	v_or_b32_e32 v2, v12, v0
	v_ashrrev_i32_e32 v7, 31, v8
	v_add_co_u32 v0, vcc_lo, v6, v9
	v_add_co_ci_u32_e32 v1, vcc_lo, 0, v1, vcc_lo
	v_add_co_u32 v6, vcc_lo, s2, v8
	v_or_b32_e32 v4, v13, v10
	v_or_b32_e32 v3, v14, v11
	v_add_co_ci_u32_e32 v7, vcc_lo, s3, v7, vcc_lo
	global_store_b128 v[0:1], v[2:5], off
	global_store_b8 v[6:7], v20, off
.LBB15_390:
	s_nop 0
	s_sendmsg sendmsg(MSG_DEALLOC_VGPRS)
	s_endpgm
	.section	.rodata,"a",@progbits
	.p2align	6, 0x0
	.amdhsa_kernel _ZN5aiter18quant_mxfp4_kernelI6__halfLNS_16MxScaleRoundModeE2ELb0ELb0ELb0EEEvPKT_PhPfliiib
		.amdhsa_group_segment_fixed_size 0
		.amdhsa_private_segment_fixed_size 0
		.amdhsa_kernarg_size 304
		.amdhsa_user_sgpr_count 15
		.amdhsa_user_sgpr_dispatch_ptr 0
		.amdhsa_user_sgpr_queue_ptr 0
		.amdhsa_user_sgpr_kernarg_segment_ptr 1
		.amdhsa_user_sgpr_dispatch_id 0
		.amdhsa_user_sgpr_private_segment_size 0
		.amdhsa_wavefront_size32 1
		.amdhsa_uses_dynamic_stack 0
		.amdhsa_enable_private_segment 0
		.amdhsa_system_sgpr_workgroup_id_x 1
		.amdhsa_system_sgpr_workgroup_id_y 0
		.amdhsa_system_sgpr_workgroup_id_z 0
		.amdhsa_system_sgpr_workgroup_info 0
		.amdhsa_system_vgpr_workitem_id 0
		.amdhsa_next_free_vgpr 69
		.amdhsa_next_free_sgpr 16
		.amdhsa_reserve_vcc 1
		.amdhsa_float_round_mode_32 0
		.amdhsa_float_round_mode_16_64 0
		.amdhsa_float_denorm_mode_32 3
		.amdhsa_float_denorm_mode_16_64 3
		.amdhsa_dx10_clamp 1
		.amdhsa_ieee_mode 1
		.amdhsa_fp16_overflow 0
		.amdhsa_workgroup_processor_mode 1
		.amdhsa_memory_ordered 1
		.amdhsa_forward_progress 0
		.amdhsa_shared_vgpr_count 0
		.amdhsa_exception_fp_ieee_invalid_op 0
		.amdhsa_exception_fp_denorm_src 0
		.amdhsa_exception_fp_ieee_div_zero 0
		.amdhsa_exception_fp_ieee_overflow 0
		.amdhsa_exception_fp_ieee_underflow 0
		.amdhsa_exception_fp_ieee_inexact 0
		.amdhsa_exception_int_div_zero 0
	.end_amdhsa_kernel
	.section	.text._ZN5aiter18quant_mxfp4_kernelI6__halfLNS_16MxScaleRoundModeE2ELb0ELb0ELb0EEEvPKT_PhPfliiib,"axG",@progbits,_ZN5aiter18quant_mxfp4_kernelI6__halfLNS_16MxScaleRoundModeE2ELb0ELb0ELb0EEEvPKT_PhPfliiib,comdat
.Lfunc_end15:
	.size	_ZN5aiter18quant_mxfp4_kernelI6__halfLNS_16MxScaleRoundModeE2ELb0ELb0ELb0EEEvPKT_PhPfliiib, .Lfunc_end15-_ZN5aiter18quant_mxfp4_kernelI6__halfLNS_16MxScaleRoundModeE2ELb0ELb0ELb0EEEvPKT_PhPfliiib
                                        ; -- End function
	.section	.AMDGPU.csdata,"",@progbits
; Kernel info:
; codeLenInByte = 10044
; NumSgprs: 18
; NumVgprs: 69
; ScratchSize: 0
; MemoryBound: 0
; FloatMode: 240
; IeeeMode: 1
; LDSByteSize: 0 bytes/workgroup (compile time only)
; SGPRBlocks: 2
; VGPRBlocks: 8
; NumSGPRsForWavesPerEU: 18
; NumVGPRsForWavesPerEU: 69
; Occupancy: 16
; WaveLimiterHint : 0
; COMPUTE_PGM_RSRC2:SCRATCH_EN: 0
; COMPUTE_PGM_RSRC2:USER_SGPR: 15
; COMPUTE_PGM_RSRC2:TRAP_HANDLER: 0
; COMPUTE_PGM_RSRC2:TGID_X_EN: 1
; COMPUTE_PGM_RSRC2:TGID_Y_EN: 0
; COMPUTE_PGM_RSRC2:TGID_Z_EN: 0
; COMPUTE_PGM_RSRC2:TIDIG_COMP_CNT: 0
	.section	.text._ZN5aiter18quant_mxfp4_kernelI6__halfLNS_16MxScaleRoundModeE3ELb1ELb0ELb1EEEvPKT_PhPfliiib,"axG",@progbits,_ZN5aiter18quant_mxfp4_kernelI6__halfLNS_16MxScaleRoundModeE3ELb1ELb0ELb1EEEvPKT_PhPfliiib,comdat
	.protected	_ZN5aiter18quant_mxfp4_kernelI6__halfLNS_16MxScaleRoundModeE3ELb1ELb0ELb1EEEvPKT_PhPfliiib ; -- Begin function _ZN5aiter18quant_mxfp4_kernelI6__halfLNS_16MxScaleRoundModeE3ELb1ELb0ELb1EEEvPKT_PhPfliiib
	.globl	_ZN5aiter18quant_mxfp4_kernelI6__halfLNS_16MxScaleRoundModeE3ELb1ELb0ELb1EEEvPKT_PhPfliiib
	.p2align	8
	.type	_ZN5aiter18quant_mxfp4_kernelI6__halfLNS_16MxScaleRoundModeE3ELb1ELb0ELb1EEEvPKT_PhPfliiib,@function
_ZN5aiter18quant_mxfp4_kernelI6__halfLNS_16MxScaleRoundModeE3ELb1ELb0ELb1EEEvPKT_PhPfliiib: ; @_ZN5aiter18quant_mxfp4_kernelI6__halfLNS_16MxScaleRoundModeE3ELb1ELb0ELb1EEEvPKT_PhPfliiib
; %bb.0:
	s_clause 0x1
	s_load_b32 s2, s[0:1], 0x3c
	s_load_b128 s[4:7], s[0:1], 0x20
	v_mov_b32_e32 v1, 0
	s_mov_b32 s3, exec_lo
	s_delay_alu instid0(VALU_DEP_1) | instskip(SKIP_2) | instid1(SALU_CYCLE_1)
	v_mov_b32_e32 v4, v1
	s_waitcnt lgkmcnt(0)
	s_and_b32 s2, s2, 0xffff
	v_mad_u64_u32 v[2:3], null, s2, s15, v[0:1]
	s_ashr_i32 s2, s6, 31
                                        ; implicit-def: $vgpr0_vgpr1
	s_delay_alu instid0(VALU_DEP_1) | instid1(SALU_CYCLE_1)
	v_or_b32_e32 v5, s2, v3
	s_delay_alu instid0(VALU_DEP_1)
	v_cmpx_ne_u64_e32 0, v[4:5]
	s_xor_b32 s3, exec_lo, s3
	s_cbranch_execz .LBB16_2
; %bb.1:
	s_add_u32 s10, s6, s2
	s_mov_b32 s8, s2
	s_mov_b32 s9, s2
	s_addc_u32 s11, s2, s2
	s_delay_alu instid0(SALU_CYCLE_1) | instskip(NEXT) | instid1(SALU_CYCLE_1)
	s_xor_b64 s[10:11], s[10:11], s[8:9]
	v_cvt_f32_u32_e32 v0, s10
	v_cvt_f32_u32_e32 v1, s11
	s_sub_u32 s2, 0, s10
	s_subb_u32 s7, 0, s11
	s_delay_alu instid0(VALU_DEP_1) | instskip(NEXT) | instid1(VALU_DEP_1)
	v_fmamk_f32 v0, v1, 0x4f800000, v0
	v_rcp_f32_e32 v0, v0
	s_waitcnt_depctr 0xfff
	v_mul_f32_e32 v0, 0x5f7ffffc, v0
	s_delay_alu instid0(VALU_DEP_1) | instskip(NEXT) | instid1(VALU_DEP_1)
	v_mul_f32_e32 v1, 0x2f800000, v0
	v_trunc_f32_e32 v1, v1
	s_delay_alu instid0(VALU_DEP_1) | instskip(SKIP_1) | instid1(VALU_DEP_2)
	v_fmamk_f32 v0, v1, 0xcf800000, v0
	v_cvt_u32_f32_e32 v1, v1
	v_cvt_u32_f32_e32 v0, v0
	s_delay_alu instid0(VALU_DEP_2) | instskip(NEXT) | instid1(VALU_DEP_2)
	v_mul_lo_u32 v4, s2, v1
	v_mul_hi_u32 v5, s2, v0
	v_mul_lo_u32 v6, s7, v0
	s_delay_alu instid0(VALU_DEP_2) | instskip(SKIP_1) | instid1(VALU_DEP_2)
	v_add_nc_u32_e32 v4, v5, v4
	v_mul_lo_u32 v5, s2, v0
	v_add_nc_u32_e32 v4, v4, v6
	s_delay_alu instid0(VALU_DEP_2) | instskip(NEXT) | instid1(VALU_DEP_2)
	v_mul_hi_u32 v6, v0, v5
	v_mul_lo_u32 v7, v0, v4
	v_mul_hi_u32 v8, v0, v4
	v_mul_hi_u32 v9, v1, v5
	v_mul_lo_u32 v5, v1, v5
	v_mul_hi_u32 v10, v1, v4
	v_mul_lo_u32 v4, v1, v4
	v_add_co_u32 v6, vcc_lo, v6, v7
	v_add_co_ci_u32_e32 v7, vcc_lo, 0, v8, vcc_lo
	s_delay_alu instid0(VALU_DEP_2) | instskip(NEXT) | instid1(VALU_DEP_2)
	v_add_co_u32 v5, vcc_lo, v6, v5
	v_add_co_ci_u32_e32 v5, vcc_lo, v7, v9, vcc_lo
	v_add_co_ci_u32_e32 v6, vcc_lo, 0, v10, vcc_lo
	v_ashrrev_i32_e32 v9, 31, v3
	s_delay_alu instid0(VALU_DEP_3) | instskip(NEXT) | instid1(VALU_DEP_3)
	v_add_co_u32 v4, vcc_lo, v5, v4
	v_add_co_ci_u32_e32 v5, vcc_lo, 0, v6, vcc_lo
	s_delay_alu instid0(VALU_DEP_2) | instskip(NEXT) | instid1(VALU_DEP_2)
	v_add_co_u32 v0, vcc_lo, v0, v4
	v_add_co_ci_u32_e32 v1, vcc_lo, v1, v5, vcc_lo
	s_delay_alu instid0(VALU_DEP_2) | instskip(SKIP_1) | instid1(VALU_DEP_3)
	v_mul_hi_u32 v4, s2, v0
	v_mul_lo_u32 v6, s7, v0
	v_mul_lo_u32 v5, s2, v1
	s_delay_alu instid0(VALU_DEP_1) | instskip(SKIP_1) | instid1(VALU_DEP_2)
	v_add_nc_u32_e32 v4, v4, v5
	v_mul_lo_u32 v5, s2, v0
	v_add_nc_u32_e32 v4, v4, v6
	s_delay_alu instid0(VALU_DEP_2) | instskip(NEXT) | instid1(VALU_DEP_2)
	v_mul_hi_u32 v6, v0, v5
	v_mul_lo_u32 v7, v0, v4
	v_mul_hi_u32 v8, v0, v4
	v_mul_hi_u32 v10, v1, v5
	v_mul_lo_u32 v5, v1, v5
	v_mul_hi_u32 v11, v1, v4
	v_mul_lo_u32 v4, v1, v4
	v_add_co_u32 v6, vcc_lo, v6, v7
	v_add_co_ci_u32_e32 v7, vcc_lo, 0, v8, vcc_lo
	s_delay_alu instid0(VALU_DEP_2) | instskip(NEXT) | instid1(VALU_DEP_2)
	v_add_co_u32 v5, vcc_lo, v6, v5
	v_add_co_ci_u32_e32 v5, vcc_lo, v7, v10, vcc_lo
	v_add_co_ci_u32_e32 v6, vcc_lo, 0, v11, vcc_lo
	v_add_co_u32 v7, vcc_lo, v2, v9
	v_add_co_ci_u32_e32 v3, vcc_lo, v3, v9, vcc_lo
	s_delay_alu instid0(VALU_DEP_4) | instskip(NEXT) | instid1(VALU_DEP_4)
	v_add_co_u32 v4, vcc_lo, v5, v4
	v_add_co_ci_u32_e32 v5, vcc_lo, 0, v6, vcc_lo
	s_delay_alu instid0(VALU_DEP_4) | instskip(NEXT) | instid1(VALU_DEP_3)
	v_xor_b32_e32 v7, v7, v9
	v_add_co_u32 v6, vcc_lo, v0, v4
	s_delay_alu instid0(VALU_DEP_3) | instskip(SKIP_1) | instid1(VALU_DEP_3)
	v_add_co_ci_u32_e32 v8, vcc_lo, v1, v5, vcc_lo
	v_xor_b32_e32 v10, v3, v9
	v_mul_hi_u32 v11, v7, v6
	s_delay_alu instid0(VALU_DEP_3) | instskip(NEXT) | instid1(VALU_DEP_3)
	v_mad_u64_u32 v[0:1], null, v7, v8, 0
	v_mad_u64_u32 v[3:4], null, v10, v6, 0
	;; [unrolled: 1-line block ×3, first 2 shown]
	s_delay_alu instid0(VALU_DEP_3) | instskip(NEXT) | instid1(VALU_DEP_4)
	v_add_co_u32 v0, vcc_lo, v11, v0
	v_add_co_ci_u32_e32 v1, vcc_lo, 0, v1, vcc_lo
	s_delay_alu instid0(VALU_DEP_2) | instskip(NEXT) | instid1(VALU_DEP_2)
	v_add_co_u32 v0, vcc_lo, v0, v3
	v_add_co_ci_u32_e32 v0, vcc_lo, v1, v4, vcc_lo
	v_add_co_ci_u32_e32 v1, vcc_lo, 0, v6, vcc_lo
	s_delay_alu instid0(VALU_DEP_2) | instskip(NEXT) | instid1(VALU_DEP_2)
	v_add_co_u32 v3, vcc_lo, v0, v5
	v_add_co_ci_u32_e32 v4, vcc_lo, 0, v1, vcc_lo
	s_delay_alu instid0(VALU_DEP_2) | instskip(SKIP_1) | instid1(VALU_DEP_3)
	v_mul_lo_u32 v5, s11, v3
	v_mad_u64_u32 v[0:1], null, s10, v3, 0
	v_mul_lo_u32 v6, s10, v4
	s_delay_alu instid0(VALU_DEP_2) | instskip(NEXT) | instid1(VALU_DEP_2)
	v_sub_co_u32 v0, vcc_lo, v7, v0
	v_add3_u32 v1, v1, v6, v5
	s_delay_alu instid0(VALU_DEP_1) | instskip(NEXT) | instid1(VALU_DEP_1)
	v_sub_nc_u32_e32 v5, v10, v1
	v_subrev_co_ci_u32_e64 v5, s2, s11, v5, vcc_lo
	v_add_co_u32 v6, s2, v3, 2
	s_delay_alu instid0(VALU_DEP_1) | instskip(SKIP_3) | instid1(VALU_DEP_3)
	v_add_co_ci_u32_e64 v7, s2, 0, v4, s2
	v_sub_co_u32 v8, s2, v0, s10
	v_sub_co_ci_u32_e32 v1, vcc_lo, v10, v1, vcc_lo
	v_subrev_co_ci_u32_e64 v5, s2, 0, v5, s2
	v_cmp_le_u32_e32 vcc_lo, s10, v8
	s_delay_alu instid0(VALU_DEP_3) | instskip(SKIP_1) | instid1(VALU_DEP_4)
	v_cmp_eq_u32_e64 s2, s11, v1
	v_cndmask_b32_e64 v8, 0, -1, vcc_lo
	v_cmp_le_u32_e32 vcc_lo, s11, v5
	v_cndmask_b32_e64 v10, 0, -1, vcc_lo
	v_cmp_le_u32_e32 vcc_lo, s10, v0
	;; [unrolled: 2-line block ×3, first 2 shown]
	v_cndmask_b32_e64 v11, 0, -1, vcc_lo
	v_cmp_eq_u32_e32 vcc_lo, s11, v5
	s_delay_alu instid0(VALU_DEP_2) | instskip(SKIP_3) | instid1(VALU_DEP_3)
	v_cndmask_b32_e64 v0, v11, v0, s2
	v_cndmask_b32_e32 v5, v10, v8, vcc_lo
	v_add_co_u32 v8, vcc_lo, v3, 1
	v_add_co_ci_u32_e32 v10, vcc_lo, 0, v4, vcc_lo
	v_cmp_ne_u32_e32 vcc_lo, 0, v5
	s_delay_alu instid0(VALU_DEP_2) | instskip(NEXT) | instid1(VALU_DEP_4)
	v_cndmask_b32_e32 v1, v10, v7, vcc_lo
	v_cndmask_b32_e32 v5, v8, v6, vcc_lo
	v_cmp_ne_u32_e32 vcc_lo, 0, v0
	v_xor_b32_e32 v0, s8, v9
	s_delay_alu instid0(VALU_DEP_3) | instskip(SKIP_2) | instid1(VALU_DEP_3)
	v_cndmask_b32_e32 v3, v3, v5, vcc_lo
	v_cndmask_b32_e32 v1, v4, v1, vcc_lo
	v_xor_b32_e32 v4, s9, v9
	v_xor_b32_e32 v3, v3, v0
	s_delay_alu instid0(VALU_DEP_2) | instskip(NEXT) | instid1(VALU_DEP_2)
	v_xor_b32_e32 v1, v1, v4
	v_sub_co_u32 v0, vcc_lo, v3, v0
	s_delay_alu instid0(VALU_DEP_2)
	v_sub_co_ci_u32_e32 v1, vcc_lo, v1, v4, vcc_lo
.LBB16_2:
	s_and_not1_saveexec_b32 s2, s3
	s_cbranch_execz .LBB16_4
; %bb.3:
	v_cvt_f32_u32_e32 v0, s6
	s_sub_i32 s3, 0, s6
	s_delay_alu instid0(VALU_DEP_1) | instskip(SKIP_2) | instid1(VALU_DEP_1)
	v_rcp_iflag_f32_e32 v0, v0
	s_waitcnt_depctr 0xfff
	v_mul_f32_e32 v0, 0x4f7ffffe, v0
	v_cvt_u32_f32_e32 v0, v0
	s_delay_alu instid0(VALU_DEP_1) | instskip(NEXT) | instid1(VALU_DEP_1)
	v_mul_lo_u32 v1, s3, v0
	v_mul_hi_u32 v1, v0, v1
	s_delay_alu instid0(VALU_DEP_1) | instskip(NEXT) | instid1(VALU_DEP_1)
	v_add_nc_u32_e32 v0, v0, v1
	v_mul_hi_u32 v0, v2, v0
	s_delay_alu instid0(VALU_DEP_1) | instskip(SKIP_1) | instid1(VALU_DEP_2)
	v_mul_lo_u32 v1, v0, s6
	v_add_nc_u32_e32 v3, 1, v0
	v_sub_nc_u32_e32 v1, v2, v1
	s_delay_alu instid0(VALU_DEP_1) | instskip(SKIP_1) | instid1(VALU_DEP_2)
	v_subrev_nc_u32_e32 v4, s6, v1
	v_cmp_le_u32_e32 vcc_lo, s6, v1
	v_dual_cndmask_b32 v1, v1, v4 :: v_dual_cndmask_b32 v0, v0, v3
	s_delay_alu instid0(VALU_DEP_1) | instskip(NEXT) | instid1(VALU_DEP_2)
	v_cmp_le_u32_e32 vcc_lo, s6, v1
	v_add_nc_u32_e32 v3, 1, v0
	s_delay_alu instid0(VALU_DEP_1)
	v_dual_mov_b32 v1, 0 :: v_dual_cndmask_b32 v0, v0, v3
.LBB16_4:
	s_or_b32 exec_lo, exec_lo, s2
	s_load_b64 s[2:3], s[0:1], 0x18
	s_delay_alu instid0(VALU_DEP_1) | instskip(NEXT) | instid1(VALU_DEP_1)
	v_mad_u64_u32 v[3:4], null, v0, s6, 0
	v_sub_co_u32 v2, null, v2, v3
	s_waitcnt lgkmcnt(0)
	v_cmp_gt_i64_e32 vcc_lo, s[2:3], v[0:1]
	s_delay_alu instid0(VALU_DEP_2) | instskip(NEXT) | instid1(VALU_DEP_1)
	v_cmp_gt_i32_e64 s2, s5, v2
	s_and_b32 s2, vcc_lo, s2
	s_delay_alu instid0(SALU_CYCLE_1)
	s_and_saveexec_b32 s3, s2
	s_cbranch_execz .LBB16_390
; %bb.5:
	s_ashr_i32 s5, s4, 31
	s_load_b64 s[2:3], s[0:1], 0x0
	v_mul_lo_u32 v5, v1, s4
	v_mad_u64_u32 v[3:4], null, v0, s4, 0
	v_mul_lo_u32 v6, v0, s5
	s_delay_alu instid0(VALU_DEP_1) | instskip(SKIP_1) | instid1(VALU_DEP_2)
	v_add3_u32 v4, v4, v6, v5
	v_dual_mov_b32 v6, 0 :: v_dual_lshlrev_b32 v5, 5, v2
	v_lshlrev_b64 v[3:4], 1, v[3:4]
	s_delay_alu instid0(VALU_DEP_2) | instskip(SKIP_1) | instid1(VALU_DEP_2)
	v_lshlrev_b64 v[5:6], 1, v[5:6]
	s_waitcnt lgkmcnt(0)
	v_add_co_u32 v3, vcc_lo, s2, v3
	s_delay_alu instid0(VALU_DEP_3) | instskip(SKIP_1) | instid1(VALU_DEP_2)
	v_add_co_ci_u32_e32 v4, vcc_lo, s3, v4, vcc_lo
	s_mov_b32 s2, exec_lo
	v_add_co_u32 v7, vcc_lo, v3, v5
	s_delay_alu instid0(VALU_DEP_2)
	v_add_co_ci_u32_e32 v8, vcc_lo, v4, v6, vcc_lo
	s_clause 0x3
	global_load_b128 v[3:6], v[7:8], off
	global_load_b128 v[10:13], v[7:8], off offset:16
	global_load_b128 v[52:55], v[7:8], off offset:32
	;; [unrolled: 1-line block ×3, first 2 shown]
	s_waitcnt vmcnt(3)
	v_lshrrev_b32_e32 v7, 16, v3
	v_cvt_f32_f16_e32 v17, v3
	v_lshrrev_b32_e32 v3, 16, v4
	v_cvt_f32_f16_e32 v9, v4
	;; [unrolled: 2-line block ×3, first 2 shown]
	v_cvt_f32_f16_e32 v16, v5
	v_cvt_f32_f16_e32 v14, v3
	v_lshrrev_b32_e32 v5, 16, v6
	v_cvt_f32_f16_e32 v20, v4
	v_max3_f32 v3, |v17|, 0, |v7|
	v_cvt_f32_f16_e32 v22, v6
	s_waitcnt vmcnt(2)
	v_lshrrev_b32_e32 v4, 16, v10
	v_cvt_f32_f16_e32 v26, v5
	v_cvt_f32_f16_e32 v28, v10
	v_max3_f32 v3, v3, |v9|, |v14|
	v_lshrrev_b32_e32 v5, 16, v11
	v_cvt_f32_f16_e32 v32, v4
	v_cvt_f32_f16_e32 v34, v11
	v_lshrrev_b32_e32 v4, 16, v12
	v_max3_f32 v3, v3, |v16|, |v20|
	v_cvt_f32_f16_e32 v38, v5
	v_cvt_f32_f16_e32 v40, v12
	v_lshrrev_b32_e32 v5, 16, v13
	v_cvt_f32_f16_e32 v42, v4
	v_max3_f32 v3, v3, |v22|, |v26|
	v_cvt_f32_f16_e32 v46, v13
	s_waitcnt vmcnt(1)
	v_lshrrev_b32_e32 v4, 16, v52
	v_cvt_f32_f16_e32 v47, v5
	v_cvt_f32_f16_e32 v52, v52
	v_max3_f32 v3, v3, |v28|, |v32|
	v_lshrrev_b32_e32 v5, 16, v53
	v_cvt_f32_f16_e32 v51, v4
	v_cvt_f32_f16_e32 v48, v53
	v_lshrrev_b32_e32 v4, 16, v54
	v_max3_f32 v3, v3, |v34|, |v38|
	v_cvt_f32_f16_e32 v45, v5
	v_cvt_f32_f16_e32 v41, v54
	v_lshrrev_b32_e32 v5, 16, v55
	v_cvt_f32_f16_e32 v39, v4
	v_max3_f32 v3, v3, |v40|, |v42|
	;; [unrolled: 16-line block ×3, first 2 shown]
	v_cvt_f32_f16_e32 v13, v59
	s_delay_alu instid0(VALU_DEP_4) | instskip(NEXT) | instid1(VALU_DEP_3)
	v_cvt_f32_f16_e32 v8, v5
	v_max3_f32 v3, v3, |v41|, |v39|
	s_delay_alu instid0(VALU_DEP_1) | instskip(NEXT) | instid1(VALU_DEP_1)
	v_max3_f32 v3, v3, |v35|, |v33|
	v_max3_f32 v3, v3, |v31|, |v27|
	s_delay_alu instid0(VALU_DEP_1) | instskip(NEXT) | instid1(VALU_DEP_1)
	v_max3_f32 v3, v3, |v25|, |v21|
	;; [unrolled: 3-line block ×3, first 2 shown]
	v_mul_f32_e32 v3, 0x3e800000, v3
	s_delay_alu instid0(VALU_DEP_1) | instskip(SKIP_1) | instid1(VALU_DEP_2)
	v_and_b32_e32 v4, 0x7fffff, v3
	v_bfe_u32 v3, v3, 23, 8
	v_cmp_ne_u32_e32 vcc_lo, 0, v4
	s_delay_alu instid0(VALU_DEP_2) | instskip(SKIP_1) | instid1(VALU_DEP_2)
	v_add_co_ci_u32_e32 v4, vcc_lo, 0, v3, vcc_lo
	v_cmp_ne_u32_e32 vcc_lo, 0xff, v3
	v_lshlrev_b32_e32 v4, 23, v4
	s_delay_alu instid0(VALU_DEP_1) | instskip(NEXT) | instid1(VALU_DEP_1)
	v_cndmask_b32_e32 v3, 0x7f800000, v4, vcc_lo
	v_div_scale_f32 v4, null, v3, v3, 1.0
	v_div_scale_f32 v10, vcc_lo, 1.0, v3, 1.0
	s_delay_alu instid0(VALU_DEP_2) | instskip(SKIP_2) | instid1(VALU_DEP_1)
	v_rcp_f32_e32 v5, v4
	s_waitcnt_depctr 0xfff
	v_fma_f32 v6, -v4, v5, 1.0
	v_fmac_f32_e32 v5, v6, v5
	s_delay_alu instid0(VALU_DEP_1) | instskip(NEXT) | instid1(VALU_DEP_1)
	v_mul_f32_e32 v6, v10, v5
	v_fma_f32 v11, -v4, v6, v10
	s_delay_alu instid0(VALU_DEP_1) | instskip(NEXT) | instid1(VALU_DEP_1)
	v_fmac_f32_e32 v6, v11, v5
	v_fma_f32 v4, -v4, v6, v10
	s_delay_alu instid0(VALU_DEP_1) | instskip(SKIP_2) | instid1(VALU_DEP_3)
	v_div_fmas_f32 v4, v4, v5, v6
	v_cmp_neq_f32_e32 vcc_lo, 0, v3
	v_mov_b32_e32 v6, 7
	v_div_fixup_f32 v4, v4, v3, 1.0
	s_delay_alu instid0(VALU_DEP_1) | instskip(NEXT) | instid1(VALU_DEP_1)
	v_cndmask_b32_e32 v12, 0, v4, vcc_lo
	v_dual_mov_b32 v4, 7 :: v_dual_mul_f32 v5, v12, v17
	s_delay_alu instid0(VALU_DEP_1)
	v_cmpx_nle_f32_e64 0x40a00000, |v5|
	s_cbranch_execz .LBB16_17
; %bb.6:
	v_mov_b32_e32 v4, 6
	s_mov_b32 s3, exec_lo
	v_cmpx_nle_f32_e64 0x40600000, |v5|
	s_cbranch_execz .LBB16_16
; %bb.7:
	v_mov_b32_e32 v4, 5
	s_mov_b32 s5, exec_lo
	;; [unrolled: 5-line block ×5, first 2 shown]
	v_cmpx_nle_f32_e64 0x3f400000, |v5|
; %bb.11:
	v_cmp_le_f32_e64 s10, 0x3e800000, |v5|
	s_delay_alu instid0(VALU_DEP_1)
	v_cndmask_b32_e64 v4, 0, 1, s10
; %bb.12:
	s_or_b32 exec_lo, exec_lo, s9
.LBB16_13:
	s_delay_alu instid0(SALU_CYCLE_1)
	s_or_b32 exec_lo, exec_lo, s8
.LBB16_14:
	s_delay_alu instid0(SALU_CYCLE_1)
	s_or_b32 exec_lo, exec_lo, s7
.LBB16_15:
	s_delay_alu instid0(SALU_CYCLE_1)
	s_or_b32 exec_lo, exec_lo, s5
.LBB16_16:
	s_delay_alu instid0(SALU_CYCLE_1)
	s_or_b32 exec_lo, exec_lo, s3
.LBB16_17:
	s_delay_alu instid0(SALU_CYCLE_1) | instskip(SKIP_2) | instid1(VALU_DEP_1)
	s_or_b32 exec_lo, exec_lo, s2
	v_mul_f32_e32 v7, v12, v7
	s_mov_b32 s2, exec_lo
	v_cmpx_nle_f32_e64 0x40a00000, |v7|
	s_cbranch_execz .LBB16_29
; %bb.18:
	v_mov_b32_e32 v6, 6
	s_mov_b32 s3, exec_lo
	v_cmpx_nle_f32_e64 0x40600000, |v7|
	s_cbranch_execz .LBB16_28
; %bb.19:
	v_mov_b32_e32 v6, 5
	;; [unrolled: 5-line block ×5, first 2 shown]
	s_mov_b32 s9, exec_lo
	v_cmpx_nle_f32_e64 0x3f400000, |v7|
; %bb.23:
	v_cmp_le_f32_e64 s10, 0x3e800000, |v7|
	s_delay_alu instid0(VALU_DEP_1)
	v_cndmask_b32_e64 v6, 0, 1, s10
; %bb.24:
	s_or_b32 exec_lo, exec_lo, s9
.LBB16_25:
	s_delay_alu instid0(SALU_CYCLE_1)
	s_or_b32 exec_lo, exec_lo, s8
.LBB16_26:
	s_delay_alu instid0(SALU_CYCLE_1)
	s_or_b32 exec_lo, exec_lo, s7
.LBB16_27:
	s_delay_alu instid0(SALU_CYCLE_1)
	s_or_b32 exec_lo, exec_lo, s5
.LBB16_28:
	s_delay_alu instid0(SALU_CYCLE_1)
	s_or_b32 exec_lo, exec_lo, s3
.LBB16_29:
	s_delay_alu instid0(SALU_CYCLE_1) | instskip(SKIP_3) | instid1(VALU_DEP_2)
	s_or_b32 exec_lo, exec_lo, s2
	v_dual_mul_f32 v10, v12, v9 :: v_dual_mov_b32 v11, 7
	v_mov_b32_e32 v9, 7
	s_mov_b32 s2, exec_lo
	v_cmpx_nle_f32_e64 0x40a00000, |v10|
	s_cbranch_execz .LBB16_41
; %bb.30:
	v_mov_b32_e32 v9, 6
	s_mov_b32 s3, exec_lo
	v_cmpx_nle_f32_e64 0x40600000, |v10|
	s_cbranch_execz .LBB16_40
; %bb.31:
	;; [unrolled: 5-line block ×5, first 2 shown]
	v_mov_b32_e32 v9, 2
	s_mov_b32 s9, exec_lo
	v_cmpx_nle_f32_e64 0x3f400000, |v10|
; %bb.35:
	v_cmp_le_f32_e64 s10, 0x3e800000, |v10|
	s_delay_alu instid0(VALU_DEP_1)
	v_cndmask_b32_e64 v9, 0, 1, s10
; %bb.36:
	s_or_b32 exec_lo, exec_lo, s9
.LBB16_37:
	s_delay_alu instid0(SALU_CYCLE_1)
	s_or_b32 exec_lo, exec_lo, s8
.LBB16_38:
	s_delay_alu instid0(SALU_CYCLE_1)
	s_or_b32 exec_lo, exec_lo, s7
.LBB16_39:
	s_delay_alu instid0(SALU_CYCLE_1)
	s_or_b32 exec_lo, exec_lo, s5
.LBB16_40:
	s_delay_alu instid0(SALU_CYCLE_1)
	s_or_b32 exec_lo, exec_lo, s3
.LBB16_41:
	s_delay_alu instid0(SALU_CYCLE_1) | instskip(SKIP_2) | instid1(VALU_DEP_1)
	s_or_b32 exec_lo, exec_lo, s2
	v_mul_f32_e32 v14, v12, v14
	s_mov_b32 s2, exec_lo
	v_cmpx_nle_f32_e64 0x40a00000, |v14|
	s_cbranch_execz .LBB16_53
; %bb.42:
	v_mov_b32_e32 v11, 6
	s_mov_b32 s3, exec_lo
	v_cmpx_nle_f32_e64 0x40600000, |v14|
	s_cbranch_execz .LBB16_52
; %bb.43:
	v_mov_b32_e32 v11, 5
	s_mov_b32 s5, exec_lo
	v_cmpx_nle_f32_e64 0x40200000, |v14|
	s_cbranch_execz .LBB16_51
; %bb.44:
	v_mov_b32_e32 v11, 4
	s_mov_b32 s7, exec_lo
	v_cmpx_nle_f32_e64 0x3fe00000, |v14|
	s_cbranch_execz .LBB16_50
; %bb.45:
	v_mov_b32_e32 v11, 3
	s_mov_b32 s8, exec_lo
	v_cmpx_nle_f32_e64 0x3fa00000, |v14|
	s_cbranch_execz .LBB16_49
; %bb.46:
	v_mov_b32_e32 v11, 2
	s_mov_b32 s9, exec_lo
	v_cmpx_nle_f32_e64 0x3f400000, |v14|
; %bb.47:
	v_cmp_le_f32_e64 s10, 0x3e800000, |v14|
	s_delay_alu instid0(VALU_DEP_1)
	v_cndmask_b32_e64 v11, 0, 1, s10
; %bb.48:
	s_or_b32 exec_lo, exec_lo, s9
.LBB16_49:
	s_delay_alu instid0(SALU_CYCLE_1)
	s_or_b32 exec_lo, exec_lo, s8
.LBB16_50:
	s_delay_alu instid0(SALU_CYCLE_1)
	s_or_b32 exec_lo, exec_lo, s7
.LBB16_51:
	s_delay_alu instid0(SALU_CYCLE_1)
	s_or_b32 exec_lo, exec_lo, s5
.LBB16_52:
	s_delay_alu instid0(SALU_CYCLE_1)
	s_or_b32 exec_lo, exec_lo, s3
.LBB16_53:
	s_delay_alu instid0(SALU_CYCLE_1) | instskip(SKIP_3) | instid1(VALU_DEP_2)
	s_or_b32 exec_lo, exec_lo, s2
	v_dual_mul_f32 v18, v12, v16 :: v_dual_mov_b32 v17, 7
	v_mov_b32_e32 v16, 7
	s_mov_b32 s2, exec_lo
	v_cmpx_nle_f32_e64 0x40a00000, |v18|
	s_cbranch_execz .LBB16_65
; %bb.54:
	v_mov_b32_e32 v17, 6
	s_mov_b32 s3, exec_lo
	v_cmpx_nle_f32_e64 0x40600000, |v18|
	s_cbranch_execz .LBB16_64
; %bb.55:
	;; [unrolled: 5-line block ×5, first 2 shown]
	v_mov_b32_e32 v17, 2
	s_mov_b32 s9, exec_lo
	v_cmpx_nle_f32_e64 0x3f400000, |v18|
; %bb.59:
	v_cmp_le_f32_e64 s10, 0x3e800000, |v18|
	s_delay_alu instid0(VALU_DEP_1)
	v_cndmask_b32_e64 v17, 0, 1, s10
; %bb.60:
	s_or_b32 exec_lo, exec_lo, s9
.LBB16_61:
	s_delay_alu instid0(SALU_CYCLE_1)
	s_or_b32 exec_lo, exec_lo, s8
.LBB16_62:
	s_delay_alu instid0(SALU_CYCLE_1)
	s_or_b32 exec_lo, exec_lo, s7
.LBB16_63:
	s_delay_alu instid0(SALU_CYCLE_1)
	s_or_b32 exec_lo, exec_lo, s5
.LBB16_64:
	s_delay_alu instid0(SALU_CYCLE_1)
	s_or_b32 exec_lo, exec_lo, s3
.LBB16_65:
	s_delay_alu instid0(SALU_CYCLE_1) | instskip(SKIP_2) | instid1(VALU_DEP_1)
	s_or_b32 exec_lo, exec_lo, s2
	v_mul_f32_e32 v20, v12, v20
	s_mov_b32 s2, exec_lo
	v_cmpx_nle_f32_e64 0x40a00000, |v20|
	s_cbranch_execz .LBB16_77
; %bb.66:
	v_mov_b32_e32 v16, 6
	s_mov_b32 s3, exec_lo
	v_cmpx_nle_f32_e64 0x40600000, |v20|
	s_cbranch_execz .LBB16_76
; %bb.67:
	v_mov_b32_e32 v16, 5
	;; [unrolled: 5-line block ×5, first 2 shown]
	s_mov_b32 s9, exec_lo
	v_cmpx_nle_f32_e64 0x3f400000, |v20|
; %bb.71:
	v_cmp_le_f32_e64 s10, 0x3e800000, |v20|
	s_delay_alu instid0(VALU_DEP_1)
	v_cndmask_b32_e64 v16, 0, 1, s10
; %bb.72:
	s_or_b32 exec_lo, exec_lo, s9
.LBB16_73:
	s_delay_alu instid0(SALU_CYCLE_1)
	s_or_b32 exec_lo, exec_lo, s8
.LBB16_74:
	s_delay_alu instid0(SALU_CYCLE_1)
	s_or_b32 exec_lo, exec_lo, s7
.LBB16_75:
	s_delay_alu instid0(SALU_CYCLE_1)
	s_or_b32 exec_lo, exec_lo, s5
.LBB16_76:
	s_delay_alu instid0(SALU_CYCLE_1)
	s_or_b32 exec_lo, exec_lo, s3
.LBB16_77:
	s_delay_alu instid0(SALU_CYCLE_1) | instskip(SKIP_3) | instid1(VALU_DEP_2)
	s_or_b32 exec_lo, exec_lo, s2
	v_dual_mul_f32 v24, v12, v22 :: v_dual_mov_b32 v23, 7
	v_mov_b32_e32 v22, 7
	s_mov_b32 s2, exec_lo
	v_cmpx_nle_f32_e64 0x40a00000, |v24|
	s_cbranch_execz .LBB16_89
; %bb.78:
	v_mov_b32_e32 v23, 6
	s_mov_b32 s3, exec_lo
	v_cmpx_nle_f32_e64 0x40600000, |v24|
	s_cbranch_execz .LBB16_88
; %bb.79:
	;; [unrolled: 5-line block ×5, first 2 shown]
	v_mov_b32_e32 v23, 2
	s_mov_b32 s9, exec_lo
	v_cmpx_nle_f32_e64 0x3f400000, |v24|
; %bb.83:
	v_cmp_le_f32_e64 s10, 0x3e800000, |v24|
	s_delay_alu instid0(VALU_DEP_1)
	v_cndmask_b32_e64 v23, 0, 1, s10
; %bb.84:
	s_or_b32 exec_lo, exec_lo, s9
.LBB16_85:
	s_delay_alu instid0(SALU_CYCLE_1)
	s_or_b32 exec_lo, exec_lo, s8
.LBB16_86:
	s_delay_alu instid0(SALU_CYCLE_1)
	s_or_b32 exec_lo, exec_lo, s7
.LBB16_87:
	s_delay_alu instid0(SALU_CYCLE_1)
	s_or_b32 exec_lo, exec_lo, s5
.LBB16_88:
	s_delay_alu instid0(SALU_CYCLE_1)
	s_or_b32 exec_lo, exec_lo, s3
.LBB16_89:
	s_delay_alu instid0(SALU_CYCLE_1) | instskip(SKIP_2) | instid1(VALU_DEP_1)
	s_or_b32 exec_lo, exec_lo, s2
	v_mul_f32_e32 v26, v12, v26
	s_mov_b32 s2, exec_lo
	v_cmpx_nle_f32_e64 0x40a00000, |v26|
	s_cbranch_execz .LBB16_101
; %bb.90:
	v_mov_b32_e32 v22, 6
	s_mov_b32 s3, exec_lo
	v_cmpx_nle_f32_e64 0x40600000, |v26|
	s_cbranch_execz .LBB16_100
; %bb.91:
	v_mov_b32_e32 v22, 5
	s_mov_b32 s5, exec_lo
	v_cmpx_nle_f32_e64 0x40200000, |v26|
	s_cbranch_execz .LBB16_99
; %bb.92:
	v_mov_b32_e32 v22, 4
	s_mov_b32 s7, exec_lo
	v_cmpx_nle_f32_e64 0x3fe00000, |v26|
	s_cbranch_execz .LBB16_98
; %bb.93:
	v_mov_b32_e32 v22, 3
	s_mov_b32 s8, exec_lo
	v_cmpx_nle_f32_e64 0x3fa00000, |v26|
	s_cbranch_execz .LBB16_97
; %bb.94:
	v_mov_b32_e32 v22, 2
	s_mov_b32 s9, exec_lo
	v_cmpx_nle_f32_e64 0x3f400000, |v26|
; %bb.95:
	v_cmp_le_f32_e64 s10, 0x3e800000, |v26|
	s_delay_alu instid0(VALU_DEP_1)
	v_cndmask_b32_e64 v22, 0, 1, s10
; %bb.96:
	s_or_b32 exec_lo, exec_lo, s9
.LBB16_97:
	s_delay_alu instid0(SALU_CYCLE_1)
	s_or_b32 exec_lo, exec_lo, s8
.LBB16_98:
	s_delay_alu instid0(SALU_CYCLE_1)
	s_or_b32 exec_lo, exec_lo, s7
.LBB16_99:
	s_delay_alu instid0(SALU_CYCLE_1)
	s_or_b32 exec_lo, exec_lo, s5
.LBB16_100:
	s_delay_alu instid0(SALU_CYCLE_1)
	s_or_b32 exec_lo, exec_lo, s3
.LBB16_101:
	s_delay_alu instid0(SALU_CYCLE_1) | instskip(SKIP_3) | instid1(VALU_DEP_2)
	s_or_b32 exec_lo, exec_lo, s2
	v_dual_mul_f32 v29, v12, v28 :: v_dual_mov_b32 v28, 7
	v_mov_b32_e32 v30, 7
	s_mov_b32 s2, exec_lo
	v_cmpx_nle_f32_e64 0x40a00000, |v29|
	s_cbranch_execz .LBB16_113
; %bb.102:
	v_mov_b32_e32 v30, 6
	s_mov_b32 s3, exec_lo
	v_cmpx_nle_f32_e64 0x40600000, |v29|
	s_cbranch_execz .LBB16_112
; %bb.103:
	;; [unrolled: 5-line block ×5, first 2 shown]
	v_mov_b32_e32 v30, 2
	s_mov_b32 s9, exec_lo
	v_cmpx_nle_f32_e64 0x3f400000, |v29|
; %bb.107:
	v_cmp_le_f32_e64 s10, 0x3e800000, |v29|
	s_delay_alu instid0(VALU_DEP_1)
	v_cndmask_b32_e64 v30, 0, 1, s10
; %bb.108:
	s_or_b32 exec_lo, exec_lo, s9
.LBB16_109:
	s_delay_alu instid0(SALU_CYCLE_1)
	s_or_b32 exec_lo, exec_lo, s8
.LBB16_110:
	s_delay_alu instid0(SALU_CYCLE_1)
	s_or_b32 exec_lo, exec_lo, s7
.LBB16_111:
	s_delay_alu instid0(SALU_CYCLE_1)
	s_or_b32 exec_lo, exec_lo, s5
.LBB16_112:
	s_delay_alu instid0(SALU_CYCLE_1)
	s_or_b32 exec_lo, exec_lo, s3
.LBB16_113:
	s_delay_alu instid0(SALU_CYCLE_1) | instskip(SKIP_2) | instid1(VALU_DEP_1)
	s_or_b32 exec_lo, exec_lo, s2
	v_mul_f32_e32 v32, v12, v32
	s_mov_b32 s2, exec_lo
	v_cmpx_nle_f32_e64 0x40a00000, |v32|
	s_cbranch_execz .LBB16_125
; %bb.114:
	v_mov_b32_e32 v28, 6
	s_mov_b32 s3, exec_lo
	v_cmpx_nle_f32_e64 0x40600000, |v32|
	s_cbranch_execz .LBB16_124
; %bb.115:
	v_mov_b32_e32 v28, 5
	;; [unrolled: 5-line block ×5, first 2 shown]
	s_mov_b32 s9, exec_lo
	v_cmpx_nle_f32_e64 0x3f400000, |v32|
; %bb.119:
	v_cmp_le_f32_e64 s10, 0x3e800000, |v32|
	s_delay_alu instid0(VALU_DEP_1)
	v_cndmask_b32_e64 v28, 0, 1, s10
; %bb.120:
	s_or_b32 exec_lo, exec_lo, s9
.LBB16_121:
	s_delay_alu instid0(SALU_CYCLE_1)
	s_or_b32 exec_lo, exec_lo, s8
.LBB16_122:
	s_delay_alu instid0(SALU_CYCLE_1)
	s_or_b32 exec_lo, exec_lo, s7
.LBB16_123:
	s_delay_alu instid0(SALU_CYCLE_1)
	s_or_b32 exec_lo, exec_lo, s5
.LBB16_124:
	s_delay_alu instid0(SALU_CYCLE_1)
	s_or_b32 exec_lo, exec_lo, s3
.LBB16_125:
	s_delay_alu instid0(SALU_CYCLE_1) | instskip(SKIP_3) | instid1(VALU_DEP_2)
	s_or_b32 exec_lo, exec_lo, s2
	v_dual_mul_f32 v37, v12, v34 :: v_dual_mov_b32 v34, 7
	v_mov_b32_e32 v36, 7
	s_mov_b32 s2, exec_lo
	v_cmpx_nle_f32_e64 0x40a00000, |v37|
	s_cbranch_execz .LBB16_137
; %bb.126:
	v_mov_b32_e32 v36, 6
	s_mov_b32 s3, exec_lo
	v_cmpx_nle_f32_e64 0x40600000, |v37|
	s_cbranch_execz .LBB16_136
; %bb.127:
	v_mov_b32_e32 v36, 5
	s_mov_b32 s5, exec_lo
	v_cmpx_nle_f32_e64 0x40200000, |v37|
	s_cbranch_execz .LBB16_135
; %bb.128:
	v_mov_b32_e32 v36, 4
	s_mov_b32 s7, exec_lo
	v_cmpx_nle_f32_e64 0x3fe00000, |v37|
	s_cbranch_execz .LBB16_134
; %bb.129:
	v_mov_b32_e32 v36, 3
	s_mov_b32 s8, exec_lo
	v_cmpx_nle_f32_e64 0x3fa00000, |v37|
	s_cbranch_execz .LBB16_133
; %bb.130:
	v_mov_b32_e32 v36, 2
	s_mov_b32 s9, exec_lo
	v_cmpx_nle_f32_e64 0x3f400000, |v37|
; %bb.131:
	v_cmp_le_f32_e64 s10, 0x3e800000, |v37|
	s_delay_alu instid0(VALU_DEP_1)
	v_cndmask_b32_e64 v36, 0, 1, s10
; %bb.132:
	s_or_b32 exec_lo, exec_lo, s9
.LBB16_133:
	s_delay_alu instid0(SALU_CYCLE_1)
	s_or_b32 exec_lo, exec_lo, s8
.LBB16_134:
	s_delay_alu instid0(SALU_CYCLE_1)
	s_or_b32 exec_lo, exec_lo, s7
.LBB16_135:
	s_delay_alu instid0(SALU_CYCLE_1)
	s_or_b32 exec_lo, exec_lo, s5
.LBB16_136:
	s_delay_alu instid0(SALU_CYCLE_1)
	s_or_b32 exec_lo, exec_lo, s3
.LBB16_137:
	s_delay_alu instid0(SALU_CYCLE_1) | instskip(SKIP_2) | instid1(VALU_DEP_1)
	s_or_b32 exec_lo, exec_lo, s2
	v_mul_f32_e32 v38, v12, v38
	s_mov_b32 s2, exec_lo
	v_cmpx_nle_f32_e64 0x40a00000, |v38|
	s_cbranch_execz .LBB16_149
; %bb.138:
	v_mov_b32_e32 v34, 6
	s_mov_b32 s3, exec_lo
	v_cmpx_nle_f32_e64 0x40600000, |v38|
	s_cbranch_execz .LBB16_148
; %bb.139:
	v_mov_b32_e32 v34, 5
	;; [unrolled: 5-line block ×5, first 2 shown]
	s_mov_b32 s9, exec_lo
	v_cmpx_nle_f32_e64 0x3f400000, |v38|
; %bb.143:
	v_cmp_le_f32_e64 s10, 0x3e800000, |v38|
	s_delay_alu instid0(VALU_DEP_1)
	v_cndmask_b32_e64 v34, 0, 1, s10
; %bb.144:
	s_or_b32 exec_lo, exec_lo, s9
.LBB16_145:
	s_delay_alu instid0(SALU_CYCLE_1)
	s_or_b32 exec_lo, exec_lo, s8
.LBB16_146:
	s_delay_alu instid0(SALU_CYCLE_1)
	s_or_b32 exec_lo, exec_lo, s7
.LBB16_147:
	s_delay_alu instid0(SALU_CYCLE_1)
	s_or_b32 exec_lo, exec_lo, s5
.LBB16_148:
	s_delay_alu instid0(SALU_CYCLE_1)
	s_or_b32 exec_lo, exec_lo, s3
.LBB16_149:
	s_delay_alu instid0(SALU_CYCLE_1) | instskip(SKIP_3) | instid1(VALU_DEP_2)
	s_or_b32 exec_lo, exec_lo, s2
	v_dual_mul_f32 v44, v12, v40 :: v_dual_mov_b32 v43, 7
	v_mov_b32_e32 v40, 7
	s_mov_b32 s2, exec_lo
	v_cmpx_nle_f32_e64 0x40a00000, |v44|
	s_cbranch_execz .LBB16_161
; %bb.150:
	v_mov_b32_e32 v43, 6
	s_mov_b32 s3, exec_lo
	v_cmpx_nle_f32_e64 0x40600000, |v44|
	s_cbranch_execz .LBB16_160
; %bb.151:
	;; [unrolled: 5-line block ×5, first 2 shown]
	v_mov_b32_e32 v43, 2
	s_mov_b32 s9, exec_lo
	v_cmpx_nle_f32_e64 0x3f400000, |v44|
; %bb.155:
	v_cmp_le_f32_e64 s10, 0x3e800000, |v44|
	s_delay_alu instid0(VALU_DEP_1)
	v_cndmask_b32_e64 v43, 0, 1, s10
; %bb.156:
	s_or_b32 exec_lo, exec_lo, s9
.LBB16_157:
	s_delay_alu instid0(SALU_CYCLE_1)
	s_or_b32 exec_lo, exec_lo, s8
.LBB16_158:
	s_delay_alu instid0(SALU_CYCLE_1)
	s_or_b32 exec_lo, exec_lo, s7
.LBB16_159:
	s_delay_alu instid0(SALU_CYCLE_1)
	s_or_b32 exec_lo, exec_lo, s5
.LBB16_160:
	s_delay_alu instid0(SALU_CYCLE_1)
	s_or_b32 exec_lo, exec_lo, s3
.LBB16_161:
	s_delay_alu instid0(SALU_CYCLE_1) | instskip(SKIP_2) | instid1(VALU_DEP_1)
	s_or_b32 exec_lo, exec_lo, s2
	v_mul_f32_e32 v42, v12, v42
	s_mov_b32 s2, exec_lo
	v_cmpx_nle_f32_e64 0x40a00000, |v42|
	s_cbranch_execz .LBB16_173
; %bb.162:
	v_mov_b32_e32 v40, 6
	s_mov_b32 s3, exec_lo
	v_cmpx_nle_f32_e64 0x40600000, |v42|
	s_cbranch_execz .LBB16_172
; %bb.163:
	v_mov_b32_e32 v40, 5
	;; [unrolled: 5-line block ×5, first 2 shown]
	s_mov_b32 s9, exec_lo
	v_cmpx_nle_f32_e64 0x3f400000, |v42|
; %bb.167:
	v_cmp_le_f32_e64 s10, 0x3e800000, |v42|
	s_delay_alu instid0(VALU_DEP_1)
	v_cndmask_b32_e64 v40, 0, 1, s10
; %bb.168:
	s_or_b32 exec_lo, exec_lo, s9
.LBB16_169:
	s_delay_alu instid0(SALU_CYCLE_1)
	s_or_b32 exec_lo, exec_lo, s8
.LBB16_170:
	s_delay_alu instid0(SALU_CYCLE_1)
	s_or_b32 exec_lo, exec_lo, s7
.LBB16_171:
	s_delay_alu instid0(SALU_CYCLE_1)
	s_or_b32 exec_lo, exec_lo, s5
.LBB16_172:
	s_delay_alu instid0(SALU_CYCLE_1)
	s_or_b32 exec_lo, exec_lo, s3
.LBB16_173:
	s_delay_alu instid0(SALU_CYCLE_1) | instskip(SKIP_3) | instid1(VALU_DEP_2)
	s_or_b32 exec_lo, exec_lo, s2
	v_dual_mul_f32 v50, v12, v46 :: v_dual_mov_b32 v49, 7
	v_mov_b32_e32 v46, 7
	s_mov_b32 s2, exec_lo
	v_cmpx_nle_f32_e64 0x40a00000, |v50|
	s_cbranch_execz .LBB16_185
; %bb.174:
	v_mov_b32_e32 v49, 6
	s_mov_b32 s3, exec_lo
	v_cmpx_nle_f32_e64 0x40600000, |v50|
	s_cbranch_execz .LBB16_184
; %bb.175:
	v_mov_b32_e32 v49, 5
	s_mov_b32 s5, exec_lo
	v_cmpx_nle_f32_e64 0x40200000, |v50|
	s_cbranch_execz .LBB16_183
; %bb.176:
	v_mov_b32_e32 v49, 4
	s_mov_b32 s7, exec_lo
	v_cmpx_nle_f32_e64 0x3fe00000, |v50|
	s_cbranch_execz .LBB16_182
; %bb.177:
	v_mov_b32_e32 v49, 3
	s_mov_b32 s8, exec_lo
	v_cmpx_nle_f32_e64 0x3fa00000, |v50|
	s_cbranch_execz .LBB16_181
; %bb.178:
	v_mov_b32_e32 v49, 2
	s_mov_b32 s9, exec_lo
	v_cmpx_nle_f32_e64 0x3f400000, |v50|
; %bb.179:
	v_cmp_le_f32_e64 s10, 0x3e800000, |v50|
	s_delay_alu instid0(VALU_DEP_1)
	v_cndmask_b32_e64 v49, 0, 1, s10
; %bb.180:
	s_or_b32 exec_lo, exec_lo, s9
.LBB16_181:
	s_delay_alu instid0(SALU_CYCLE_1)
	s_or_b32 exec_lo, exec_lo, s8
.LBB16_182:
	s_delay_alu instid0(SALU_CYCLE_1)
	s_or_b32 exec_lo, exec_lo, s7
.LBB16_183:
	s_delay_alu instid0(SALU_CYCLE_1)
	s_or_b32 exec_lo, exec_lo, s5
.LBB16_184:
	s_delay_alu instid0(SALU_CYCLE_1)
	s_or_b32 exec_lo, exec_lo, s3
.LBB16_185:
	s_delay_alu instid0(SALU_CYCLE_1) | instskip(SKIP_2) | instid1(VALU_DEP_1)
	s_or_b32 exec_lo, exec_lo, s2
	v_mul_f32_e32 v47, v12, v47
	s_mov_b32 s2, exec_lo
	v_cmpx_nle_f32_e64 0x40a00000, |v47|
	s_cbranch_execz .LBB16_197
; %bb.186:
	v_mov_b32_e32 v46, 6
	s_mov_b32 s3, exec_lo
	v_cmpx_nle_f32_e64 0x40600000, |v47|
	s_cbranch_execz .LBB16_196
; %bb.187:
	v_mov_b32_e32 v46, 5
	;; [unrolled: 5-line block ×5, first 2 shown]
	s_mov_b32 s9, exec_lo
	v_cmpx_nle_f32_e64 0x3f400000, |v47|
; %bb.191:
	v_cmp_le_f32_e64 s10, 0x3e800000, |v47|
	s_delay_alu instid0(VALU_DEP_1)
	v_cndmask_b32_e64 v46, 0, 1, s10
; %bb.192:
	s_or_b32 exec_lo, exec_lo, s9
.LBB16_193:
	s_delay_alu instid0(SALU_CYCLE_1)
	s_or_b32 exec_lo, exec_lo, s8
.LBB16_194:
	s_delay_alu instid0(SALU_CYCLE_1)
	s_or_b32 exec_lo, exec_lo, s7
.LBB16_195:
	s_delay_alu instid0(SALU_CYCLE_1)
	s_or_b32 exec_lo, exec_lo, s5
.LBB16_196:
	s_delay_alu instid0(SALU_CYCLE_1)
	s_or_b32 exec_lo, exec_lo, s3
.LBB16_197:
	s_delay_alu instid0(SALU_CYCLE_1) | instskip(SKIP_3) | instid1(VALU_DEP_2)
	s_or_b32 exec_lo, exec_lo, s2
	v_dual_mul_f32 v54, v12, v52 :: v_dual_mov_b32 v53, 7
	v_mov_b32_e32 v52, 7
	s_mov_b32 s2, exec_lo
	v_cmpx_nle_f32_e64 0x40a00000, |v54|
	s_cbranch_execz .LBB16_209
; %bb.198:
	v_mov_b32_e32 v53, 6
	s_mov_b32 s3, exec_lo
	v_cmpx_nle_f32_e64 0x40600000, |v54|
	s_cbranch_execz .LBB16_208
; %bb.199:
	;; [unrolled: 5-line block ×5, first 2 shown]
	v_mov_b32_e32 v53, 2
	s_mov_b32 s9, exec_lo
	v_cmpx_nle_f32_e64 0x3f400000, |v54|
; %bb.203:
	v_cmp_le_f32_e64 s10, 0x3e800000, |v54|
	s_delay_alu instid0(VALU_DEP_1)
	v_cndmask_b32_e64 v53, 0, 1, s10
; %bb.204:
	s_or_b32 exec_lo, exec_lo, s9
.LBB16_205:
	s_delay_alu instid0(SALU_CYCLE_1)
	s_or_b32 exec_lo, exec_lo, s8
.LBB16_206:
	s_delay_alu instid0(SALU_CYCLE_1)
	s_or_b32 exec_lo, exec_lo, s7
.LBB16_207:
	s_delay_alu instid0(SALU_CYCLE_1)
	s_or_b32 exec_lo, exec_lo, s5
.LBB16_208:
	s_delay_alu instid0(SALU_CYCLE_1)
	s_or_b32 exec_lo, exec_lo, s3
.LBB16_209:
	s_delay_alu instid0(SALU_CYCLE_1) | instskip(SKIP_2) | instid1(VALU_DEP_1)
	s_or_b32 exec_lo, exec_lo, s2
	v_mul_f32_e32 v51, v12, v51
	s_mov_b32 s2, exec_lo
	v_cmpx_nle_f32_e64 0x40a00000, |v51|
	s_cbranch_execz .LBB16_221
; %bb.210:
	v_mov_b32_e32 v52, 6
	s_mov_b32 s3, exec_lo
	v_cmpx_nle_f32_e64 0x40600000, |v51|
	s_cbranch_execz .LBB16_220
; %bb.211:
	v_mov_b32_e32 v52, 5
	;; [unrolled: 5-line block ×5, first 2 shown]
	s_mov_b32 s9, exec_lo
	v_cmpx_nle_f32_e64 0x3f400000, |v51|
; %bb.215:
	v_cmp_le_f32_e64 s10, 0x3e800000, |v51|
	s_delay_alu instid0(VALU_DEP_1)
	v_cndmask_b32_e64 v52, 0, 1, s10
; %bb.216:
	s_or_b32 exec_lo, exec_lo, s9
.LBB16_217:
	s_delay_alu instid0(SALU_CYCLE_1)
	s_or_b32 exec_lo, exec_lo, s8
.LBB16_218:
	s_delay_alu instid0(SALU_CYCLE_1)
	s_or_b32 exec_lo, exec_lo, s7
.LBB16_219:
	s_delay_alu instid0(SALU_CYCLE_1)
	s_or_b32 exec_lo, exec_lo, s5
.LBB16_220:
	s_delay_alu instid0(SALU_CYCLE_1)
	s_or_b32 exec_lo, exec_lo, s3
.LBB16_221:
	s_delay_alu instid0(SALU_CYCLE_1) | instskip(SKIP_3) | instid1(VALU_DEP_2)
	s_or_b32 exec_lo, exec_lo, s2
	v_dual_mul_f32 v55, v12, v48 :: v_dual_mov_b32 v48, 7
	v_mov_b32_e32 v56, 7
	s_mov_b32 s2, exec_lo
	v_cmpx_nle_f32_e64 0x40a00000, |v55|
	s_cbranch_execz .LBB16_233
; %bb.222:
	v_mov_b32_e32 v56, 6
	s_mov_b32 s3, exec_lo
	v_cmpx_nle_f32_e64 0x40600000, |v55|
	s_cbranch_execz .LBB16_232
; %bb.223:
	;; [unrolled: 5-line block ×5, first 2 shown]
	v_mov_b32_e32 v56, 2
	s_mov_b32 s9, exec_lo
	v_cmpx_nle_f32_e64 0x3f400000, |v55|
; %bb.227:
	v_cmp_le_f32_e64 s10, 0x3e800000, |v55|
	s_delay_alu instid0(VALU_DEP_1)
	v_cndmask_b32_e64 v56, 0, 1, s10
; %bb.228:
	s_or_b32 exec_lo, exec_lo, s9
.LBB16_229:
	s_delay_alu instid0(SALU_CYCLE_1)
	s_or_b32 exec_lo, exec_lo, s8
.LBB16_230:
	s_delay_alu instid0(SALU_CYCLE_1)
	s_or_b32 exec_lo, exec_lo, s7
.LBB16_231:
	s_delay_alu instid0(SALU_CYCLE_1)
	s_or_b32 exec_lo, exec_lo, s5
.LBB16_232:
	s_delay_alu instid0(SALU_CYCLE_1)
	s_or_b32 exec_lo, exec_lo, s3
.LBB16_233:
	s_delay_alu instid0(SALU_CYCLE_1) | instskip(SKIP_2) | instid1(VALU_DEP_1)
	s_or_b32 exec_lo, exec_lo, s2
	v_mul_f32_e32 v45, v12, v45
	s_mov_b32 s2, exec_lo
	v_cmpx_nle_f32_e64 0x40a00000, |v45|
	s_cbranch_execz .LBB16_245
; %bb.234:
	v_mov_b32_e32 v48, 6
	s_mov_b32 s3, exec_lo
	v_cmpx_nle_f32_e64 0x40600000, |v45|
	s_cbranch_execz .LBB16_244
; %bb.235:
	v_mov_b32_e32 v48, 5
	;; [unrolled: 5-line block ×5, first 2 shown]
	s_mov_b32 s9, exec_lo
	v_cmpx_nle_f32_e64 0x3f400000, |v45|
; %bb.239:
	v_cmp_le_f32_e64 s10, 0x3e800000, |v45|
	s_delay_alu instid0(VALU_DEP_1)
	v_cndmask_b32_e64 v48, 0, 1, s10
; %bb.240:
	s_or_b32 exec_lo, exec_lo, s9
.LBB16_241:
	s_delay_alu instid0(SALU_CYCLE_1)
	s_or_b32 exec_lo, exec_lo, s8
.LBB16_242:
	s_delay_alu instid0(SALU_CYCLE_1)
	s_or_b32 exec_lo, exec_lo, s7
.LBB16_243:
	s_delay_alu instid0(SALU_CYCLE_1)
	s_or_b32 exec_lo, exec_lo, s5
.LBB16_244:
	s_delay_alu instid0(SALU_CYCLE_1)
	s_or_b32 exec_lo, exec_lo, s3
.LBB16_245:
	s_delay_alu instid0(SALU_CYCLE_1) | instskip(SKIP_3) | instid1(VALU_DEP_2)
	s_or_b32 exec_lo, exec_lo, s2
	v_dual_mul_f32 v58, v12, v41 :: v_dual_mov_b32 v41, 7
	v_mov_b32_e32 v57, 7
	s_mov_b32 s2, exec_lo
	v_cmpx_nle_f32_e64 0x40a00000, |v58|
	s_cbranch_execz .LBB16_257
; %bb.246:
	v_mov_b32_e32 v57, 6
	s_mov_b32 s3, exec_lo
	v_cmpx_nle_f32_e64 0x40600000, |v58|
	s_cbranch_execz .LBB16_256
; %bb.247:
	;; [unrolled: 5-line block ×5, first 2 shown]
	v_mov_b32_e32 v57, 2
	s_mov_b32 s9, exec_lo
	v_cmpx_nle_f32_e64 0x3f400000, |v58|
; %bb.251:
	v_cmp_le_f32_e64 s10, 0x3e800000, |v58|
	s_delay_alu instid0(VALU_DEP_1)
	v_cndmask_b32_e64 v57, 0, 1, s10
; %bb.252:
	s_or_b32 exec_lo, exec_lo, s9
.LBB16_253:
	s_delay_alu instid0(SALU_CYCLE_1)
	s_or_b32 exec_lo, exec_lo, s8
.LBB16_254:
	s_delay_alu instid0(SALU_CYCLE_1)
	s_or_b32 exec_lo, exec_lo, s7
.LBB16_255:
	s_delay_alu instid0(SALU_CYCLE_1)
	s_or_b32 exec_lo, exec_lo, s5
.LBB16_256:
	s_delay_alu instid0(SALU_CYCLE_1)
	s_or_b32 exec_lo, exec_lo, s3
.LBB16_257:
	s_delay_alu instid0(SALU_CYCLE_1) | instskip(SKIP_2) | instid1(VALU_DEP_1)
	s_or_b32 exec_lo, exec_lo, s2
	v_mul_f32_e32 v39, v12, v39
	s_mov_b32 s2, exec_lo
	v_cmpx_nle_f32_e64 0x40a00000, |v39|
	s_cbranch_execz .LBB16_269
; %bb.258:
	v_mov_b32_e32 v41, 6
	s_mov_b32 s3, exec_lo
	v_cmpx_nle_f32_e64 0x40600000, |v39|
	s_cbranch_execz .LBB16_268
; %bb.259:
	v_mov_b32_e32 v41, 5
	;; [unrolled: 5-line block ×5, first 2 shown]
	s_mov_b32 s9, exec_lo
	v_cmpx_nle_f32_e64 0x3f400000, |v39|
; %bb.263:
	v_cmp_le_f32_e64 s10, 0x3e800000, |v39|
	s_delay_alu instid0(VALU_DEP_1)
	v_cndmask_b32_e64 v41, 0, 1, s10
; %bb.264:
	s_or_b32 exec_lo, exec_lo, s9
.LBB16_265:
	s_delay_alu instid0(SALU_CYCLE_1)
	s_or_b32 exec_lo, exec_lo, s8
.LBB16_266:
	s_delay_alu instid0(SALU_CYCLE_1)
	s_or_b32 exec_lo, exec_lo, s7
.LBB16_267:
	s_delay_alu instid0(SALU_CYCLE_1)
	s_or_b32 exec_lo, exec_lo, s5
.LBB16_268:
	s_delay_alu instid0(SALU_CYCLE_1)
	s_or_b32 exec_lo, exec_lo, s3
.LBB16_269:
	s_delay_alu instid0(SALU_CYCLE_1) | instskip(SKIP_3) | instid1(VALU_DEP_2)
	s_or_b32 exec_lo, exec_lo, s2
	v_dual_mul_f32 v60, v12, v35 :: v_dual_mov_b32 v35, 7
	v_mov_b32_e32 v59, 7
	s_mov_b32 s2, exec_lo
	v_cmpx_nle_f32_e64 0x40a00000, |v60|
	s_cbranch_execz .LBB16_281
; %bb.270:
	v_mov_b32_e32 v59, 6
	s_mov_b32 s3, exec_lo
	v_cmpx_nle_f32_e64 0x40600000, |v60|
	s_cbranch_execz .LBB16_280
; %bb.271:
	;; [unrolled: 5-line block ×5, first 2 shown]
	v_mov_b32_e32 v59, 2
	s_mov_b32 s9, exec_lo
	v_cmpx_nle_f32_e64 0x3f400000, |v60|
; %bb.275:
	v_cmp_le_f32_e64 s10, 0x3e800000, |v60|
	s_delay_alu instid0(VALU_DEP_1)
	v_cndmask_b32_e64 v59, 0, 1, s10
; %bb.276:
	s_or_b32 exec_lo, exec_lo, s9
.LBB16_277:
	s_delay_alu instid0(SALU_CYCLE_1)
	s_or_b32 exec_lo, exec_lo, s8
.LBB16_278:
	s_delay_alu instid0(SALU_CYCLE_1)
	s_or_b32 exec_lo, exec_lo, s7
.LBB16_279:
	s_delay_alu instid0(SALU_CYCLE_1)
	s_or_b32 exec_lo, exec_lo, s5
.LBB16_280:
	s_delay_alu instid0(SALU_CYCLE_1)
	s_or_b32 exec_lo, exec_lo, s3
.LBB16_281:
	s_delay_alu instid0(SALU_CYCLE_1) | instskip(SKIP_2) | instid1(VALU_DEP_1)
	s_or_b32 exec_lo, exec_lo, s2
	v_mul_f32_e32 v33, v12, v33
	s_mov_b32 s2, exec_lo
	v_cmpx_nle_f32_e64 0x40a00000, |v33|
	s_cbranch_execz .LBB16_293
; %bb.282:
	v_mov_b32_e32 v35, 6
	s_mov_b32 s3, exec_lo
	v_cmpx_nle_f32_e64 0x40600000, |v33|
	s_cbranch_execz .LBB16_292
; %bb.283:
	v_mov_b32_e32 v35, 5
	;; [unrolled: 5-line block ×5, first 2 shown]
	s_mov_b32 s9, exec_lo
	v_cmpx_nle_f32_e64 0x3f400000, |v33|
; %bb.287:
	v_cmp_le_f32_e64 s10, 0x3e800000, |v33|
	s_delay_alu instid0(VALU_DEP_1)
	v_cndmask_b32_e64 v35, 0, 1, s10
; %bb.288:
	s_or_b32 exec_lo, exec_lo, s9
.LBB16_289:
	s_delay_alu instid0(SALU_CYCLE_1)
	s_or_b32 exec_lo, exec_lo, s8
.LBB16_290:
	s_delay_alu instid0(SALU_CYCLE_1)
	s_or_b32 exec_lo, exec_lo, s7
.LBB16_291:
	s_delay_alu instid0(SALU_CYCLE_1)
	s_or_b32 exec_lo, exec_lo, s5
.LBB16_292:
	s_delay_alu instid0(SALU_CYCLE_1)
	s_or_b32 exec_lo, exec_lo, s3
.LBB16_293:
	s_delay_alu instid0(SALU_CYCLE_1) | instskip(SKIP_3) | instid1(VALU_DEP_2)
	s_or_b32 exec_lo, exec_lo, s2
	v_dual_mul_f32 v62, v12, v31 :: v_dual_mov_b32 v31, 7
	v_mov_b32_e32 v61, 7
	s_mov_b32 s2, exec_lo
	v_cmpx_nle_f32_e64 0x40a00000, |v62|
	s_cbranch_execz .LBB16_305
; %bb.294:
	v_mov_b32_e32 v61, 6
	s_mov_b32 s3, exec_lo
	v_cmpx_nle_f32_e64 0x40600000, |v62|
	s_cbranch_execz .LBB16_304
; %bb.295:
	v_mov_b32_e32 v61, 5
	s_mov_b32 s5, exec_lo
	v_cmpx_nle_f32_e64 0x40200000, |v62|
	s_cbranch_execz .LBB16_303
; %bb.296:
	v_mov_b32_e32 v61, 4
	s_mov_b32 s7, exec_lo
	v_cmpx_nle_f32_e64 0x3fe00000, |v62|
	s_cbranch_execz .LBB16_302
; %bb.297:
	v_mov_b32_e32 v61, 3
	s_mov_b32 s8, exec_lo
	v_cmpx_nle_f32_e64 0x3fa00000, |v62|
	s_cbranch_execz .LBB16_301
; %bb.298:
	v_mov_b32_e32 v61, 2
	s_mov_b32 s9, exec_lo
	v_cmpx_nle_f32_e64 0x3f400000, |v62|
; %bb.299:
	v_cmp_le_f32_e64 s10, 0x3e800000, |v62|
	s_delay_alu instid0(VALU_DEP_1)
	v_cndmask_b32_e64 v61, 0, 1, s10
; %bb.300:
	s_or_b32 exec_lo, exec_lo, s9
.LBB16_301:
	s_delay_alu instid0(SALU_CYCLE_1)
	s_or_b32 exec_lo, exec_lo, s8
.LBB16_302:
	s_delay_alu instid0(SALU_CYCLE_1)
	s_or_b32 exec_lo, exec_lo, s7
.LBB16_303:
	s_delay_alu instid0(SALU_CYCLE_1)
	s_or_b32 exec_lo, exec_lo, s5
.LBB16_304:
	s_delay_alu instid0(SALU_CYCLE_1)
	s_or_b32 exec_lo, exec_lo, s3
.LBB16_305:
	s_delay_alu instid0(SALU_CYCLE_1) | instskip(SKIP_2) | instid1(VALU_DEP_1)
	s_or_b32 exec_lo, exec_lo, s2
	v_mul_f32_e32 v27, v12, v27
	s_mov_b32 s2, exec_lo
	v_cmpx_nle_f32_e64 0x40a00000, |v27|
	s_cbranch_execz .LBB16_317
; %bb.306:
	v_mov_b32_e32 v31, 6
	s_mov_b32 s3, exec_lo
	v_cmpx_nle_f32_e64 0x40600000, |v27|
	s_cbranch_execz .LBB16_316
; %bb.307:
	v_mov_b32_e32 v31, 5
	;; [unrolled: 5-line block ×5, first 2 shown]
	s_mov_b32 s9, exec_lo
	v_cmpx_nle_f32_e64 0x3f400000, |v27|
; %bb.311:
	v_cmp_le_f32_e64 s10, 0x3e800000, |v27|
	s_delay_alu instid0(VALU_DEP_1)
	v_cndmask_b32_e64 v31, 0, 1, s10
; %bb.312:
	s_or_b32 exec_lo, exec_lo, s9
.LBB16_313:
	s_delay_alu instid0(SALU_CYCLE_1)
	s_or_b32 exec_lo, exec_lo, s8
.LBB16_314:
	s_delay_alu instid0(SALU_CYCLE_1)
	s_or_b32 exec_lo, exec_lo, s7
.LBB16_315:
	s_delay_alu instid0(SALU_CYCLE_1)
	s_or_b32 exec_lo, exec_lo, s5
.LBB16_316:
	s_delay_alu instid0(SALU_CYCLE_1)
	s_or_b32 exec_lo, exec_lo, s3
.LBB16_317:
	s_delay_alu instid0(SALU_CYCLE_1) | instskip(SKIP_3) | instid1(VALU_DEP_2)
	s_or_b32 exec_lo, exec_lo, s2
	v_dual_mul_f32 v64, v12, v25 :: v_dual_mov_b32 v25, 7
	v_mov_b32_e32 v63, 7
	s_mov_b32 s2, exec_lo
	v_cmpx_nle_f32_e64 0x40a00000, |v64|
	s_cbranch_execz .LBB16_329
; %bb.318:
	v_mov_b32_e32 v63, 6
	s_mov_b32 s3, exec_lo
	v_cmpx_nle_f32_e64 0x40600000, |v64|
	s_cbranch_execz .LBB16_328
; %bb.319:
	;; [unrolled: 5-line block ×5, first 2 shown]
	v_mov_b32_e32 v63, 2
	s_mov_b32 s9, exec_lo
	v_cmpx_nle_f32_e64 0x3f400000, |v64|
; %bb.323:
	v_cmp_le_f32_e64 s10, 0x3e800000, |v64|
	s_delay_alu instid0(VALU_DEP_1)
	v_cndmask_b32_e64 v63, 0, 1, s10
; %bb.324:
	s_or_b32 exec_lo, exec_lo, s9
.LBB16_325:
	s_delay_alu instid0(SALU_CYCLE_1)
	s_or_b32 exec_lo, exec_lo, s8
.LBB16_326:
	s_delay_alu instid0(SALU_CYCLE_1)
	s_or_b32 exec_lo, exec_lo, s7
.LBB16_327:
	s_delay_alu instid0(SALU_CYCLE_1)
	s_or_b32 exec_lo, exec_lo, s5
.LBB16_328:
	s_delay_alu instid0(SALU_CYCLE_1)
	s_or_b32 exec_lo, exec_lo, s3
.LBB16_329:
	s_delay_alu instid0(SALU_CYCLE_1) | instskip(SKIP_2) | instid1(VALU_DEP_1)
	s_or_b32 exec_lo, exec_lo, s2
	v_mul_f32_e32 v21, v12, v21
	s_mov_b32 s2, exec_lo
	v_cmpx_nle_f32_e64 0x40a00000, |v21|
	s_cbranch_execz .LBB16_341
; %bb.330:
	v_mov_b32_e32 v25, 6
	s_mov_b32 s3, exec_lo
	v_cmpx_nle_f32_e64 0x40600000, |v21|
	s_cbranch_execz .LBB16_340
; %bb.331:
	v_mov_b32_e32 v25, 5
	;; [unrolled: 5-line block ×5, first 2 shown]
	s_mov_b32 s9, exec_lo
	v_cmpx_nle_f32_e64 0x3f400000, |v21|
; %bb.335:
	v_cmp_le_f32_e64 s10, 0x3e800000, |v21|
	s_delay_alu instid0(VALU_DEP_1)
	v_cndmask_b32_e64 v25, 0, 1, s10
; %bb.336:
	s_or_b32 exec_lo, exec_lo, s9
.LBB16_337:
	s_delay_alu instid0(SALU_CYCLE_1)
	s_or_b32 exec_lo, exec_lo, s8
.LBB16_338:
	s_delay_alu instid0(SALU_CYCLE_1)
	s_or_b32 exec_lo, exec_lo, s7
.LBB16_339:
	s_delay_alu instid0(SALU_CYCLE_1)
	s_or_b32 exec_lo, exec_lo, s5
.LBB16_340:
	s_delay_alu instid0(SALU_CYCLE_1)
	s_or_b32 exec_lo, exec_lo, s3
.LBB16_341:
	s_delay_alu instid0(SALU_CYCLE_1) | instskip(SKIP_3) | instid1(VALU_DEP_2)
	s_or_b32 exec_lo, exec_lo, s2
	v_dual_mul_f32 v65, v12, v19 :: v_dual_mov_b32 v66, 7
	v_mov_b32_e32 v19, 7
	s_mov_b32 s2, exec_lo
	v_cmpx_nle_f32_e64 0x40a00000, |v65|
	s_cbranch_execz .LBB16_353
; %bb.342:
	v_mov_b32_e32 v66, 6
	s_mov_b32 s3, exec_lo
	v_cmpx_nle_f32_e64 0x40600000, |v65|
	s_cbranch_execz .LBB16_352
; %bb.343:
	v_mov_b32_e32 v66, 5
	s_mov_b32 s5, exec_lo
	v_cmpx_nle_f32_e64 0x40200000, |v65|
	s_cbranch_execz .LBB16_351
; %bb.344:
	v_mov_b32_e32 v66, 4
	s_mov_b32 s7, exec_lo
	v_cmpx_nle_f32_e64 0x3fe00000, |v65|
	s_cbranch_execz .LBB16_350
; %bb.345:
	v_mov_b32_e32 v66, 3
	s_mov_b32 s8, exec_lo
	v_cmpx_nle_f32_e64 0x3fa00000, |v65|
	s_cbranch_execz .LBB16_349
; %bb.346:
	v_mov_b32_e32 v66, 2
	s_mov_b32 s9, exec_lo
	v_cmpx_nle_f32_e64 0x3f400000, |v65|
; %bb.347:
	v_cmp_le_f32_e64 s10, 0x3e800000, |v65|
	s_delay_alu instid0(VALU_DEP_1)
	v_cndmask_b32_e64 v66, 0, 1, s10
; %bb.348:
	s_or_b32 exec_lo, exec_lo, s9
.LBB16_349:
	s_delay_alu instid0(SALU_CYCLE_1)
	s_or_b32 exec_lo, exec_lo, s8
.LBB16_350:
	s_delay_alu instid0(SALU_CYCLE_1)
	s_or_b32 exec_lo, exec_lo, s7
.LBB16_351:
	s_delay_alu instid0(SALU_CYCLE_1)
	s_or_b32 exec_lo, exec_lo, s5
.LBB16_352:
	s_delay_alu instid0(SALU_CYCLE_1)
	s_or_b32 exec_lo, exec_lo, s3
.LBB16_353:
	s_delay_alu instid0(SALU_CYCLE_1) | instskip(SKIP_2) | instid1(VALU_DEP_1)
	s_or_b32 exec_lo, exec_lo, s2
	v_mul_f32_e32 v15, v12, v15
	s_mov_b32 s2, exec_lo
	v_cmpx_nle_f32_e64 0x40a00000, |v15|
	s_cbranch_execz .LBB16_365
; %bb.354:
	v_mov_b32_e32 v19, 6
	s_mov_b32 s3, exec_lo
	v_cmpx_nle_f32_e64 0x40600000, |v15|
	s_cbranch_execz .LBB16_364
; %bb.355:
	v_mov_b32_e32 v19, 5
	;; [unrolled: 5-line block ×5, first 2 shown]
	s_mov_b32 s9, exec_lo
	v_cmpx_nle_f32_e64 0x3f400000, |v15|
; %bb.359:
	v_cmp_le_f32_e64 s10, 0x3e800000, |v15|
	s_delay_alu instid0(VALU_DEP_1)
	v_cndmask_b32_e64 v19, 0, 1, s10
; %bb.360:
	s_or_b32 exec_lo, exec_lo, s9
.LBB16_361:
	s_delay_alu instid0(SALU_CYCLE_1)
	s_or_b32 exec_lo, exec_lo, s8
.LBB16_362:
	s_delay_alu instid0(SALU_CYCLE_1)
	s_or_b32 exec_lo, exec_lo, s7
.LBB16_363:
	s_delay_alu instid0(SALU_CYCLE_1)
	s_or_b32 exec_lo, exec_lo, s5
.LBB16_364:
	s_delay_alu instid0(SALU_CYCLE_1)
	s_or_b32 exec_lo, exec_lo, s3
.LBB16_365:
	s_delay_alu instid0(SALU_CYCLE_1) | instskip(SKIP_4) | instid1(VALU_DEP_2)
	s_or_b32 exec_lo, exec_lo, s2
	s_load_b64 s[2:3], s[0:1], 0x10
	v_dual_mul_f32 v67, v12, v13 :: v_dual_mov_b32 v68, 7
	v_mov_b32_e32 v13, 7
	s_mov_b32 s5, exec_lo
	v_cmpx_nle_f32_e64 0x40a00000, |v67|
	s_cbranch_execz .LBB16_377
; %bb.366:
	v_mov_b32_e32 v68, 6
	s_mov_b32 s7, exec_lo
	v_cmpx_nle_f32_e64 0x40600000, |v67|
	s_cbranch_execz .LBB16_376
; %bb.367:
	;; [unrolled: 5-line block ×5, first 2 shown]
	v_mov_b32_e32 v68, 2
	s_mov_b32 s11, exec_lo
	v_cmpx_nle_f32_e64 0x3f400000, |v67|
; %bb.371:
	v_cmp_le_f32_e64 s12, 0x3e800000, |v67|
	s_delay_alu instid0(VALU_DEP_1)
	v_cndmask_b32_e64 v68, 0, 1, s12
; %bb.372:
	s_or_b32 exec_lo, exec_lo, s11
.LBB16_373:
	s_delay_alu instid0(SALU_CYCLE_1)
	s_or_b32 exec_lo, exec_lo, s10
.LBB16_374:
	s_delay_alu instid0(SALU_CYCLE_1)
	s_or_b32 exec_lo, exec_lo, s9
.LBB16_375:
	s_delay_alu instid0(SALU_CYCLE_1)
	s_or_b32 exec_lo, exec_lo, s8
.LBB16_376:
	s_delay_alu instid0(SALU_CYCLE_1)
	s_or_b32 exec_lo, exec_lo, s7
.LBB16_377:
	s_delay_alu instid0(SALU_CYCLE_1) | instskip(SKIP_3) | instid1(VALU_DEP_1)
	s_or_b32 exec_lo, exec_lo, s5
	s_load_b64 s[0:1], s[0:1], 0x8
	v_mul_f32_e32 v8, v12, v8
	s_mov_b32 s5, exec_lo
	v_cmpx_nle_f32_e64 0x40a00000, |v8|
	s_cbranch_execz .LBB16_389
; %bb.378:
	v_mov_b32_e32 v13, 6
	s_mov_b32 s7, exec_lo
	v_cmpx_nle_f32_e64 0x40600000, |v8|
	s_cbranch_execz .LBB16_388
; %bb.379:
	v_mov_b32_e32 v13, 5
	;; [unrolled: 5-line block ×5, first 2 shown]
	s_mov_b32 s11, exec_lo
	v_cmpx_nle_f32_e64 0x3f400000, |v8|
; %bb.383:
	v_cmp_le_f32_e64 s12, 0x3e800000, |v8|
	s_delay_alu instid0(VALU_DEP_1)
	v_cndmask_b32_e64 v13, 0, 1, s12
; %bb.384:
	s_or_b32 exec_lo, exec_lo, s11
.LBB16_385:
	s_delay_alu instid0(SALU_CYCLE_1)
	s_or_b32 exec_lo, exec_lo, s10
.LBB16_386:
	s_delay_alu instid0(SALU_CYCLE_1)
	s_or_b32 exec_lo, exec_lo, s9
.LBB16_387:
	s_delay_alu instid0(SALU_CYCLE_1)
	s_or_b32 exec_lo, exec_lo, s8
.LBB16_388:
	s_delay_alu instid0(SALU_CYCLE_1)
	s_or_b32 exec_lo, exec_lo, s7
.LBB16_389:
	s_delay_alu instid0(SALU_CYCLE_1)
	s_or_b32 exec_lo, exec_lo, s5
	v_cmp_gt_f32_e32 vcc_lo, 0, v67
	v_lshlrev_b16 v6, 4, v6
	v_lshlrev_b16 v25, 4, v25
	;; [unrolled: 1-line block ×4, first 2 shown]
	v_cndmask_b32_e64 v12, 0, 1, vcc_lo
	v_cmp_gt_f32_e32 vcc_lo, 0, v65
	s_lshr_b32 s5, s4, 31
	s_delay_alu instid0(SALU_CYCLE_1) | instskip(NEXT) | instid1(VALU_DEP_2)
	s_add_i32 s4, s4, s5
	v_lshlrev_b16 v12, 3, v12
	v_cndmask_b32_e64 v65, 0, 1, vcc_lo
	v_cmp_gt_f32_e32 vcc_lo, 0, v64
	s_ashr_i32 s4, s4, 1
	s_delay_alu instid0(SALU_CYCLE_1) | instskip(NEXT) | instid1(VALU_DEP_2)
	s_ashr_i32 s5, s4, 31
	v_lshlrev_b16 v65, 3, v65
	v_cndmask_b32_e64 v64, 0, 1, vcc_lo
	v_cmp_gt_f32_e32 vcc_lo, 0, v62
	v_or_b32_e32 v12, v12, v68
	v_mul_lo_u32 v1, v1, s4
	v_or_b32_e32 v65, v65, v66
	v_lshlrev_b16 v64, 3, v64
	v_cndmask_b32_e64 v62, 0, 1, vcc_lo
	v_cmp_gt_f32_e32 vcc_lo, 0, v60
	s_delay_alu instid0(VALU_DEP_3) | instskip(NEXT) | instid1(VALU_DEP_3)
	v_or_b32_e32 v63, v64, v63
	v_lshlrev_b16 v62, 3, v62
	v_cndmask_b32_e64 v60, 0, 1, vcc_lo
	v_cmp_gt_f32_e32 vcc_lo, 0, v58
	s_delay_alu instid0(VALU_DEP_3) | instskip(NEXT) | instid1(VALU_DEP_3)
	;; [unrolled: 5-line block ×10, first 2 shown]
	v_or_b32_e32 v29, v29, v30
	v_lshlrev_b16 v24, 3, v24
	v_cndmask_b32_e64 v18, 0, 1, vcc_lo
	v_cmp_gt_f32_e32 vcc_lo, 0, v5
	s_delay_alu instid0(VALU_DEP_2) | instskip(SKIP_2) | instid1(VALU_DEP_2)
	v_lshlrev_b16 v18, 3, v18
	v_cndmask_b32_e64 v5, 0, 1, vcc_lo
	v_cmp_gt_f32_e32 vcc_lo, 0, v7
	v_lshlrev_b16 v5, 3, v5
	v_cndmask_b32_e64 v7, 0, 1, vcc_lo
	v_cmp_gt_f32_e32 vcc_lo, 0, v10
	s_delay_alu instid0(VALU_DEP_3) | instskip(NEXT) | instid1(VALU_DEP_3)
	v_or_b32_e32 v4, v5, v4
	v_lshlrev_b16 v7, 7, v7
	v_cndmask_b32_e64 v10, 0, 1, vcc_lo
	v_cmp_gt_f32_e32 vcc_lo, 0, v14
	s_delay_alu instid0(VALU_DEP_3)
	v_or_b32_e32 v5, v7, v6
	v_lshlrev_b16 v6, 4, v11
	v_cndmask_b32_e64 v14, 0, 1, vcc_lo
	v_cmp_gt_f32_e32 vcc_lo, 0, v20
	v_lshlrev_b16 v10, 3, v10
	v_or_b32_e32 v4, v5, v4
	v_or_b32_e32 v11, v24, v23
	v_lshlrev_b16 v7, 7, v14
	v_or_b32_e32 v14, v18, v17
	v_or_b32_e32 v9, v10, v9
	v_lshlrev_b16 v10, 4, v22
	v_lshlrev_b16 v22, 4, v34
	v_or_b32_e32 v5, v7, v6
	v_cndmask_b32_e64 v6, 0, 1, vcc_lo
	v_cmp_gt_f32_e32 vcc_lo, 0, v26
	v_lshlrev_b16 v23, 4, v40
	s_delay_alu instid0(VALU_DEP_4)
	v_or_b32_e32 v9, v5, v9
	v_lshlrev_b16 v5, 4, v16
	v_cndmask_b32_e64 v7, 0, 1, vcc_lo
	v_cmp_gt_f32_e32 vcc_lo, 0, v32
	v_lshlrev_b16 v6, 7, v6
	v_lshlrev_b16 v16, 4, v28
	;; [unrolled: 1-line block ×4, first 2 shown]
	v_cndmask_b32_e64 v17, 0, 1, vcc_lo
	v_cmp_gt_f32_e32 vcc_lo, 0, v38
	v_or_b32_e32 v5, v6, v5
	v_or_b32_e32 v4, v4, v9
	;; [unrolled: 1-line block ×3, first 2 shown]
	v_lshlrev_b16 v17, 7, v17
	v_cndmask_b32_e64 v18, 0, 1, vcc_lo
	v_cmp_gt_f32_e32 vcc_lo, 0, v42
	v_or_b32_e32 v14, v5, v14
	v_or_b32_e32 v11, v6, v11
	;; [unrolled: 1-line block ×3, first 2 shown]
	v_lshlrev_b16 v18, 7, v18
	v_cndmask_b32_e64 v20, 0, 1, vcc_lo
	v_cmp_gt_f32_e32 vcc_lo, 0, v51
	v_lshlrev_b16 v6, 4, v52
	v_lshlrev_b16 v5, 4, v46
	v_or_b32_e32 v10, v18, v22
	v_lshlrev_b16 v20, 7, v20
	v_cndmask_b32_e64 v17, 0, 1, vcc_lo
	v_cmp_gt_f32_e32 vcc_lo, 0, v45
	v_lshlrev_b16 v22, 4, v48
	v_or_b32_e32 v10, v10, v36
	v_or_b32_e32 v16, v20, v23
	v_lshlrev_b16 v17, 7, v17
	v_cndmask_b32_e64 v18, 0, 1, vcc_lo
	v_cmp_gt_f32_e32 vcc_lo, 0, v39
	v_lshlrev_b16 v23, 4, v41
	v_or_b32_e32 v7, v7, v29
	v_or_b32_e32 v6, v17, v6
	v_lshlrev_b16 v18, 7, v18
	v_cndmask_b32_e64 v20, 0, 1, vcc_lo
	v_cmp_gt_f32_e32 vcc_lo, 0, v47
	v_or_b32_e32 v16, v16, v43
	v_or_b32_e32 v6, v6, v53
	;; [unrolled: 1-line block ×3, first 2 shown]
	v_lshlrev_b16 v20, 7, v20
	v_cndmask_b32_e64 v24, 0, 1, vcc_lo
	v_cmp_gt_f32_e32 vcc_lo, 0, v33
	v_lshlrev_b16 v22, 4, v35
	v_or_b32_e32 v17, v17, v55
	v_or_b32_e32 v18, v20, v23
	v_lshlrev_b16 v23, 4, v31
	v_cndmask_b32_e64 v20, 0, 1, vcc_lo
	v_cmp_gt_f32_e32 vcc_lo, 0, v21
	v_lshlrev_b16 v17, 8, v17
	v_or_b32_e32 v18, v18, v57
	v_lshlrev_b16 v11, 8, v11
	v_lshlrev_b16 v20, 7, v20
	v_cndmask_b32_e64 v21, 0, 1, vcc_lo
	v_cmp_gt_f32_e32 vcc_lo, 0, v27
	v_or_b32_e32 v6, v6, v17
	s_delay_alu instid0(VALU_DEP_3) | instskip(SKIP_2) | instid1(VALU_DEP_3)
	v_lshlrev_b16 v21, 7, v21
	v_cndmask_b32_e64 v26, 0, 1, vcc_lo
	v_cmp_gt_f32_e32 vcc_lo, 0, v8
	v_or_b32_e32 v21, v21, v25
	s_delay_alu instid0(VALU_DEP_3) | instskip(SKIP_2) | instid1(VALU_DEP_2)
	v_lshlrev_b16 v26, 7, v26
	v_cndmask_b32_e64 v8, 0, 1, vcc_lo
	v_cmp_gt_f32_e32 vcc_lo, 0, v15
	v_lshlrev_b16 v8, 7, v8
	v_cndmask_b32_e64 v15, 0, 1, vcc_lo
	s_delay_alu instid0(VALU_DEP_2) | instskip(NEXT) | instid1(VALU_DEP_2)
	v_or_b32_e32 v8, v8, v13
	v_lshlrev_b16 v15, 7, v15
	v_or_b32_e32 v13, v20, v22
	v_or_b32_e32 v20, v26, v23
	s_delay_alu instid0(VALU_DEP_4) | instskip(NEXT) | instid1(VALU_DEP_4)
	v_or_b32_e32 v8, v8, v12
	v_or_b32_e32 v15, v15, v19
	;; [unrolled: 1-line block ×5, first 2 shown]
	v_lshlrev_b16 v8, 8, v8
	v_or_b32_e32 v15, v15, v65
	v_lshlrev_b16 v19, 8, v19
	v_lshlrev_b16 v12, 8, v12
	;; [unrolled: 1-line block ×3, first 2 shown]
	s_delay_alu instid0(VALU_DEP_4) | instskip(NEXT) | instid1(VALU_DEP_4)
	v_or_b32_e32 v8, v15, v8
	v_or_b32_e32 v13, v13, v19
	s_delay_alu instid0(VALU_DEP_4) | instskip(NEXT) | instid1(VALU_DEP_4)
	v_or_b32_e32 v12, v18, v12
	v_or_b32_e32 v5, v20, v5
	v_ashrrev_i32_e32 v18, 31, v0
	v_lshlrev_b32_e32 v8, 16, v8
	v_and_b32_e32 v13, 0xffff, v13
	v_and_b32_e32 v15, 0xffff, v6
	v_lshlrev_b32_e32 v12, 16, v12
	v_or_b32_e32 v17, v5, v49
	v_lshrrev_b32_e32 v19, 23, v3
	v_or_b32_e32 v6, v13, v8
	v_lshrrev_b32_e32 v8, 27, v18
	v_or_b32_e32 v5, v15, v12
	v_lshlrev_b16 v3, 8, v10
	v_lshlrev_b16 v10, 8, v17
	s_delay_alu instid0(VALU_DEP_4) | instskip(SKIP_1) | instid1(VALU_DEP_4)
	v_add_nc_u32_e32 v12, v0, v8
	v_or_b32_e32 v8, v14, v11
	v_or_b32_e32 v3, v7, v3
	s_delay_alu instid0(VALU_DEP_4)
	v_or_b32_e32 v7, v16, v10
	v_and_b32_e32 v10, 0xffff, v4
	v_and_b32_e32 v9, 0xffe0, v12
	v_lshlrev_b32_e32 v8, 16, v8
	v_and_b32_e32 v3, 0xffff, v3
	v_lshlrev_b32_e32 v7, 16, v7
	v_lshrrev_b32_e32 v11, 28, v18
	v_sub_nc_u32_e32 v9, v0, v9
	v_lshlrev_b32_e32 v14, 8, v2
	s_delay_alu instid0(VALU_DEP_4) | instskip(SKIP_1) | instid1(VALU_DEP_4)
	v_or_b32_e32 v4, v3, v7
	v_or_b32_e32 v3, v10, v8
	v_bfe_i32 v7, v9, 0, 8
	v_lshlrev_b32_e32 v8, 4, v0
	v_and_b32_e32 v10, -16, v0
	v_add_nc_u32_e32 v11, v0, v11
	s_delay_alu instid0(VALU_DEP_4) | instskip(NEXT) | instid1(VALU_DEP_4)
	v_lshrrev_b16 v7, 11, v7
	v_and_b32_e32 v13, 0xf0, v8
	s_delay_alu instid0(VALU_DEP_4) | instskip(NEXT) | instid1(VALU_DEP_4)
	v_mul_lo_u32 v15, v10, s5
	v_and_b32_e32 v11, 0x3ffffff0, v11
	s_delay_alu instid0(VALU_DEP_4)
	v_and_b32_e32 v16, 15, v7
	s_waitcnt lgkmcnt(0)
	v_mad_u64_u32 v[7:8], null, v10, s4, s[0:1]
	v_lshrrev_b32_e32 v10, 5, v12
	v_lshlrev_b32_e32 v12, 6, v2
	v_add_nc_u16 v9, v9, v16
	v_sub_nc_u32_e32 v0, v0, v11
	v_and_b32_e32 v16, 0x3fffff8, v2
	v_mul_lo_u32 v10, v10, s6
	v_and_b32_e32 v12, 0xc0, v12
	v_bfe_i32 v9, v9, 0, 8
	v_lshrrev_b32_e32 v2, 1, v2
	v_add3_u32 v1, v1, v8, v15
	v_and_b32_e32 v11, 0x7ffffe00, v14
	v_lshl_add_u32 v0, v0, 2, v12
	v_ashrrev_i16 v9, 4, v9
	v_add_lshl_u32 v8, v10, v16, 5
	v_and_b32_e32 v12, 0x100, v14
	s_delay_alu instid0(VALU_DEP_4) | instskip(NEXT) | instid1(VALU_DEP_4)
	v_and_or_b32 v0, v2, 2, v0
	v_bfe_i32 v9, v9, 0, 16
	v_add_co_u32 v2, vcc_lo, v7, v13
	v_add_co_ci_u32_e32 v1, vcc_lo, 0, v1, vcc_lo
	s_delay_alu instid0(VALU_DEP_3) | instskip(NEXT) | instid1(VALU_DEP_3)
	v_add3_u32 v7, v0, v8, v9
	v_add_co_u32 v0, vcc_lo, v2, v11
	s_delay_alu instid0(VALU_DEP_3) | instskip(NEXT) | instid1(VALU_DEP_3)
	v_add_co_ci_u32_e32 v1, vcc_lo, 0, v1, vcc_lo
	v_ashrrev_i32_e32 v2, 31, v7
	s_delay_alu instid0(VALU_DEP_3) | instskip(NEXT) | instid1(VALU_DEP_3)
	v_add_co_u32 v0, vcc_lo, v0, v12
	v_add_co_ci_u32_e32 v1, vcc_lo, 0, v1, vcc_lo
	v_add_co_u32 v7, vcc_lo, s2, v7
	s_delay_alu instid0(VALU_DEP_4)
	v_add_co_ci_u32_e32 v8, vcc_lo, s3, v2, vcc_lo
	global_store_b128 v[0:1], v[3:6], off
	global_store_b8 v[7:8], v19, off
.LBB16_390:
	s_nop 0
	s_sendmsg sendmsg(MSG_DEALLOC_VGPRS)
	s_endpgm
	.section	.rodata,"a",@progbits
	.p2align	6, 0x0
	.amdhsa_kernel _ZN5aiter18quant_mxfp4_kernelI6__halfLNS_16MxScaleRoundModeE3ELb1ELb0ELb1EEEvPKT_PhPfliiib
		.amdhsa_group_segment_fixed_size 0
		.amdhsa_private_segment_fixed_size 0
		.amdhsa_kernarg_size 304
		.amdhsa_user_sgpr_count 15
		.amdhsa_user_sgpr_dispatch_ptr 0
		.amdhsa_user_sgpr_queue_ptr 0
		.amdhsa_user_sgpr_kernarg_segment_ptr 1
		.amdhsa_user_sgpr_dispatch_id 0
		.amdhsa_user_sgpr_private_segment_size 0
		.amdhsa_wavefront_size32 1
		.amdhsa_uses_dynamic_stack 0
		.amdhsa_enable_private_segment 0
		.amdhsa_system_sgpr_workgroup_id_x 1
		.amdhsa_system_sgpr_workgroup_id_y 0
		.amdhsa_system_sgpr_workgroup_id_z 0
		.amdhsa_system_sgpr_workgroup_info 0
		.amdhsa_system_vgpr_workitem_id 0
		.amdhsa_next_free_vgpr 69
		.amdhsa_next_free_sgpr 16
		.amdhsa_reserve_vcc 1
		.amdhsa_float_round_mode_32 0
		.amdhsa_float_round_mode_16_64 0
		.amdhsa_float_denorm_mode_32 3
		.amdhsa_float_denorm_mode_16_64 3
		.amdhsa_dx10_clamp 1
		.amdhsa_ieee_mode 1
		.amdhsa_fp16_overflow 0
		.amdhsa_workgroup_processor_mode 1
		.amdhsa_memory_ordered 1
		.amdhsa_forward_progress 0
		.amdhsa_shared_vgpr_count 0
		.amdhsa_exception_fp_ieee_invalid_op 0
		.amdhsa_exception_fp_denorm_src 0
		.amdhsa_exception_fp_ieee_div_zero 0
		.amdhsa_exception_fp_ieee_overflow 0
		.amdhsa_exception_fp_ieee_underflow 0
		.amdhsa_exception_fp_ieee_inexact 0
		.amdhsa_exception_int_div_zero 0
	.end_amdhsa_kernel
	.section	.text._ZN5aiter18quant_mxfp4_kernelI6__halfLNS_16MxScaleRoundModeE3ELb1ELb0ELb1EEEvPKT_PhPfliiib,"axG",@progbits,_ZN5aiter18quant_mxfp4_kernelI6__halfLNS_16MxScaleRoundModeE3ELb1ELb0ELb1EEEvPKT_PhPfliiib,comdat
.Lfunc_end16:
	.size	_ZN5aiter18quant_mxfp4_kernelI6__halfLNS_16MxScaleRoundModeE3ELb1ELb0ELb1EEEvPKT_PhPfliiib, .Lfunc_end16-_ZN5aiter18quant_mxfp4_kernelI6__halfLNS_16MxScaleRoundModeE3ELb1ELb0ELb1EEEvPKT_PhPfliiib
                                        ; -- End function
	.section	.AMDGPU.csdata,"",@progbits
; Kernel info:
; codeLenInByte = 10180
; NumSgprs: 18
; NumVgprs: 69
; ScratchSize: 0
; MemoryBound: 0
; FloatMode: 240
; IeeeMode: 1
; LDSByteSize: 0 bytes/workgroup (compile time only)
; SGPRBlocks: 2
; VGPRBlocks: 8
; NumSGPRsForWavesPerEU: 18
; NumVGPRsForWavesPerEU: 69
; Occupancy: 16
; WaveLimiterHint : 0
; COMPUTE_PGM_RSRC2:SCRATCH_EN: 0
; COMPUTE_PGM_RSRC2:USER_SGPR: 15
; COMPUTE_PGM_RSRC2:TRAP_HANDLER: 0
; COMPUTE_PGM_RSRC2:TGID_X_EN: 1
; COMPUTE_PGM_RSRC2:TGID_Y_EN: 0
; COMPUTE_PGM_RSRC2:TGID_Z_EN: 0
; COMPUTE_PGM_RSRC2:TIDIG_COMP_CNT: 0
	.section	.text._ZN5aiter18quant_mxfp4_kernelI6__halfLNS_16MxScaleRoundModeE3ELb1ELb0ELb0EEEvPKT_PhPfliiib,"axG",@progbits,_ZN5aiter18quant_mxfp4_kernelI6__halfLNS_16MxScaleRoundModeE3ELb1ELb0ELb0EEEvPKT_PhPfliiib,comdat
	.protected	_ZN5aiter18quant_mxfp4_kernelI6__halfLNS_16MxScaleRoundModeE3ELb1ELb0ELb0EEEvPKT_PhPfliiib ; -- Begin function _ZN5aiter18quant_mxfp4_kernelI6__halfLNS_16MxScaleRoundModeE3ELb1ELb0ELb0EEEvPKT_PhPfliiib
	.globl	_ZN5aiter18quant_mxfp4_kernelI6__halfLNS_16MxScaleRoundModeE3ELb1ELb0ELb0EEEvPKT_PhPfliiib
	.p2align	8
	.type	_ZN5aiter18quant_mxfp4_kernelI6__halfLNS_16MxScaleRoundModeE3ELb1ELb0ELb0EEEvPKT_PhPfliiib,@function
_ZN5aiter18quant_mxfp4_kernelI6__halfLNS_16MxScaleRoundModeE3ELb1ELb0ELb0EEEvPKT_PhPfliiib: ; @_ZN5aiter18quant_mxfp4_kernelI6__halfLNS_16MxScaleRoundModeE3ELb1ELb0ELb0EEEvPKT_PhPfliiib
; %bb.0:
	s_clause 0x1
	s_load_b32 s2, s[0:1], 0x3c
	s_load_b128 s[4:7], s[0:1], 0x20
	v_mov_b32_e32 v1, 0
	s_mov_b32 s3, exec_lo
	s_delay_alu instid0(VALU_DEP_1) | instskip(SKIP_2) | instid1(SALU_CYCLE_1)
	v_mov_b32_e32 v4, v1
	s_waitcnt lgkmcnt(0)
	s_and_b32 s2, s2, 0xffff
	v_mad_u64_u32 v[2:3], null, s2, s15, v[0:1]
	s_ashr_i32 s2, s6, 31
                                        ; implicit-def: $vgpr0_vgpr1
	s_delay_alu instid0(VALU_DEP_1) | instid1(SALU_CYCLE_1)
	v_or_b32_e32 v5, s2, v3
	s_delay_alu instid0(VALU_DEP_1)
	v_cmpx_ne_u64_e32 0, v[4:5]
	s_xor_b32 s3, exec_lo, s3
	s_cbranch_execz .LBB17_2
; %bb.1:
	s_add_u32 s10, s6, s2
	s_mov_b32 s8, s2
	s_mov_b32 s9, s2
	s_addc_u32 s11, s2, s2
	s_delay_alu instid0(SALU_CYCLE_1) | instskip(NEXT) | instid1(SALU_CYCLE_1)
	s_xor_b64 s[10:11], s[10:11], s[8:9]
	v_cvt_f32_u32_e32 v0, s10
	v_cvt_f32_u32_e32 v1, s11
	s_sub_u32 s2, 0, s10
	s_subb_u32 s7, 0, s11
	s_delay_alu instid0(VALU_DEP_1) | instskip(NEXT) | instid1(VALU_DEP_1)
	v_fmamk_f32 v0, v1, 0x4f800000, v0
	v_rcp_f32_e32 v0, v0
	s_waitcnt_depctr 0xfff
	v_mul_f32_e32 v0, 0x5f7ffffc, v0
	s_delay_alu instid0(VALU_DEP_1) | instskip(NEXT) | instid1(VALU_DEP_1)
	v_mul_f32_e32 v1, 0x2f800000, v0
	v_trunc_f32_e32 v1, v1
	s_delay_alu instid0(VALU_DEP_1) | instskip(SKIP_1) | instid1(VALU_DEP_2)
	v_fmamk_f32 v0, v1, 0xcf800000, v0
	v_cvt_u32_f32_e32 v1, v1
	v_cvt_u32_f32_e32 v0, v0
	s_delay_alu instid0(VALU_DEP_2) | instskip(NEXT) | instid1(VALU_DEP_2)
	v_mul_lo_u32 v4, s2, v1
	v_mul_hi_u32 v5, s2, v0
	v_mul_lo_u32 v6, s7, v0
	s_delay_alu instid0(VALU_DEP_2) | instskip(SKIP_1) | instid1(VALU_DEP_2)
	v_add_nc_u32_e32 v4, v5, v4
	v_mul_lo_u32 v5, s2, v0
	v_add_nc_u32_e32 v4, v4, v6
	s_delay_alu instid0(VALU_DEP_2) | instskip(NEXT) | instid1(VALU_DEP_2)
	v_mul_hi_u32 v6, v0, v5
	v_mul_lo_u32 v7, v0, v4
	v_mul_hi_u32 v8, v0, v4
	v_mul_hi_u32 v9, v1, v5
	v_mul_lo_u32 v5, v1, v5
	v_mul_hi_u32 v10, v1, v4
	v_mul_lo_u32 v4, v1, v4
	v_add_co_u32 v6, vcc_lo, v6, v7
	v_add_co_ci_u32_e32 v7, vcc_lo, 0, v8, vcc_lo
	s_delay_alu instid0(VALU_DEP_2) | instskip(NEXT) | instid1(VALU_DEP_2)
	v_add_co_u32 v5, vcc_lo, v6, v5
	v_add_co_ci_u32_e32 v5, vcc_lo, v7, v9, vcc_lo
	v_add_co_ci_u32_e32 v6, vcc_lo, 0, v10, vcc_lo
	v_ashrrev_i32_e32 v9, 31, v3
	s_delay_alu instid0(VALU_DEP_3) | instskip(NEXT) | instid1(VALU_DEP_3)
	v_add_co_u32 v4, vcc_lo, v5, v4
	v_add_co_ci_u32_e32 v5, vcc_lo, 0, v6, vcc_lo
	s_delay_alu instid0(VALU_DEP_2) | instskip(NEXT) | instid1(VALU_DEP_2)
	v_add_co_u32 v0, vcc_lo, v0, v4
	v_add_co_ci_u32_e32 v1, vcc_lo, v1, v5, vcc_lo
	s_delay_alu instid0(VALU_DEP_2) | instskip(SKIP_1) | instid1(VALU_DEP_3)
	v_mul_hi_u32 v4, s2, v0
	v_mul_lo_u32 v6, s7, v0
	v_mul_lo_u32 v5, s2, v1
	s_delay_alu instid0(VALU_DEP_1) | instskip(SKIP_1) | instid1(VALU_DEP_2)
	v_add_nc_u32_e32 v4, v4, v5
	v_mul_lo_u32 v5, s2, v0
	v_add_nc_u32_e32 v4, v4, v6
	s_delay_alu instid0(VALU_DEP_2) | instskip(NEXT) | instid1(VALU_DEP_2)
	v_mul_hi_u32 v6, v0, v5
	v_mul_lo_u32 v7, v0, v4
	v_mul_hi_u32 v8, v0, v4
	v_mul_hi_u32 v10, v1, v5
	v_mul_lo_u32 v5, v1, v5
	v_mul_hi_u32 v11, v1, v4
	v_mul_lo_u32 v4, v1, v4
	v_add_co_u32 v6, vcc_lo, v6, v7
	v_add_co_ci_u32_e32 v7, vcc_lo, 0, v8, vcc_lo
	s_delay_alu instid0(VALU_DEP_2) | instskip(NEXT) | instid1(VALU_DEP_2)
	v_add_co_u32 v5, vcc_lo, v6, v5
	v_add_co_ci_u32_e32 v5, vcc_lo, v7, v10, vcc_lo
	v_add_co_ci_u32_e32 v6, vcc_lo, 0, v11, vcc_lo
	v_add_co_u32 v7, vcc_lo, v2, v9
	v_add_co_ci_u32_e32 v3, vcc_lo, v3, v9, vcc_lo
	s_delay_alu instid0(VALU_DEP_4) | instskip(NEXT) | instid1(VALU_DEP_4)
	v_add_co_u32 v4, vcc_lo, v5, v4
	v_add_co_ci_u32_e32 v5, vcc_lo, 0, v6, vcc_lo
	s_delay_alu instid0(VALU_DEP_4) | instskip(NEXT) | instid1(VALU_DEP_3)
	v_xor_b32_e32 v7, v7, v9
	v_add_co_u32 v6, vcc_lo, v0, v4
	s_delay_alu instid0(VALU_DEP_3) | instskip(SKIP_1) | instid1(VALU_DEP_3)
	v_add_co_ci_u32_e32 v8, vcc_lo, v1, v5, vcc_lo
	v_xor_b32_e32 v10, v3, v9
	v_mul_hi_u32 v11, v7, v6
	s_delay_alu instid0(VALU_DEP_3) | instskip(NEXT) | instid1(VALU_DEP_3)
	v_mad_u64_u32 v[0:1], null, v7, v8, 0
	v_mad_u64_u32 v[3:4], null, v10, v6, 0
	;; [unrolled: 1-line block ×3, first 2 shown]
	s_delay_alu instid0(VALU_DEP_3) | instskip(NEXT) | instid1(VALU_DEP_4)
	v_add_co_u32 v0, vcc_lo, v11, v0
	v_add_co_ci_u32_e32 v1, vcc_lo, 0, v1, vcc_lo
	s_delay_alu instid0(VALU_DEP_2) | instskip(NEXT) | instid1(VALU_DEP_2)
	v_add_co_u32 v0, vcc_lo, v0, v3
	v_add_co_ci_u32_e32 v0, vcc_lo, v1, v4, vcc_lo
	v_add_co_ci_u32_e32 v1, vcc_lo, 0, v6, vcc_lo
	s_delay_alu instid0(VALU_DEP_2) | instskip(NEXT) | instid1(VALU_DEP_2)
	v_add_co_u32 v3, vcc_lo, v0, v5
	v_add_co_ci_u32_e32 v4, vcc_lo, 0, v1, vcc_lo
	s_delay_alu instid0(VALU_DEP_2) | instskip(SKIP_1) | instid1(VALU_DEP_3)
	v_mul_lo_u32 v5, s11, v3
	v_mad_u64_u32 v[0:1], null, s10, v3, 0
	v_mul_lo_u32 v6, s10, v4
	s_delay_alu instid0(VALU_DEP_2) | instskip(NEXT) | instid1(VALU_DEP_2)
	v_sub_co_u32 v0, vcc_lo, v7, v0
	v_add3_u32 v1, v1, v6, v5
	s_delay_alu instid0(VALU_DEP_1) | instskip(NEXT) | instid1(VALU_DEP_1)
	v_sub_nc_u32_e32 v5, v10, v1
	v_subrev_co_ci_u32_e64 v5, s2, s11, v5, vcc_lo
	v_add_co_u32 v6, s2, v3, 2
	s_delay_alu instid0(VALU_DEP_1) | instskip(SKIP_3) | instid1(VALU_DEP_3)
	v_add_co_ci_u32_e64 v7, s2, 0, v4, s2
	v_sub_co_u32 v8, s2, v0, s10
	v_sub_co_ci_u32_e32 v1, vcc_lo, v10, v1, vcc_lo
	v_subrev_co_ci_u32_e64 v5, s2, 0, v5, s2
	v_cmp_le_u32_e32 vcc_lo, s10, v8
	s_delay_alu instid0(VALU_DEP_3) | instskip(SKIP_1) | instid1(VALU_DEP_4)
	v_cmp_eq_u32_e64 s2, s11, v1
	v_cndmask_b32_e64 v8, 0, -1, vcc_lo
	v_cmp_le_u32_e32 vcc_lo, s11, v5
	v_cndmask_b32_e64 v10, 0, -1, vcc_lo
	v_cmp_le_u32_e32 vcc_lo, s10, v0
	;; [unrolled: 2-line block ×3, first 2 shown]
	v_cndmask_b32_e64 v11, 0, -1, vcc_lo
	v_cmp_eq_u32_e32 vcc_lo, s11, v5
	s_delay_alu instid0(VALU_DEP_2) | instskip(SKIP_3) | instid1(VALU_DEP_3)
	v_cndmask_b32_e64 v0, v11, v0, s2
	v_cndmask_b32_e32 v5, v10, v8, vcc_lo
	v_add_co_u32 v8, vcc_lo, v3, 1
	v_add_co_ci_u32_e32 v10, vcc_lo, 0, v4, vcc_lo
	v_cmp_ne_u32_e32 vcc_lo, 0, v5
	s_delay_alu instid0(VALU_DEP_2) | instskip(NEXT) | instid1(VALU_DEP_4)
	v_cndmask_b32_e32 v1, v10, v7, vcc_lo
	v_cndmask_b32_e32 v5, v8, v6, vcc_lo
	v_cmp_ne_u32_e32 vcc_lo, 0, v0
	v_xor_b32_e32 v0, s8, v9
	s_delay_alu instid0(VALU_DEP_3) | instskip(SKIP_2) | instid1(VALU_DEP_3)
	v_cndmask_b32_e32 v3, v3, v5, vcc_lo
	v_cndmask_b32_e32 v1, v4, v1, vcc_lo
	v_xor_b32_e32 v4, s9, v9
	v_xor_b32_e32 v3, v3, v0
	s_delay_alu instid0(VALU_DEP_2) | instskip(NEXT) | instid1(VALU_DEP_2)
	v_xor_b32_e32 v1, v1, v4
	v_sub_co_u32 v0, vcc_lo, v3, v0
	s_delay_alu instid0(VALU_DEP_2)
	v_sub_co_ci_u32_e32 v1, vcc_lo, v1, v4, vcc_lo
.LBB17_2:
	s_and_not1_saveexec_b32 s2, s3
	s_cbranch_execz .LBB17_4
; %bb.3:
	v_cvt_f32_u32_e32 v0, s6
	s_sub_i32 s3, 0, s6
	s_delay_alu instid0(VALU_DEP_1) | instskip(SKIP_2) | instid1(VALU_DEP_1)
	v_rcp_iflag_f32_e32 v0, v0
	s_waitcnt_depctr 0xfff
	v_mul_f32_e32 v0, 0x4f7ffffe, v0
	v_cvt_u32_f32_e32 v0, v0
	s_delay_alu instid0(VALU_DEP_1) | instskip(NEXT) | instid1(VALU_DEP_1)
	v_mul_lo_u32 v1, s3, v0
	v_mul_hi_u32 v1, v0, v1
	s_delay_alu instid0(VALU_DEP_1) | instskip(NEXT) | instid1(VALU_DEP_1)
	v_add_nc_u32_e32 v0, v0, v1
	v_mul_hi_u32 v0, v2, v0
	s_delay_alu instid0(VALU_DEP_1) | instskip(SKIP_1) | instid1(VALU_DEP_2)
	v_mul_lo_u32 v1, v0, s6
	v_add_nc_u32_e32 v3, 1, v0
	v_sub_nc_u32_e32 v1, v2, v1
	s_delay_alu instid0(VALU_DEP_1) | instskip(SKIP_1) | instid1(VALU_DEP_2)
	v_subrev_nc_u32_e32 v4, s6, v1
	v_cmp_le_u32_e32 vcc_lo, s6, v1
	v_dual_cndmask_b32 v1, v1, v4 :: v_dual_cndmask_b32 v0, v0, v3
	s_delay_alu instid0(VALU_DEP_1) | instskip(NEXT) | instid1(VALU_DEP_2)
	v_cmp_le_u32_e32 vcc_lo, s6, v1
	v_add_nc_u32_e32 v3, 1, v0
	s_delay_alu instid0(VALU_DEP_1)
	v_dual_mov_b32 v1, 0 :: v_dual_cndmask_b32 v0, v0, v3
.LBB17_4:
	s_or_b32 exec_lo, exec_lo, s2
	s_load_b64 s[2:3], s[0:1], 0x18
	s_delay_alu instid0(VALU_DEP_1) | instskip(NEXT) | instid1(VALU_DEP_1)
	v_mad_u64_u32 v[3:4], null, v0, s6, 0
	v_sub_co_u32 v2, null, v2, v3
	s_waitcnt lgkmcnt(0)
	v_cmp_gt_i64_e32 vcc_lo, s[2:3], v[0:1]
	s_delay_alu instid0(VALU_DEP_2) | instskip(NEXT) | instid1(VALU_DEP_1)
	v_cmp_gt_i32_e64 s2, s5, v2
	s_and_b32 s2, vcc_lo, s2
	s_delay_alu instid0(SALU_CYCLE_1)
	s_and_saveexec_b32 s3, s2
	s_cbranch_execz .LBB17_390
; %bb.5:
	s_ashr_i32 s5, s4, 31
	s_load_b64 s[2:3], s[0:1], 0x0
	v_mul_lo_u32 v5, v1, s4
	v_mad_u64_u32 v[3:4], null, v0, s4, 0
	v_mul_lo_u32 v6, v0, s5
	s_delay_alu instid0(VALU_DEP_1) | instskip(SKIP_1) | instid1(VALU_DEP_2)
	v_add3_u32 v4, v4, v6, v5
	v_dual_mov_b32 v6, 0 :: v_dual_lshlrev_b32 v5, 5, v2
	v_lshlrev_b64 v[3:4], 1, v[3:4]
	s_delay_alu instid0(VALU_DEP_2) | instskip(SKIP_1) | instid1(VALU_DEP_2)
	v_lshlrev_b64 v[5:6], 1, v[5:6]
	s_waitcnt lgkmcnt(0)
	v_add_co_u32 v3, vcc_lo, s2, v3
	s_delay_alu instid0(VALU_DEP_3) | instskip(SKIP_1) | instid1(VALU_DEP_2)
	v_add_co_ci_u32_e32 v4, vcc_lo, s3, v4, vcc_lo
	s_mov_b32 s2, exec_lo
	v_add_co_u32 v7, vcc_lo, v3, v5
	s_delay_alu instid0(VALU_DEP_2)
	v_add_co_ci_u32_e32 v8, vcc_lo, v4, v6, vcc_lo
	s_clause 0x3
	global_load_b128 v[3:6], v[7:8], off
	global_load_b128 v[10:13], v[7:8], off offset:16
	global_load_b128 v[52:55], v[7:8], off offset:32
	;; [unrolled: 1-line block ×3, first 2 shown]
	s_waitcnt vmcnt(3)
	v_lshrrev_b32_e32 v7, 16, v3
	v_cvt_f32_f16_e32 v17, v3
	v_lshrrev_b32_e32 v3, 16, v4
	v_cvt_f32_f16_e32 v9, v4
	;; [unrolled: 2-line block ×3, first 2 shown]
	v_cvt_f32_f16_e32 v16, v5
	v_cvt_f32_f16_e32 v14, v3
	v_lshrrev_b32_e32 v5, 16, v6
	v_cvt_f32_f16_e32 v20, v4
	v_max3_f32 v3, |v17|, 0, |v7|
	v_cvt_f32_f16_e32 v22, v6
	s_waitcnt vmcnt(2)
	v_lshrrev_b32_e32 v4, 16, v10
	v_cvt_f32_f16_e32 v26, v5
	v_cvt_f32_f16_e32 v28, v10
	v_max3_f32 v3, v3, |v9|, |v14|
	v_lshrrev_b32_e32 v5, 16, v11
	v_cvt_f32_f16_e32 v32, v4
	v_cvt_f32_f16_e32 v34, v11
	v_lshrrev_b32_e32 v4, 16, v12
	v_max3_f32 v3, v3, |v16|, |v20|
	v_cvt_f32_f16_e32 v37, v5
	v_cvt_f32_f16_e32 v40, v12
	v_lshrrev_b32_e32 v5, 16, v13
	v_cvt_f32_f16_e32 v42, v4
	v_max3_f32 v3, v3, |v22|, |v26|
	v_cvt_f32_f16_e32 v46, v13
	s_waitcnt vmcnt(1)
	v_lshrrev_b32_e32 v4, 16, v52
	v_cvt_f32_f16_e32 v47, v5
	v_cvt_f32_f16_e32 v51, v52
	v_max3_f32 v3, v3, |v28|, |v32|
	v_lshrrev_b32_e32 v5, 16, v53
	v_cvt_f32_f16_e32 v52, v4
	v_cvt_f32_f16_e32 v48, v53
	v_lshrrev_b32_e32 v4, 16, v54
	v_max3_f32 v3, v3, |v34|, |v37|
	v_cvt_f32_f16_e32 v45, v5
	v_cvt_f32_f16_e32 v41, v54
	v_lshrrev_b32_e32 v5, 16, v55
	v_cvt_f32_f16_e32 v39, v4
	v_max3_f32 v3, v3, |v40|, |v42|
	;; [unrolled: 16-line block ×3, first 2 shown]
	v_cvt_f32_f16_e32 v13, v59
	s_delay_alu instid0(VALU_DEP_4) | instskip(NEXT) | instid1(VALU_DEP_3)
	v_cvt_f32_f16_e32 v8, v5
	v_max3_f32 v3, v3, |v41|, |v39|
	s_delay_alu instid0(VALU_DEP_1) | instskip(NEXT) | instid1(VALU_DEP_1)
	v_max3_f32 v3, v3, |v35|, |v33|
	v_max3_f32 v3, v3, |v31|, |v27|
	s_delay_alu instid0(VALU_DEP_1) | instskip(NEXT) | instid1(VALU_DEP_1)
	v_max3_f32 v3, v3, |v25|, |v21|
	;; [unrolled: 3-line block ×3, first 2 shown]
	v_mul_f32_e32 v3, 0x3e800000, v3
	s_delay_alu instid0(VALU_DEP_1) | instskip(SKIP_1) | instid1(VALU_DEP_2)
	v_and_b32_e32 v4, 0x7fffff, v3
	v_bfe_u32 v3, v3, 23, 8
	v_cmp_ne_u32_e32 vcc_lo, 0, v4
	s_delay_alu instid0(VALU_DEP_2) | instskip(SKIP_1) | instid1(VALU_DEP_2)
	v_add_co_ci_u32_e32 v4, vcc_lo, 0, v3, vcc_lo
	v_cmp_ne_u32_e32 vcc_lo, 0xff, v3
	v_lshlrev_b32_e32 v4, 23, v4
	s_delay_alu instid0(VALU_DEP_1) | instskip(NEXT) | instid1(VALU_DEP_1)
	v_cndmask_b32_e32 v3, 0x7f800000, v4, vcc_lo
	v_div_scale_f32 v4, null, v3, v3, 1.0
	v_div_scale_f32 v10, vcc_lo, 1.0, v3, 1.0
	s_delay_alu instid0(VALU_DEP_2) | instskip(SKIP_2) | instid1(VALU_DEP_1)
	v_rcp_f32_e32 v5, v4
	s_waitcnt_depctr 0xfff
	v_fma_f32 v6, -v4, v5, 1.0
	v_fmac_f32_e32 v5, v6, v5
	s_delay_alu instid0(VALU_DEP_1) | instskip(NEXT) | instid1(VALU_DEP_1)
	v_mul_f32_e32 v6, v10, v5
	v_fma_f32 v11, -v4, v6, v10
	s_delay_alu instid0(VALU_DEP_1) | instskip(NEXT) | instid1(VALU_DEP_1)
	v_fmac_f32_e32 v6, v11, v5
	v_fma_f32 v4, -v4, v6, v10
	s_delay_alu instid0(VALU_DEP_1) | instskip(SKIP_3) | instid1(VALU_DEP_4)
	v_div_fmas_f32 v4, v4, v5, v6
	v_mov_b32_e32 v5, 7
	v_cmp_neq_f32_e32 vcc_lo, 0, v3
	v_mov_b32_e32 v6, 7
	v_div_fixup_f32 v4, v4, v3, 1.0
	s_delay_alu instid0(VALU_DEP_1) | instskip(NEXT) | instid1(VALU_DEP_1)
	v_cndmask_b32_e32 v12, 0, v4, vcc_lo
	v_mul_f32_e32 v4, v12, v17
	s_delay_alu instid0(VALU_DEP_1)
	v_cmpx_nle_f32_e64 0x40a00000, |v4|
	s_cbranch_execz .LBB17_17
; %bb.6:
	v_mov_b32_e32 v5, 6
	s_mov_b32 s3, exec_lo
	v_cmpx_nle_f32_e64 0x40600000, |v4|
	s_cbranch_execz .LBB17_16
; %bb.7:
	v_mov_b32_e32 v5, 5
	s_mov_b32 s5, exec_lo
	;; [unrolled: 5-line block ×5, first 2 shown]
	v_cmpx_nle_f32_e64 0x3f400000, |v4|
; %bb.11:
	v_cmp_le_f32_e64 s10, 0x3e800000, |v4|
	s_delay_alu instid0(VALU_DEP_1)
	v_cndmask_b32_e64 v5, 0, 1, s10
; %bb.12:
	s_or_b32 exec_lo, exec_lo, s9
.LBB17_13:
	s_delay_alu instid0(SALU_CYCLE_1)
	s_or_b32 exec_lo, exec_lo, s8
.LBB17_14:
	s_delay_alu instid0(SALU_CYCLE_1)
	s_or_b32 exec_lo, exec_lo, s7
.LBB17_15:
	s_delay_alu instid0(SALU_CYCLE_1)
	s_or_b32 exec_lo, exec_lo, s5
.LBB17_16:
	s_delay_alu instid0(SALU_CYCLE_1)
	s_or_b32 exec_lo, exec_lo, s3
.LBB17_17:
	s_delay_alu instid0(SALU_CYCLE_1) | instskip(SKIP_2) | instid1(VALU_DEP_1)
	s_or_b32 exec_lo, exec_lo, s2
	v_mul_f32_e32 v7, v12, v7
	s_mov_b32 s2, exec_lo
	v_cmpx_nle_f32_e64 0x40a00000, |v7|
	s_cbranch_execz .LBB17_29
; %bb.18:
	v_mov_b32_e32 v6, 6
	s_mov_b32 s3, exec_lo
	v_cmpx_nle_f32_e64 0x40600000, |v7|
	s_cbranch_execz .LBB17_28
; %bb.19:
	v_mov_b32_e32 v6, 5
	;; [unrolled: 5-line block ×5, first 2 shown]
	s_mov_b32 s9, exec_lo
	v_cmpx_nle_f32_e64 0x3f400000, |v7|
; %bb.23:
	v_cmp_le_f32_e64 s10, 0x3e800000, |v7|
	s_delay_alu instid0(VALU_DEP_1)
	v_cndmask_b32_e64 v6, 0, 1, s10
; %bb.24:
	s_or_b32 exec_lo, exec_lo, s9
.LBB17_25:
	s_delay_alu instid0(SALU_CYCLE_1)
	s_or_b32 exec_lo, exec_lo, s8
.LBB17_26:
	s_delay_alu instid0(SALU_CYCLE_1)
	s_or_b32 exec_lo, exec_lo, s7
.LBB17_27:
	s_delay_alu instid0(SALU_CYCLE_1)
	s_or_b32 exec_lo, exec_lo, s5
.LBB17_28:
	s_delay_alu instid0(SALU_CYCLE_1)
	s_or_b32 exec_lo, exec_lo, s3
.LBB17_29:
	s_delay_alu instid0(SALU_CYCLE_1) | instskip(SKIP_3) | instid1(VALU_DEP_2)
	s_or_b32 exec_lo, exec_lo, s2
	v_dual_mul_f32 v10, v12, v9 :: v_dual_mov_b32 v9, 7
	v_mov_b32_e32 v11, 7
	s_mov_b32 s2, exec_lo
	v_cmpx_nle_f32_e64 0x40a00000, |v10|
	s_cbranch_execz .LBB17_41
; %bb.30:
	v_mov_b32_e32 v11, 6
	s_mov_b32 s3, exec_lo
	v_cmpx_nle_f32_e64 0x40600000, |v10|
	s_cbranch_execz .LBB17_40
; %bb.31:
	;; [unrolled: 5-line block ×5, first 2 shown]
	v_mov_b32_e32 v11, 2
	s_mov_b32 s9, exec_lo
	v_cmpx_nle_f32_e64 0x3f400000, |v10|
; %bb.35:
	v_cmp_le_f32_e64 s10, 0x3e800000, |v10|
	s_delay_alu instid0(VALU_DEP_1)
	v_cndmask_b32_e64 v11, 0, 1, s10
; %bb.36:
	s_or_b32 exec_lo, exec_lo, s9
.LBB17_37:
	s_delay_alu instid0(SALU_CYCLE_1)
	s_or_b32 exec_lo, exec_lo, s8
.LBB17_38:
	s_delay_alu instid0(SALU_CYCLE_1)
	s_or_b32 exec_lo, exec_lo, s7
.LBB17_39:
	s_delay_alu instid0(SALU_CYCLE_1)
	s_or_b32 exec_lo, exec_lo, s5
.LBB17_40:
	s_delay_alu instid0(SALU_CYCLE_1)
	s_or_b32 exec_lo, exec_lo, s3
.LBB17_41:
	s_delay_alu instid0(SALU_CYCLE_1) | instskip(SKIP_2) | instid1(VALU_DEP_1)
	s_or_b32 exec_lo, exec_lo, s2
	v_mul_f32_e32 v14, v12, v14
	s_mov_b32 s2, exec_lo
	v_cmpx_nle_f32_e64 0x40a00000, |v14|
	s_cbranch_execz .LBB17_53
; %bb.42:
	v_mov_b32_e32 v9, 6
	s_mov_b32 s3, exec_lo
	v_cmpx_nle_f32_e64 0x40600000, |v14|
	s_cbranch_execz .LBB17_52
; %bb.43:
	v_mov_b32_e32 v9, 5
	;; [unrolled: 5-line block ×5, first 2 shown]
	s_mov_b32 s9, exec_lo
	v_cmpx_nle_f32_e64 0x3f400000, |v14|
; %bb.47:
	v_cmp_le_f32_e64 s10, 0x3e800000, |v14|
	s_delay_alu instid0(VALU_DEP_1)
	v_cndmask_b32_e64 v9, 0, 1, s10
; %bb.48:
	s_or_b32 exec_lo, exec_lo, s9
.LBB17_49:
	s_delay_alu instid0(SALU_CYCLE_1)
	s_or_b32 exec_lo, exec_lo, s8
.LBB17_50:
	s_delay_alu instid0(SALU_CYCLE_1)
	s_or_b32 exec_lo, exec_lo, s7
.LBB17_51:
	s_delay_alu instid0(SALU_CYCLE_1)
	s_or_b32 exec_lo, exec_lo, s5
.LBB17_52:
	s_delay_alu instid0(SALU_CYCLE_1)
	s_or_b32 exec_lo, exec_lo, s3
.LBB17_53:
	s_delay_alu instid0(SALU_CYCLE_1) | instskip(SKIP_3) | instid1(VALU_DEP_2)
	s_or_b32 exec_lo, exec_lo, s2
	v_dual_mul_f32 v18, v12, v16 :: v_dual_mov_b32 v17, 7
	v_mov_b32_e32 v16, 7
	s_mov_b32 s2, exec_lo
	v_cmpx_nle_f32_e64 0x40a00000, |v18|
	s_cbranch_execz .LBB17_65
; %bb.54:
	v_mov_b32_e32 v17, 6
	s_mov_b32 s3, exec_lo
	v_cmpx_nle_f32_e64 0x40600000, |v18|
	s_cbranch_execz .LBB17_64
; %bb.55:
	;; [unrolled: 5-line block ×5, first 2 shown]
	v_mov_b32_e32 v17, 2
	s_mov_b32 s9, exec_lo
	v_cmpx_nle_f32_e64 0x3f400000, |v18|
; %bb.59:
	v_cmp_le_f32_e64 s10, 0x3e800000, |v18|
	s_delay_alu instid0(VALU_DEP_1)
	v_cndmask_b32_e64 v17, 0, 1, s10
; %bb.60:
	s_or_b32 exec_lo, exec_lo, s9
.LBB17_61:
	s_delay_alu instid0(SALU_CYCLE_1)
	s_or_b32 exec_lo, exec_lo, s8
.LBB17_62:
	s_delay_alu instid0(SALU_CYCLE_1)
	s_or_b32 exec_lo, exec_lo, s7
.LBB17_63:
	s_delay_alu instid0(SALU_CYCLE_1)
	s_or_b32 exec_lo, exec_lo, s5
.LBB17_64:
	s_delay_alu instid0(SALU_CYCLE_1)
	s_or_b32 exec_lo, exec_lo, s3
.LBB17_65:
	s_delay_alu instid0(SALU_CYCLE_1) | instskip(SKIP_2) | instid1(VALU_DEP_1)
	s_or_b32 exec_lo, exec_lo, s2
	v_mul_f32_e32 v20, v12, v20
	s_mov_b32 s2, exec_lo
	v_cmpx_nle_f32_e64 0x40a00000, |v20|
	s_cbranch_execz .LBB17_77
; %bb.66:
	v_mov_b32_e32 v16, 6
	s_mov_b32 s3, exec_lo
	v_cmpx_nle_f32_e64 0x40600000, |v20|
	s_cbranch_execz .LBB17_76
; %bb.67:
	v_mov_b32_e32 v16, 5
	;; [unrolled: 5-line block ×5, first 2 shown]
	s_mov_b32 s9, exec_lo
	v_cmpx_nle_f32_e64 0x3f400000, |v20|
; %bb.71:
	v_cmp_le_f32_e64 s10, 0x3e800000, |v20|
	s_delay_alu instid0(VALU_DEP_1)
	v_cndmask_b32_e64 v16, 0, 1, s10
; %bb.72:
	s_or_b32 exec_lo, exec_lo, s9
.LBB17_73:
	s_delay_alu instid0(SALU_CYCLE_1)
	s_or_b32 exec_lo, exec_lo, s8
.LBB17_74:
	s_delay_alu instid0(SALU_CYCLE_1)
	s_or_b32 exec_lo, exec_lo, s7
.LBB17_75:
	s_delay_alu instid0(SALU_CYCLE_1)
	s_or_b32 exec_lo, exec_lo, s5
.LBB17_76:
	s_delay_alu instid0(SALU_CYCLE_1)
	s_or_b32 exec_lo, exec_lo, s3
.LBB17_77:
	s_delay_alu instid0(SALU_CYCLE_1) | instskip(SKIP_3) | instid1(VALU_DEP_2)
	s_or_b32 exec_lo, exec_lo, s2
	v_dual_mul_f32 v24, v12, v22 :: v_dual_mov_b32 v23, 7
	v_mov_b32_e32 v22, 7
	s_mov_b32 s2, exec_lo
	v_cmpx_nle_f32_e64 0x40a00000, |v24|
	s_cbranch_execz .LBB17_89
; %bb.78:
	v_mov_b32_e32 v23, 6
	s_mov_b32 s3, exec_lo
	v_cmpx_nle_f32_e64 0x40600000, |v24|
	s_cbranch_execz .LBB17_88
; %bb.79:
	;; [unrolled: 5-line block ×5, first 2 shown]
	v_mov_b32_e32 v23, 2
	s_mov_b32 s9, exec_lo
	v_cmpx_nle_f32_e64 0x3f400000, |v24|
; %bb.83:
	v_cmp_le_f32_e64 s10, 0x3e800000, |v24|
	s_delay_alu instid0(VALU_DEP_1)
	v_cndmask_b32_e64 v23, 0, 1, s10
; %bb.84:
	s_or_b32 exec_lo, exec_lo, s9
.LBB17_85:
	s_delay_alu instid0(SALU_CYCLE_1)
	s_or_b32 exec_lo, exec_lo, s8
.LBB17_86:
	s_delay_alu instid0(SALU_CYCLE_1)
	s_or_b32 exec_lo, exec_lo, s7
.LBB17_87:
	s_delay_alu instid0(SALU_CYCLE_1)
	s_or_b32 exec_lo, exec_lo, s5
.LBB17_88:
	s_delay_alu instid0(SALU_CYCLE_1)
	s_or_b32 exec_lo, exec_lo, s3
.LBB17_89:
	s_delay_alu instid0(SALU_CYCLE_1) | instskip(SKIP_2) | instid1(VALU_DEP_1)
	s_or_b32 exec_lo, exec_lo, s2
	v_mul_f32_e32 v26, v12, v26
	s_mov_b32 s2, exec_lo
	v_cmpx_nle_f32_e64 0x40a00000, |v26|
	s_cbranch_execz .LBB17_101
; %bb.90:
	v_mov_b32_e32 v22, 6
	s_mov_b32 s3, exec_lo
	v_cmpx_nle_f32_e64 0x40600000, |v26|
	s_cbranch_execz .LBB17_100
; %bb.91:
	v_mov_b32_e32 v22, 5
	;; [unrolled: 5-line block ×5, first 2 shown]
	s_mov_b32 s9, exec_lo
	v_cmpx_nle_f32_e64 0x3f400000, |v26|
; %bb.95:
	v_cmp_le_f32_e64 s10, 0x3e800000, |v26|
	s_delay_alu instid0(VALU_DEP_1)
	v_cndmask_b32_e64 v22, 0, 1, s10
; %bb.96:
	s_or_b32 exec_lo, exec_lo, s9
.LBB17_97:
	s_delay_alu instid0(SALU_CYCLE_1)
	s_or_b32 exec_lo, exec_lo, s8
.LBB17_98:
	s_delay_alu instid0(SALU_CYCLE_1)
	s_or_b32 exec_lo, exec_lo, s7
.LBB17_99:
	s_delay_alu instid0(SALU_CYCLE_1)
	s_or_b32 exec_lo, exec_lo, s5
.LBB17_100:
	s_delay_alu instid0(SALU_CYCLE_1)
	s_or_b32 exec_lo, exec_lo, s3
.LBB17_101:
	s_delay_alu instid0(SALU_CYCLE_1) | instskip(SKIP_3) | instid1(VALU_DEP_2)
	s_or_b32 exec_lo, exec_lo, s2
	v_dual_mul_f32 v29, v12, v28 :: v_dual_mov_b32 v28, 7
	v_mov_b32_e32 v30, 7
	s_mov_b32 s2, exec_lo
	v_cmpx_nle_f32_e64 0x40a00000, |v29|
	s_cbranch_execz .LBB17_113
; %bb.102:
	v_mov_b32_e32 v30, 6
	s_mov_b32 s3, exec_lo
	v_cmpx_nle_f32_e64 0x40600000, |v29|
	s_cbranch_execz .LBB17_112
; %bb.103:
	;; [unrolled: 5-line block ×5, first 2 shown]
	v_mov_b32_e32 v30, 2
	s_mov_b32 s9, exec_lo
	v_cmpx_nle_f32_e64 0x3f400000, |v29|
; %bb.107:
	v_cmp_le_f32_e64 s10, 0x3e800000, |v29|
	s_delay_alu instid0(VALU_DEP_1)
	v_cndmask_b32_e64 v30, 0, 1, s10
; %bb.108:
	s_or_b32 exec_lo, exec_lo, s9
.LBB17_109:
	s_delay_alu instid0(SALU_CYCLE_1)
	s_or_b32 exec_lo, exec_lo, s8
.LBB17_110:
	s_delay_alu instid0(SALU_CYCLE_1)
	s_or_b32 exec_lo, exec_lo, s7
.LBB17_111:
	s_delay_alu instid0(SALU_CYCLE_1)
	s_or_b32 exec_lo, exec_lo, s5
.LBB17_112:
	s_delay_alu instid0(SALU_CYCLE_1)
	s_or_b32 exec_lo, exec_lo, s3
.LBB17_113:
	s_delay_alu instid0(SALU_CYCLE_1) | instskip(SKIP_2) | instid1(VALU_DEP_1)
	s_or_b32 exec_lo, exec_lo, s2
	v_mul_f32_e32 v32, v12, v32
	s_mov_b32 s2, exec_lo
	v_cmpx_nle_f32_e64 0x40a00000, |v32|
	s_cbranch_execz .LBB17_125
; %bb.114:
	v_mov_b32_e32 v28, 6
	s_mov_b32 s3, exec_lo
	v_cmpx_nle_f32_e64 0x40600000, |v32|
	s_cbranch_execz .LBB17_124
; %bb.115:
	v_mov_b32_e32 v28, 5
	;; [unrolled: 5-line block ×5, first 2 shown]
	s_mov_b32 s9, exec_lo
	v_cmpx_nle_f32_e64 0x3f400000, |v32|
; %bb.119:
	v_cmp_le_f32_e64 s10, 0x3e800000, |v32|
	s_delay_alu instid0(VALU_DEP_1)
	v_cndmask_b32_e64 v28, 0, 1, s10
; %bb.120:
	s_or_b32 exec_lo, exec_lo, s9
.LBB17_121:
	s_delay_alu instid0(SALU_CYCLE_1)
	s_or_b32 exec_lo, exec_lo, s8
.LBB17_122:
	s_delay_alu instid0(SALU_CYCLE_1)
	s_or_b32 exec_lo, exec_lo, s7
.LBB17_123:
	s_delay_alu instid0(SALU_CYCLE_1)
	s_or_b32 exec_lo, exec_lo, s5
.LBB17_124:
	s_delay_alu instid0(SALU_CYCLE_1)
	s_or_b32 exec_lo, exec_lo, s3
.LBB17_125:
	s_delay_alu instid0(SALU_CYCLE_1) | instskip(SKIP_4) | instid1(VALU_DEP_3)
	s_or_b32 exec_lo, exec_lo, s2
	v_mul_f32_e32 v36, v12, v34
	v_mov_b32_e32 v34, 7
	v_mov_b32_e32 v38, 7
	s_mov_b32 s2, exec_lo
	v_cmpx_nle_f32_e64 0x40a00000, |v36|
	s_cbranch_execz .LBB17_137
; %bb.126:
	v_mov_b32_e32 v38, 6
	s_mov_b32 s3, exec_lo
	v_cmpx_nle_f32_e64 0x40600000, |v36|
	s_cbranch_execz .LBB17_136
; %bb.127:
	;; [unrolled: 5-line block ×5, first 2 shown]
	v_mov_b32_e32 v38, 2
	s_mov_b32 s9, exec_lo
	v_cmpx_nle_f32_e64 0x3f400000, |v36|
; %bb.131:
	v_cmp_le_f32_e64 s10, 0x3e800000, |v36|
	s_delay_alu instid0(VALU_DEP_1)
	v_cndmask_b32_e64 v38, 0, 1, s10
; %bb.132:
	s_or_b32 exec_lo, exec_lo, s9
.LBB17_133:
	s_delay_alu instid0(SALU_CYCLE_1)
	s_or_b32 exec_lo, exec_lo, s8
.LBB17_134:
	s_delay_alu instid0(SALU_CYCLE_1)
	s_or_b32 exec_lo, exec_lo, s7
.LBB17_135:
	s_delay_alu instid0(SALU_CYCLE_1)
	s_or_b32 exec_lo, exec_lo, s5
.LBB17_136:
	s_delay_alu instid0(SALU_CYCLE_1)
	s_or_b32 exec_lo, exec_lo, s3
.LBB17_137:
	s_delay_alu instid0(SALU_CYCLE_1) | instskip(SKIP_2) | instid1(VALU_DEP_1)
	s_or_b32 exec_lo, exec_lo, s2
	v_mul_f32_e32 v37, v12, v37
	s_mov_b32 s2, exec_lo
	v_cmpx_nle_f32_e64 0x40a00000, |v37|
	s_cbranch_execz .LBB17_149
; %bb.138:
	v_mov_b32_e32 v34, 6
	s_mov_b32 s3, exec_lo
	v_cmpx_nle_f32_e64 0x40600000, |v37|
	s_cbranch_execz .LBB17_148
; %bb.139:
	v_mov_b32_e32 v34, 5
	;; [unrolled: 5-line block ×5, first 2 shown]
	s_mov_b32 s9, exec_lo
	v_cmpx_nle_f32_e64 0x3f400000, |v37|
; %bb.143:
	v_cmp_le_f32_e64 s10, 0x3e800000, |v37|
	s_delay_alu instid0(VALU_DEP_1)
	v_cndmask_b32_e64 v34, 0, 1, s10
; %bb.144:
	s_or_b32 exec_lo, exec_lo, s9
.LBB17_145:
	s_delay_alu instid0(SALU_CYCLE_1)
	s_or_b32 exec_lo, exec_lo, s8
.LBB17_146:
	s_delay_alu instid0(SALU_CYCLE_1)
	s_or_b32 exec_lo, exec_lo, s7
.LBB17_147:
	s_delay_alu instid0(SALU_CYCLE_1)
	s_or_b32 exec_lo, exec_lo, s5
.LBB17_148:
	s_delay_alu instid0(SALU_CYCLE_1)
	s_or_b32 exec_lo, exec_lo, s3
.LBB17_149:
	s_delay_alu instid0(SALU_CYCLE_1) | instskip(SKIP_3) | instid1(VALU_DEP_2)
	s_or_b32 exec_lo, exec_lo, s2
	v_dual_mul_f32 v44, v12, v40 :: v_dual_mov_b32 v43, 7
	v_mov_b32_e32 v40, 7
	s_mov_b32 s2, exec_lo
	v_cmpx_nle_f32_e64 0x40a00000, |v44|
	s_cbranch_execz .LBB17_161
; %bb.150:
	v_mov_b32_e32 v43, 6
	s_mov_b32 s3, exec_lo
	v_cmpx_nle_f32_e64 0x40600000, |v44|
	s_cbranch_execz .LBB17_160
; %bb.151:
	;; [unrolled: 5-line block ×5, first 2 shown]
	v_mov_b32_e32 v43, 2
	s_mov_b32 s9, exec_lo
	v_cmpx_nle_f32_e64 0x3f400000, |v44|
; %bb.155:
	v_cmp_le_f32_e64 s10, 0x3e800000, |v44|
	s_delay_alu instid0(VALU_DEP_1)
	v_cndmask_b32_e64 v43, 0, 1, s10
; %bb.156:
	s_or_b32 exec_lo, exec_lo, s9
.LBB17_157:
	s_delay_alu instid0(SALU_CYCLE_1)
	s_or_b32 exec_lo, exec_lo, s8
.LBB17_158:
	s_delay_alu instid0(SALU_CYCLE_1)
	s_or_b32 exec_lo, exec_lo, s7
.LBB17_159:
	s_delay_alu instid0(SALU_CYCLE_1)
	s_or_b32 exec_lo, exec_lo, s5
.LBB17_160:
	s_delay_alu instid0(SALU_CYCLE_1)
	s_or_b32 exec_lo, exec_lo, s3
.LBB17_161:
	s_delay_alu instid0(SALU_CYCLE_1) | instskip(SKIP_2) | instid1(VALU_DEP_1)
	s_or_b32 exec_lo, exec_lo, s2
	v_mul_f32_e32 v42, v12, v42
	s_mov_b32 s2, exec_lo
	v_cmpx_nle_f32_e64 0x40a00000, |v42|
	s_cbranch_execz .LBB17_173
; %bb.162:
	v_mov_b32_e32 v40, 6
	s_mov_b32 s3, exec_lo
	v_cmpx_nle_f32_e64 0x40600000, |v42|
	s_cbranch_execz .LBB17_172
; %bb.163:
	v_mov_b32_e32 v40, 5
	;; [unrolled: 5-line block ×5, first 2 shown]
	s_mov_b32 s9, exec_lo
	v_cmpx_nle_f32_e64 0x3f400000, |v42|
; %bb.167:
	v_cmp_le_f32_e64 s10, 0x3e800000, |v42|
	s_delay_alu instid0(VALU_DEP_1)
	v_cndmask_b32_e64 v40, 0, 1, s10
; %bb.168:
	s_or_b32 exec_lo, exec_lo, s9
.LBB17_169:
	s_delay_alu instid0(SALU_CYCLE_1)
	s_or_b32 exec_lo, exec_lo, s8
.LBB17_170:
	s_delay_alu instid0(SALU_CYCLE_1)
	s_or_b32 exec_lo, exec_lo, s7
.LBB17_171:
	s_delay_alu instid0(SALU_CYCLE_1)
	s_or_b32 exec_lo, exec_lo, s5
.LBB17_172:
	s_delay_alu instid0(SALU_CYCLE_1)
	s_or_b32 exec_lo, exec_lo, s3
.LBB17_173:
	s_delay_alu instid0(SALU_CYCLE_1) | instskip(SKIP_3) | instid1(VALU_DEP_2)
	s_or_b32 exec_lo, exec_lo, s2
	v_dual_mul_f32 v50, v12, v46 :: v_dual_mov_b32 v49, 7
	v_mov_b32_e32 v46, 7
	s_mov_b32 s2, exec_lo
	v_cmpx_nle_f32_e64 0x40a00000, |v50|
	s_cbranch_execz .LBB17_185
; %bb.174:
	v_mov_b32_e32 v49, 6
	s_mov_b32 s3, exec_lo
	v_cmpx_nle_f32_e64 0x40600000, |v50|
	s_cbranch_execz .LBB17_184
; %bb.175:
	v_mov_b32_e32 v49, 5
	s_mov_b32 s5, exec_lo
	v_cmpx_nle_f32_e64 0x40200000, |v50|
	s_cbranch_execz .LBB17_183
; %bb.176:
	v_mov_b32_e32 v49, 4
	s_mov_b32 s7, exec_lo
	v_cmpx_nle_f32_e64 0x3fe00000, |v50|
	s_cbranch_execz .LBB17_182
; %bb.177:
	v_mov_b32_e32 v49, 3
	s_mov_b32 s8, exec_lo
	v_cmpx_nle_f32_e64 0x3fa00000, |v50|
	s_cbranch_execz .LBB17_181
; %bb.178:
	v_mov_b32_e32 v49, 2
	s_mov_b32 s9, exec_lo
	v_cmpx_nle_f32_e64 0x3f400000, |v50|
; %bb.179:
	v_cmp_le_f32_e64 s10, 0x3e800000, |v50|
	s_delay_alu instid0(VALU_DEP_1)
	v_cndmask_b32_e64 v49, 0, 1, s10
; %bb.180:
	s_or_b32 exec_lo, exec_lo, s9
.LBB17_181:
	s_delay_alu instid0(SALU_CYCLE_1)
	s_or_b32 exec_lo, exec_lo, s8
.LBB17_182:
	s_delay_alu instid0(SALU_CYCLE_1)
	s_or_b32 exec_lo, exec_lo, s7
.LBB17_183:
	s_delay_alu instid0(SALU_CYCLE_1)
	s_or_b32 exec_lo, exec_lo, s5
.LBB17_184:
	s_delay_alu instid0(SALU_CYCLE_1)
	s_or_b32 exec_lo, exec_lo, s3
.LBB17_185:
	s_delay_alu instid0(SALU_CYCLE_1) | instskip(SKIP_2) | instid1(VALU_DEP_1)
	s_or_b32 exec_lo, exec_lo, s2
	v_mul_f32_e32 v47, v12, v47
	s_mov_b32 s2, exec_lo
	v_cmpx_nle_f32_e64 0x40a00000, |v47|
	s_cbranch_execz .LBB17_197
; %bb.186:
	v_mov_b32_e32 v46, 6
	s_mov_b32 s3, exec_lo
	v_cmpx_nle_f32_e64 0x40600000, |v47|
	s_cbranch_execz .LBB17_196
; %bb.187:
	v_mov_b32_e32 v46, 5
	;; [unrolled: 5-line block ×5, first 2 shown]
	s_mov_b32 s9, exec_lo
	v_cmpx_nle_f32_e64 0x3f400000, |v47|
; %bb.191:
	v_cmp_le_f32_e64 s10, 0x3e800000, |v47|
	s_delay_alu instid0(VALU_DEP_1)
	v_cndmask_b32_e64 v46, 0, 1, s10
; %bb.192:
	s_or_b32 exec_lo, exec_lo, s9
.LBB17_193:
	s_delay_alu instid0(SALU_CYCLE_1)
	s_or_b32 exec_lo, exec_lo, s8
.LBB17_194:
	s_delay_alu instid0(SALU_CYCLE_1)
	s_or_b32 exec_lo, exec_lo, s7
.LBB17_195:
	s_delay_alu instid0(SALU_CYCLE_1)
	s_or_b32 exec_lo, exec_lo, s5
.LBB17_196:
	s_delay_alu instid0(SALU_CYCLE_1)
	s_or_b32 exec_lo, exec_lo, s3
.LBB17_197:
	s_delay_alu instid0(SALU_CYCLE_1) | instskip(SKIP_3) | instid1(VALU_DEP_2)
	s_or_b32 exec_lo, exec_lo, s2
	v_dual_mul_f32 v54, v12, v51 :: v_dual_mov_b32 v51, 7
	v_mov_b32_e32 v53, 7
	s_mov_b32 s2, exec_lo
	v_cmpx_nle_f32_e64 0x40a00000, |v54|
	s_cbranch_execz .LBB17_209
; %bb.198:
	v_mov_b32_e32 v53, 6
	s_mov_b32 s3, exec_lo
	v_cmpx_nle_f32_e64 0x40600000, |v54|
	s_cbranch_execz .LBB17_208
; %bb.199:
	;; [unrolled: 5-line block ×5, first 2 shown]
	v_mov_b32_e32 v53, 2
	s_mov_b32 s9, exec_lo
	v_cmpx_nle_f32_e64 0x3f400000, |v54|
; %bb.203:
	v_cmp_le_f32_e64 s10, 0x3e800000, |v54|
	s_delay_alu instid0(VALU_DEP_1)
	v_cndmask_b32_e64 v53, 0, 1, s10
; %bb.204:
	s_or_b32 exec_lo, exec_lo, s9
.LBB17_205:
	s_delay_alu instid0(SALU_CYCLE_1)
	s_or_b32 exec_lo, exec_lo, s8
.LBB17_206:
	s_delay_alu instid0(SALU_CYCLE_1)
	s_or_b32 exec_lo, exec_lo, s7
.LBB17_207:
	s_delay_alu instid0(SALU_CYCLE_1)
	s_or_b32 exec_lo, exec_lo, s5
.LBB17_208:
	s_delay_alu instid0(SALU_CYCLE_1)
	s_or_b32 exec_lo, exec_lo, s3
.LBB17_209:
	s_delay_alu instid0(SALU_CYCLE_1) | instskip(SKIP_2) | instid1(VALU_DEP_1)
	s_or_b32 exec_lo, exec_lo, s2
	v_mul_f32_e32 v52, v12, v52
	s_mov_b32 s2, exec_lo
	v_cmpx_nle_f32_e64 0x40a00000, |v52|
	s_cbranch_execz .LBB17_221
; %bb.210:
	v_mov_b32_e32 v51, 6
	s_mov_b32 s3, exec_lo
	v_cmpx_nle_f32_e64 0x40600000, |v52|
	s_cbranch_execz .LBB17_220
; %bb.211:
	v_mov_b32_e32 v51, 5
	;; [unrolled: 5-line block ×5, first 2 shown]
	s_mov_b32 s9, exec_lo
	v_cmpx_nle_f32_e64 0x3f400000, |v52|
; %bb.215:
	v_cmp_le_f32_e64 s10, 0x3e800000, |v52|
	s_delay_alu instid0(VALU_DEP_1)
	v_cndmask_b32_e64 v51, 0, 1, s10
; %bb.216:
	s_or_b32 exec_lo, exec_lo, s9
.LBB17_217:
	s_delay_alu instid0(SALU_CYCLE_1)
	s_or_b32 exec_lo, exec_lo, s8
.LBB17_218:
	s_delay_alu instid0(SALU_CYCLE_1)
	s_or_b32 exec_lo, exec_lo, s7
.LBB17_219:
	s_delay_alu instid0(SALU_CYCLE_1)
	s_or_b32 exec_lo, exec_lo, s5
.LBB17_220:
	s_delay_alu instid0(SALU_CYCLE_1)
	s_or_b32 exec_lo, exec_lo, s3
.LBB17_221:
	s_delay_alu instid0(SALU_CYCLE_1) | instskip(SKIP_3) | instid1(VALU_DEP_2)
	s_or_b32 exec_lo, exec_lo, s2
	v_dual_mul_f32 v55, v12, v48 :: v_dual_mov_b32 v48, 7
	v_mov_b32_e32 v56, 7
	s_mov_b32 s2, exec_lo
	v_cmpx_nle_f32_e64 0x40a00000, |v55|
	s_cbranch_execz .LBB17_233
; %bb.222:
	v_mov_b32_e32 v56, 6
	s_mov_b32 s3, exec_lo
	v_cmpx_nle_f32_e64 0x40600000, |v55|
	s_cbranch_execz .LBB17_232
; %bb.223:
	;; [unrolled: 5-line block ×5, first 2 shown]
	v_mov_b32_e32 v56, 2
	s_mov_b32 s9, exec_lo
	v_cmpx_nle_f32_e64 0x3f400000, |v55|
; %bb.227:
	v_cmp_le_f32_e64 s10, 0x3e800000, |v55|
	s_delay_alu instid0(VALU_DEP_1)
	v_cndmask_b32_e64 v56, 0, 1, s10
; %bb.228:
	s_or_b32 exec_lo, exec_lo, s9
.LBB17_229:
	s_delay_alu instid0(SALU_CYCLE_1)
	s_or_b32 exec_lo, exec_lo, s8
.LBB17_230:
	s_delay_alu instid0(SALU_CYCLE_1)
	s_or_b32 exec_lo, exec_lo, s7
.LBB17_231:
	s_delay_alu instid0(SALU_CYCLE_1)
	s_or_b32 exec_lo, exec_lo, s5
.LBB17_232:
	s_delay_alu instid0(SALU_CYCLE_1)
	s_or_b32 exec_lo, exec_lo, s3
.LBB17_233:
	s_delay_alu instid0(SALU_CYCLE_1) | instskip(SKIP_2) | instid1(VALU_DEP_1)
	s_or_b32 exec_lo, exec_lo, s2
	v_mul_f32_e32 v45, v12, v45
	s_mov_b32 s2, exec_lo
	v_cmpx_nle_f32_e64 0x40a00000, |v45|
	s_cbranch_execz .LBB17_245
; %bb.234:
	v_mov_b32_e32 v48, 6
	s_mov_b32 s3, exec_lo
	v_cmpx_nle_f32_e64 0x40600000, |v45|
	s_cbranch_execz .LBB17_244
; %bb.235:
	v_mov_b32_e32 v48, 5
	s_mov_b32 s5, exec_lo
	v_cmpx_nle_f32_e64 0x40200000, |v45|
	s_cbranch_execz .LBB17_243
; %bb.236:
	v_mov_b32_e32 v48, 4
	s_mov_b32 s7, exec_lo
	v_cmpx_nle_f32_e64 0x3fe00000, |v45|
	s_cbranch_execz .LBB17_242
; %bb.237:
	v_mov_b32_e32 v48, 3
	s_mov_b32 s8, exec_lo
	v_cmpx_nle_f32_e64 0x3fa00000, |v45|
	s_cbranch_execz .LBB17_241
; %bb.238:
	v_mov_b32_e32 v48, 2
	s_mov_b32 s9, exec_lo
	v_cmpx_nle_f32_e64 0x3f400000, |v45|
; %bb.239:
	v_cmp_le_f32_e64 s10, 0x3e800000, |v45|
	s_delay_alu instid0(VALU_DEP_1)
	v_cndmask_b32_e64 v48, 0, 1, s10
; %bb.240:
	s_or_b32 exec_lo, exec_lo, s9
.LBB17_241:
	s_delay_alu instid0(SALU_CYCLE_1)
	s_or_b32 exec_lo, exec_lo, s8
.LBB17_242:
	s_delay_alu instid0(SALU_CYCLE_1)
	s_or_b32 exec_lo, exec_lo, s7
.LBB17_243:
	s_delay_alu instid0(SALU_CYCLE_1)
	s_or_b32 exec_lo, exec_lo, s5
.LBB17_244:
	s_delay_alu instid0(SALU_CYCLE_1)
	s_or_b32 exec_lo, exec_lo, s3
.LBB17_245:
	s_delay_alu instid0(SALU_CYCLE_1) | instskip(SKIP_3) | instid1(VALU_DEP_2)
	s_or_b32 exec_lo, exec_lo, s2
	v_dual_mul_f32 v57, v12, v41 :: v_dual_mov_b32 v58, 7
	v_mov_b32_e32 v41, 7
	s_mov_b32 s2, exec_lo
	v_cmpx_nle_f32_e64 0x40a00000, |v57|
	s_cbranch_execz .LBB17_257
; %bb.246:
	v_mov_b32_e32 v58, 6
	s_mov_b32 s3, exec_lo
	v_cmpx_nle_f32_e64 0x40600000, |v57|
	s_cbranch_execz .LBB17_256
; %bb.247:
	;; [unrolled: 5-line block ×5, first 2 shown]
	v_mov_b32_e32 v58, 2
	s_mov_b32 s9, exec_lo
	v_cmpx_nle_f32_e64 0x3f400000, |v57|
; %bb.251:
	v_cmp_le_f32_e64 s10, 0x3e800000, |v57|
	s_delay_alu instid0(VALU_DEP_1)
	v_cndmask_b32_e64 v58, 0, 1, s10
; %bb.252:
	s_or_b32 exec_lo, exec_lo, s9
.LBB17_253:
	s_delay_alu instid0(SALU_CYCLE_1)
	s_or_b32 exec_lo, exec_lo, s8
.LBB17_254:
	s_delay_alu instid0(SALU_CYCLE_1)
	s_or_b32 exec_lo, exec_lo, s7
.LBB17_255:
	s_delay_alu instid0(SALU_CYCLE_1)
	s_or_b32 exec_lo, exec_lo, s5
.LBB17_256:
	s_delay_alu instid0(SALU_CYCLE_1)
	s_or_b32 exec_lo, exec_lo, s3
.LBB17_257:
	s_delay_alu instid0(SALU_CYCLE_1) | instskip(SKIP_2) | instid1(VALU_DEP_1)
	s_or_b32 exec_lo, exec_lo, s2
	v_mul_f32_e32 v39, v12, v39
	s_mov_b32 s2, exec_lo
	v_cmpx_nle_f32_e64 0x40a00000, |v39|
	s_cbranch_execz .LBB17_269
; %bb.258:
	v_mov_b32_e32 v41, 6
	s_mov_b32 s3, exec_lo
	v_cmpx_nle_f32_e64 0x40600000, |v39|
	s_cbranch_execz .LBB17_268
; %bb.259:
	v_mov_b32_e32 v41, 5
	;; [unrolled: 5-line block ×5, first 2 shown]
	s_mov_b32 s9, exec_lo
	v_cmpx_nle_f32_e64 0x3f400000, |v39|
; %bb.263:
	v_cmp_le_f32_e64 s10, 0x3e800000, |v39|
	s_delay_alu instid0(VALU_DEP_1)
	v_cndmask_b32_e64 v41, 0, 1, s10
; %bb.264:
	s_or_b32 exec_lo, exec_lo, s9
.LBB17_265:
	s_delay_alu instid0(SALU_CYCLE_1)
	s_or_b32 exec_lo, exec_lo, s8
.LBB17_266:
	s_delay_alu instid0(SALU_CYCLE_1)
	s_or_b32 exec_lo, exec_lo, s7
.LBB17_267:
	s_delay_alu instid0(SALU_CYCLE_1)
	s_or_b32 exec_lo, exec_lo, s5
.LBB17_268:
	s_delay_alu instid0(SALU_CYCLE_1)
	s_or_b32 exec_lo, exec_lo, s3
.LBB17_269:
	s_delay_alu instid0(SALU_CYCLE_1) | instskip(SKIP_3) | instid1(VALU_DEP_2)
	s_or_b32 exec_lo, exec_lo, s2
	v_dual_mul_f32 v60, v12, v35 :: v_dual_mov_b32 v35, 7
	v_mov_b32_e32 v59, 7
	s_mov_b32 s2, exec_lo
	v_cmpx_nle_f32_e64 0x40a00000, |v60|
	s_cbranch_execz .LBB17_281
; %bb.270:
	v_mov_b32_e32 v59, 6
	s_mov_b32 s3, exec_lo
	v_cmpx_nle_f32_e64 0x40600000, |v60|
	s_cbranch_execz .LBB17_280
; %bb.271:
	;; [unrolled: 5-line block ×5, first 2 shown]
	v_mov_b32_e32 v59, 2
	s_mov_b32 s9, exec_lo
	v_cmpx_nle_f32_e64 0x3f400000, |v60|
; %bb.275:
	v_cmp_le_f32_e64 s10, 0x3e800000, |v60|
	s_delay_alu instid0(VALU_DEP_1)
	v_cndmask_b32_e64 v59, 0, 1, s10
; %bb.276:
	s_or_b32 exec_lo, exec_lo, s9
.LBB17_277:
	s_delay_alu instid0(SALU_CYCLE_1)
	s_or_b32 exec_lo, exec_lo, s8
.LBB17_278:
	s_delay_alu instid0(SALU_CYCLE_1)
	s_or_b32 exec_lo, exec_lo, s7
.LBB17_279:
	s_delay_alu instid0(SALU_CYCLE_1)
	s_or_b32 exec_lo, exec_lo, s5
.LBB17_280:
	s_delay_alu instid0(SALU_CYCLE_1)
	s_or_b32 exec_lo, exec_lo, s3
.LBB17_281:
	s_delay_alu instid0(SALU_CYCLE_1) | instskip(SKIP_2) | instid1(VALU_DEP_1)
	s_or_b32 exec_lo, exec_lo, s2
	v_mul_f32_e32 v33, v12, v33
	s_mov_b32 s2, exec_lo
	v_cmpx_nle_f32_e64 0x40a00000, |v33|
	s_cbranch_execz .LBB17_293
; %bb.282:
	v_mov_b32_e32 v35, 6
	s_mov_b32 s3, exec_lo
	v_cmpx_nle_f32_e64 0x40600000, |v33|
	s_cbranch_execz .LBB17_292
; %bb.283:
	v_mov_b32_e32 v35, 5
	;; [unrolled: 5-line block ×5, first 2 shown]
	s_mov_b32 s9, exec_lo
	v_cmpx_nle_f32_e64 0x3f400000, |v33|
; %bb.287:
	v_cmp_le_f32_e64 s10, 0x3e800000, |v33|
	s_delay_alu instid0(VALU_DEP_1)
	v_cndmask_b32_e64 v35, 0, 1, s10
; %bb.288:
	s_or_b32 exec_lo, exec_lo, s9
.LBB17_289:
	s_delay_alu instid0(SALU_CYCLE_1)
	s_or_b32 exec_lo, exec_lo, s8
.LBB17_290:
	s_delay_alu instid0(SALU_CYCLE_1)
	s_or_b32 exec_lo, exec_lo, s7
.LBB17_291:
	s_delay_alu instid0(SALU_CYCLE_1)
	s_or_b32 exec_lo, exec_lo, s5
.LBB17_292:
	s_delay_alu instid0(SALU_CYCLE_1)
	s_or_b32 exec_lo, exec_lo, s3
.LBB17_293:
	s_delay_alu instid0(SALU_CYCLE_1) | instskip(SKIP_3) | instid1(VALU_DEP_2)
	s_or_b32 exec_lo, exec_lo, s2
	v_dual_mul_f32 v62, v12, v31 :: v_dual_mov_b32 v31, 7
	v_mov_b32_e32 v61, 7
	s_mov_b32 s2, exec_lo
	v_cmpx_nle_f32_e64 0x40a00000, |v62|
	s_cbranch_execz .LBB17_305
; %bb.294:
	v_mov_b32_e32 v61, 6
	s_mov_b32 s3, exec_lo
	v_cmpx_nle_f32_e64 0x40600000, |v62|
	s_cbranch_execz .LBB17_304
; %bb.295:
	;; [unrolled: 5-line block ×5, first 2 shown]
	v_mov_b32_e32 v61, 2
	s_mov_b32 s9, exec_lo
	v_cmpx_nle_f32_e64 0x3f400000, |v62|
; %bb.299:
	v_cmp_le_f32_e64 s10, 0x3e800000, |v62|
	s_delay_alu instid0(VALU_DEP_1)
	v_cndmask_b32_e64 v61, 0, 1, s10
; %bb.300:
	s_or_b32 exec_lo, exec_lo, s9
.LBB17_301:
	s_delay_alu instid0(SALU_CYCLE_1)
	s_or_b32 exec_lo, exec_lo, s8
.LBB17_302:
	s_delay_alu instid0(SALU_CYCLE_1)
	s_or_b32 exec_lo, exec_lo, s7
.LBB17_303:
	s_delay_alu instid0(SALU_CYCLE_1)
	s_or_b32 exec_lo, exec_lo, s5
.LBB17_304:
	s_delay_alu instid0(SALU_CYCLE_1)
	s_or_b32 exec_lo, exec_lo, s3
.LBB17_305:
	s_delay_alu instid0(SALU_CYCLE_1) | instskip(SKIP_2) | instid1(VALU_DEP_1)
	s_or_b32 exec_lo, exec_lo, s2
	v_mul_f32_e32 v27, v12, v27
	s_mov_b32 s2, exec_lo
	v_cmpx_nle_f32_e64 0x40a00000, |v27|
	s_cbranch_execz .LBB17_317
; %bb.306:
	v_mov_b32_e32 v31, 6
	s_mov_b32 s3, exec_lo
	v_cmpx_nle_f32_e64 0x40600000, |v27|
	s_cbranch_execz .LBB17_316
; %bb.307:
	v_mov_b32_e32 v31, 5
	;; [unrolled: 5-line block ×5, first 2 shown]
	s_mov_b32 s9, exec_lo
	v_cmpx_nle_f32_e64 0x3f400000, |v27|
; %bb.311:
	v_cmp_le_f32_e64 s10, 0x3e800000, |v27|
	s_delay_alu instid0(VALU_DEP_1)
	v_cndmask_b32_e64 v31, 0, 1, s10
; %bb.312:
	s_or_b32 exec_lo, exec_lo, s9
.LBB17_313:
	s_delay_alu instid0(SALU_CYCLE_1)
	s_or_b32 exec_lo, exec_lo, s8
.LBB17_314:
	s_delay_alu instid0(SALU_CYCLE_1)
	s_or_b32 exec_lo, exec_lo, s7
.LBB17_315:
	s_delay_alu instid0(SALU_CYCLE_1)
	s_or_b32 exec_lo, exec_lo, s5
.LBB17_316:
	s_delay_alu instid0(SALU_CYCLE_1)
	s_or_b32 exec_lo, exec_lo, s3
.LBB17_317:
	s_delay_alu instid0(SALU_CYCLE_1) | instskip(SKIP_3) | instid1(VALU_DEP_2)
	s_or_b32 exec_lo, exec_lo, s2
	v_dual_mul_f32 v64, v12, v25 :: v_dual_mov_b32 v25, 7
	v_mov_b32_e32 v63, 7
	s_mov_b32 s2, exec_lo
	v_cmpx_nle_f32_e64 0x40a00000, |v64|
	s_cbranch_execz .LBB17_329
; %bb.318:
	v_mov_b32_e32 v63, 6
	s_mov_b32 s3, exec_lo
	v_cmpx_nle_f32_e64 0x40600000, |v64|
	s_cbranch_execz .LBB17_328
; %bb.319:
	;; [unrolled: 5-line block ×5, first 2 shown]
	v_mov_b32_e32 v63, 2
	s_mov_b32 s9, exec_lo
	v_cmpx_nle_f32_e64 0x3f400000, |v64|
; %bb.323:
	v_cmp_le_f32_e64 s10, 0x3e800000, |v64|
	s_delay_alu instid0(VALU_DEP_1)
	v_cndmask_b32_e64 v63, 0, 1, s10
; %bb.324:
	s_or_b32 exec_lo, exec_lo, s9
.LBB17_325:
	s_delay_alu instid0(SALU_CYCLE_1)
	s_or_b32 exec_lo, exec_lo, s8
.LBB17_326:
	s_delay_alu instid0(SALU_CYCLE_1)
	s_or_b32 exec_lo, exec_lo, s7
.LBB17_327:
	s_delay_alu instid0(SALU_CYCLE_1)
	s_or_b32 exec_lo, exec_lo, s5
.LBB17_328:
	s_delay_alu instid0(SALU_CYCLE_1)
	s_or_b32 exec_lo, exec_lo, s3
.LBB17_329:
	s_delay_alu instid0(SALU_CYCLE_1) | instskip(SKIP_2) | instid1(VALU_DEP_1)
	s_or_b32 exec_lo, exec_lo, s2
	v_mul_f32_e32 v21, v12, v21
	s_mov_b32 s2, exec_lo
	v_cmpx_nle_f32_e64 0x40a00000, |v21|
	s_cbranch_execz .LBB17_341
; %bb.330:
	v_mov_b32_e32 v25, 6
	s_mov_b32 s3, exec_lo
	v_cmpx_nle_f32_e64 0x40600000, |v21|
	s_cbranch_execz .LBB17_340
; %bb.331:
	v_mov_b32_e32 v25, 5
	;; [unrolled: 5-line block ×5, first 2 shown]
	s_mov_b32 s9, exec_lo
	v_cmpx_nle_f32_e64 0x3f400000, |v21|
; %bb.335:
	v_cmp_le_f32_e64 s10, 0x3e800000, |v21|
	s_delay_alu instid0(VALU_DEP_1)
	v_cndmask_b32_e64 v25, 0, 1, s10
; %bb.336:
	s_or_b32 exec_lo, exec_lo, s9
.LBB17_337:
	s_delay_alu instid0(SALU_CYCLE_1)
	s_or_b32 exec_lo, exec_lo, s8
.LBB17_338:
	s_delay_alu instid0(SALU_CYCLE_1)
	s_or_b32 exec_lo, exec_lo, s7
.LBB17_339:
	s_delay_alu instid0(SALU_CYCLE_1)
	s_or_b32 exec_lo, exec_lo, s5
.LBB17_340:
	s_delay_alu instid0(SALU_CYCLE_1)
	s_or_b32 exec_lo, exec_lo, s3
.LBB17_341:
	s_delay_alu instid0(SALU_CYCLE_1) | instskip(SKIP_3) | instid1(VALU_DEP_2)
	s_or_b32 exec_lo, exec_lo, s2
	v_dual_mul_f32 v65, v12, v19 :: v_dual_mov_b32 v66, 7
	v_mov_b32_e32 v19, 7
	s_mov_b32 s2, exec_lo
	v_cmpx_nle_f32_e64 0x40a00000, |v65|
	s_cbranch_execz .LBB17_353
; %bb.342:
	v_mov_b32_e32 v66, 6
	s_mov_b32 s3, exec_lo
	v_cmpx_nle_f32_e64 0x40600000, |v65|
	s_cbranch_execz .LBB17_352
; %bb.343:
	;; [unrolled: 5-line block ×5, first 2 shown]
	v_mov_b32_e32 v66, 2
	s_mov_b32 s9, exec_lo
	v_cmpx_nle_f32_e64 0x3f400000, |v65|
; %bb.347:
	v_cmp_le_f32_e64 s10, 0x3e800000, |v65|
	s_delay_alu instid0(VALU_DEP_1)
	v_cndmask_b32_e64 v66, 0, 1, s10
; %bb.348:
	s_or_b32 exec_lo, exec_lo, s9
.LBB17_349:
	s_delay_alu instid0(SALU_CYCLE_1)
	s_or_b32 exec_lo, exec_lo, s8
.LBB17_350:
	s_delay_alu instid0(SALU_CYCLE_1)
	s_or_b32 exec_lo, exec_lo, s7
.LBB17_351:
	s_delay_alu instid0(SALU_CYCLE_1)
	s_or_b32 exec_lo, exec_lo, s5
.LBB17_352:
	s_delay_alu instid0(SALU_CYCLE_1)
	s_or_b32 exec_lo, exec_lo, s3
.LBB17_353:
	s_delay_alu instid0(SALU_CYCLE_1) | instskip(SKIP_2) | instid1(VALU_DEP_1)
	s_or_b32 exec_lo, exec_lo, s2
	v_mul_f32_e32 v15, v12, v15
	s_mov_b32 s2, exec_lo
	v_cmpx_nle_f32_e64 0x40a00000, |v15|
	s_cbranch_execz .LBB17_365
; %bb.354:
	v_mov_b32_e32 v19, 6
	s_mov_b32 s3, exec_lo
	v_cmpx_nle_f32_e64 0x40600000, |v15|
	s_cbranch_execz .LBB17_364
; %bb.355:
	v_mov_b32_e32 v19, 5
	;; [unrolled: 5-line block ×5, first 2 shown]
	s_mov_b32 s9, exec_lo
	v_cmpx_nle_f32_e64 0x3f400000, |v15|
; %bb.359:
	v_cmp_le_f32_e64 s10, 0x3e800000, |v15|
	s_delay_alu instid0(VALU_DEP_1)
	v_cndmask_b32_e64 v19, 0, 1, s10
; %bb.360:
	s_or_b32 exec_lo, exec_lo, s9
.LBB17_361:
	s_delay_alu instid0(SALU_CYCLE_1)
	s_or_b32 exec_lo, exec_lo, s8
.LBB17_362:
	s_delay_alu instid0(SALU_CYCLE_1)
	s_or_b32 exec_lo, exec_lo, s7
.LBB17_363:
	s_delay_alu instid0(SALU_CYCLE_1)
	s_or_b32 exec_lo, exec_lo, s5
.LBB17_364:
	s_delay_alu instid0(SALU_CYCLE_1)
	s_or_b32 exec_lo, exec_lo, s3
.LBB17_365:
	s_delay_alu instid0(SALU_CYCLE_1) | instskip(SKIP_4) | instid1(VALU_DEP_2)
	s_or_b32 exec_lo, exec_lo, s2
	s_load_b64 s[2:3], s[0:1], 0x10
	v_dual_mul_f32 v67, v12, v13 :: v_dual_mov_b32 v68, 7
	v_mov_b32_e32 v13, 7
	s_mov_b32 s5, exec_lo
	v_cmpx_nle_f32_e64 0x40a00000, |v67|
	s_cbranch_execz .LBB17_377
; %bb.366:
	v_mov_b32_e32 v68, 6
	s_mov_b32 s7, exec_lo
	v_cmpx_nle_f32_e64 0x40600000, |v67|
	s_cbranch_execz .LBB17_376
; %bb.367:
	;; [unrolled: 5-line block ×5, first 2 shown]
	v_mov_b32_e32 v68, 2
	s_mov_b32 s11, exec_lo
	v_cmpx_nle_f32_e64 0x3f400000, |v67|
; %bb.371:
	v_cmp_le_f32_e64 s12, 0x3e800000, |v67|
	s_delay_alu instid0(VALU_DEP_1)
	v_cndmask_b32_e64 v68, 0, 1, s12
; %bb.372:
	s_or_b32 exec_lo, exec_lo, s11
.LBB17_373:
	s_delay_alu instid0(SALU_CYCLE_1)
	s_or_b32 exec_lo, exec_lo, s10
.LBB17_374:
	s_delay_alu instid0(SALU_CYCLE_1)
	s_or_b32 exec_lo, exec_lo, s9
.LBB17_375:
	s_delay_alu instid0(SALU_CYCLE_1)
	s_or_b32 exec_lo, exec_lo, s8
.LBB17_376:
	s_delay_alu instid0(SALU_CYCLE_1)
	s_or_b32 exec_lo, exec_lo, s7
.LBB17_377:
	s_delay_alu instid0(SALU_CYCLE_1) | instskip(SKIP_3) | instid1(VALU_DEP_1)
	s_or_b32 exec_lo, exec_lo, s5
	s_load_b64 s[0:1], s[0:1], 0x8
	v_mul_f32_e32 v8, v12, v8
	s_mov_b32 s5, exec_lo
	v_cmpx_nle_f32_e64 0x40a00000, |v8|
	s_cbranch_execz .LBB17_389
; %bb.378:
	v_mov_b32_e32 v13, 6
	s_mov_b32 s7, exec_lo
	v_cmpx_nle_f32_e64 0x40600000, |v8|
	s_cbranch_execz .LBB17_388
; %bb.379:
	v_mov_b32_e32 v13, 5
	;; [unrolled: 5-line block ×5, first 2 shown]
	s_mov_b32 s11, exec_lo
	v_cmpx_nle_f32_e64 0x3f400000, |v8|
; %bb.383:
	v_cmp_le_f32_e64 s12, 0x3e800000, |v8|
	s_delay_alu instid0(VALU_DEP_1)
	v_cndmask_b32_e64 v13, 0, 1, s12
; %bb.384:
	s_or_b32 exec_lo, exec_lo, s11
.LBB17_385:
	s_delay_alu instid0(SALU_CYCLE_1)
	s_or_b32 exec_lo, exec_lo, s10
.LBB17_386:
	s_delay_alu instid0(SALU_CYCLE_1)
	s_or_b32 exec_lo, exec_lo, s9
.LBB17_387:
	s_delay_alu instid0(SALU_CYCLE_1)
	s_or_b32 exec_lo, exec_lo, s8
.LBB17_388:
	s_delay_alu instid0(SALU_CYCLE_1)
	s_or_b32 exec_lo, exec_lo, s7
.LBB17_389:
	s_delay_alu instid0(SALU_CYCLE_1)
	s_or_b32 exec_lo, exec_lo, s5
	v_cmp_gt_f32_e32 vcc_lo, 0, v67
	v_lshlrev_b16 v6, 4, v6
	v_lshlrev_b16 v25, 4, v25
	;; [unrolled: 1-line block ×4, first 2 shown]
	v_cndmask_b32_e64 v12, 0, 1, vcc_lo
	v_cmp_gt_f32_e32 vcc_lo, 0, v65
	s_lshr_b32 s5, s4, 31
	s_delay_alu instid0(SALU_CYCLE_1) | instskip(NEXT) | instid1(VALU_DEP_2)
	s_add_i32 s4, s4, s5
	v_lshlrev_b16 v12, 3, v12
	v_cndmask_b32_e64 v65, 0, 1, vcc_lo
	v_cmp_gt_f32_e32 vcc_lo, 0, v64
	s_ashr_i32 s4, s4, 1
	s_delay_alu instid0(SALU_CYCLE_1) | instskip(NEXT) | instid1(VALU_DEP_2)
	s_ashr_i32 s5, s4, 31
	v_lshlrev_b16 v65, 3, v65
	v_cndmask_b32_e64 v64, 0, 1, vcc_lo
	v_cmp_gt_f32_e32 vcc_lo, 0, v62
	v_or_b32_e32 v12, v12, v68
	v_mul_lo_u32 v1, v1, s4
	v_or_b32_e32 v65, v65, v66
	v_lshlrev_b16 v64, 3, v64
	v_cndmask_b32_e64 v62, 0, 1, vcc_lo
	v_cmp_gt_f32_e32 vcc_lo, 0, v60
	s_delay_alu instid0(VALU_DEP_3) | instskip(NEXT) | instid1(VALU_DEP_3)
	v_or_b32_e32 v63, v64, v63
	v_lshlrev_b16 v62, 3, v62
	v_cndmask_b32_e64 v60, 0, 1, vcc_lo
	v_cmp_gt_f32_e32 vcc_lo, 0, v57
	s_delay_alu instid0(VALU_DEP_3) | instskip(NEXT) | instid1(VALU_DEP_3)
	;; [unrolled: 5-line block ×11, first 2 shown]
	v_or_b32_e32 v23, v24, v23
	v_lshlrev_b16 v18, 3, v18
	v_cndmask_b32_e64 v4, 0, 1, vcc_lo
	v_cmp_gt_f32_e32 vcc_lo, 0, v7
	s_delay_alu instid0(VALU_DEP_2) | instskip(SKIP_2) | instid1(VALU_DEP_3)
	v_lshlrev_b16 v4, 3, v4
	v_cndmask_b32_e64 v7, 0, 1, vcc_lo
	v_cmp_gt_f32_e32 vcc_lo, 0, v10
	v_or_b32_e32 v4, v4, v5
	s_delay_alu instid0(VALU_DEP_3)
	v_lshlrev_b16 v7, 7, v7
	v_cndmask_b32_e64 v10, 0, 1, vcc_lo
	v_cmp_gt_f32_e32 vcc_lo, 0, v14
	v_lshlrev_b16 v14, 4, v22
	v_lshlrev_b16 v22, 4, v48
	v_or_b32_e32 v5, v7, v6
	v_lshlrev_b16 v10, 3, v10
	v_cndmask_b32_e64 v6, 0, 1, vcc_lo
	v_cmp_gt_f32_e32 vcc_lo, 0, v20
	v_or_b32_e32 v7, v18, v17
	v_or_b32_e32 v4, v5, v4
	v_lshlrev_b16 v5, 4, v9
	v_or_b32_e32 v10, v10, v11
	v_cndmask_b32_e64 v9, 0, 1, vcc_lo
	v_cmp_gt_f32_e32 vcc_lo, 0, v26
	v_lshlrev_b16 v6, 7, v6
	v_lshlrev_b16 v17, 4, v40
	;; [unrolled: 1-line block ×4, first 2 shown]
	v_cndmask_b32_e64 v11, 0, 1, vcc_lo
	v_cmp_gt_f32_e32 vcc_lo, 0, v32
	v_or_b32_e32 v5, v6, v5
	v_lshlrev_b16 v6, 4, v16
	s_delay_alu instid0(VALU_DEP_4)
	v_lshlrev_b16 v11, 7, v11
	v_cndmask_b32_e64 v16, 0, 1, vcc_lo
	v_cmp_gt_f32_e32 vcc_lo, 0, v37
	v_or_b32_e32 v10, v5, v10
	v_or_b32_e32 v5, v9, v6
	;; [unrolled: 1-line block ×3, first 2 shown]
	v_lshlrev_b16 v9, 4, v28
	v_cndmask_b32_e64 v14, 0, 1, vcc_lo
	v_cmp_gt_f32_e32 vcc_lo, 0, v42
	v_lshlrev_b16 v11, 7, v16
	v_or_b32_e32 v7, v5, v7
	v_or_b32_e32 v6, v6, v23
	v_lshlrev_b16 v14, 7, v14
	v_cndmask_b32_e64 v16, 0, 1, vcc_lo
	v_or_b32_e32 v9, v11, v9
	v_lshlrev_b16 v11, 4, v34
	v_cmp_gt_f32_e32 vcc_lo, 0, v47
	v_lshlrev_b16 v10, 8, v10
	v_lshlrev_b16 v16, 7, v16
	v_or_b32_e32 v9, v9, v29
	v_or_b32_e32 v5, v14, v11
	v_lshlrev_b16 v14, 4, v46
	v_lshlrev_b16 v6, 8, v6
	v_or_b32_e32 v11, v16, v17
	v_cndmask_b32_e64 v16, 0, 1, vcc_lo
	v_cmp_gt_f32_e32 vcc_lo, 0, v52
	v_or_b32_e32 v23, v5, v36
	v_or_b32_e32 v4, v4, v10
	;; [unrolled: 1-line block ×3, first 2 shown]
	v_lshlrev_b16 v16, 7, v16
	v_cndmask_b32_e64 v17, 0, 1, vcc_lo
	v_cmp_gt_f32_e32 vcc_lo, 0, v45
	v_or_b32_e32 v10, v7, v6
	s_delay_alu instid0(VALU_DEP_4) | instskip(NEXT) | instid1(VALU_DEP_4)
	v_or_b32_e32 v5, v16, v14
	v_lshlrev_b16 v17, 7, v17
	v_cndmask_b32_e64 v18, 0, 1, vcc_lo
	v_cmp_gt_f32_e32 vcc_lo, 0, v39
	v_lshlrev_b32_e32 v10, 16, v10
	s_delay_alu instid0(VALU_DEP_4) | instskip(NEXT) | instid1(VALU_DEP_4)
	v_or_b32_e32 v14, v17, v20
	v_lshlrev_b16 v18, 7, v18
	v_cndmask_b32_e64 v17, 0, 1, vcc_lo
	v_cmp_gt_f32_e32 vcc_lo, 0, v21
	v_lshlrev_b16 v20, 4, v35
	v_or_b32_e32 v14, v14, v53
	v_or_b32_e32 v16, v18, v22
	v_lshlrev_b16 v22, 4, v31
	v_cndmask_b32_e64 v21, 0, 1, vcc_lo
	v_cmp_gt_f32_e32 vcc_lo, 0, v27
	v_or_b32_e32 v18, v5, v49
	v_or_b32_e32 v5, v16, v55
	v_lshlrev_b16 v16, 4, v41
	v_lshlrev_b16 v21, 7, v21
	v_cndmask_b32_e64 v24, 0, 1, vcc_lo
	v_cmp_gt_f32_e32 vcc_lo, 0, v8
	v_lshlrev_b16 v17, 7, v17
	s_delay_alu instid0(VALU_DEP_4) | instskip(NEXT) | instid1(VALU_DEP_4)
	v_or_b32_e32 v21, v21, v25
	v_lshlrev_b16 v24, 7, v24
	v_cndmask_b32_e64 v8, 0, 1, vcc_lo
	v_cmp_gt_f32_e32 vcc_lo, 0, v15
	v_or_b32_e32 v16, v17, v16
	v_lshrrev_b32_e32 v17, 23, v3
	v_or_b32_e32 v22, v24, v22
	v_lshlrev_b16 v8, 7, v8
	v_cndmask_b32_e64 v15, 0, 1, vcc_lo
	v_cmp_gt_f32_e32 vcc_lo, 0, v33
	v_lshlrev_b16 v3, 8, v5
	v_or_b32_e32 v16, v16, v57
	v_or_b32_e32 v8, v8, v13
	v_lshlrev_b16 v15, 7, v15
	v_cndmask_b32_e64 v13, 0, 1, vcc_lo
	v_or_b32_e32 v3, v14, v3
	v_lshlrev_b16 v14, 8, v18
	v_or_b32_e32 v8, v8, v12
	v_or_b32_e32 v15, v15, v19
	;; [unrolled: 1-line block ×3, first 2 shown]
	v_lshlrev_b16 v12, 7, v13
	v_or_b32_e32 v13, v22, v61
	v_lshlrev_b16 v8, 8, v8
	v_or_b32_e32 v15, v15, v65
	v_lshlrev_b16 v19, 8, v19
	v_ashrrev_i32_e32 v21, 31, v0
	v_or_b32_e32 v11, v11, v14
	v_or_b32_e32 v12, v12, v20
	;; [unrolled: 1-line block ×4, first 2 shown]
	v_lshrrev_b32_e32 v15, 27, v21
	v_lshrrev_b32_e32 v14, 28, v21
	v_or_b32_e32 v12, v12, v59
	v_lshlrev_b32_e32 v8, 16, v8
	v_and_b32_e32 v13, 0xffff, v13
	v_add_nc_u32_e32 v15, v0, v15
	v_add_nc_u32_e32 v7, v0, v14
	v_lshlrev_b32_e32 v14, 6, v2
	v_lshlrev_b16 v12, 8, v12
	v_or_b32_e32 v5, v13, v8
	v_and_b32_e32 v8, 0xffe0, v15
	v_lshlrev_b16 v13, 8, v23
	v_and_b32_e32 v7, 0x3ffffff0, v7
	v_or_b32_e32 v12, v16, v12
	v_and_b32_e32 v3, 0xffff, v3
	v_sub_nc_u32_e32 v8, v0, v8
	v_or_b32_e32 v9, v9, v13
	v_sub_nc_u32_e32 v7, v0, v7
	v_lshlrev_b32_e32 v12, 16, v12
	v_lshlrev_b32_e32 v11, 16, v11
	v_bfe_i32 v13, v8, 0, 8
	v_and_b32_e32 v9, 0xffff, v9
	s_delay_alu instid0(VALU_DEP_2) | instskip(NEXT) | instid1(VALU_DEP_1)
	v_lshrrev_b16 v13, 11, v13
	v_and_b32_e32 v6, 15, v13
	v_lshrrev_b32_e32 v13, 5, v15
	v_lshrrev_b32_e32 v15, 1, v2
	s_delay_alu instid0(VALU_DEP_3) | instskip(NEXT) | instid1(VALU_DEP_3)
	v_add_nc_u16 v6, v8, v6
	v_mul_lo_u32 v8, v13, s6
	v_and_b32_e32 v13, 0xc0, v14
	v_and_b32_e32 v14, 0x3fffff8, v2
	s_delay_alu instid0(VALU_DEP_4) | instskip(NEXT) | instid1(VALU_DEP_3)
	v_bfe_i32 v6, v6, 0, 8
	v_lshl_add_u32 v7, v7, 2, v13
	v_mul_lo_u32 v13, v0, s5
	s_delay_alu instid0(VALU_DEP_4) | instskip(NEXT) | instid1(VALU_DEP_4)
	v_add_lshl_u32 v8, v8, v14, 5
	v_ashrrev_i16 v6, 4, v6
	s_delay_alu instid0(VALU_DEP_4) | instskip(NEXT) | instid1(VALU_DEP_2)
	v_and_or_b32 v15, v15, 2, v7
	v_bfe_i32 v14, v6, 0, 16
	s_waitcnt lgkmcnt(0)
	v_mad_u64_u32 v[6:7], null, v0, s4, s[0:1]
	v_and_b32_e32 v0, 0xffff, v4
	v_or_b32_e32 v4, v3, v12
	v_add3_u32 v8, v15, v8, v14
	v_or_b32_e32 v3, v9, v11
	v_lshlrev_b32_e32 v9, 4, v2
	v_or_b32_e32 v2, v0, v10
	v_add3_u32 v1, v1, v7, v13
	v_ashrrev_i32_e32 v7, 31, v8
	s_delay_alu instid0(VALU_DEP_4) | instskip(NEXT) | instid1(VALU_DEP_3)
	v_add_co_u32 v0, vcc_lo, v6, v9
	v_add_co_ci_u32_e32 v1, vcc_lo, 0, v1, vcc_lo
	v_add_co_u32 v6, vcc_lo, s2, v8
	s_delay_alu instid0(VALU_DEP_4)
	v_add_co_ci_u32_e32 v7, vcc_lo, s3, v7, vcc_lo
	global_store_b128 v[0:1], v[2:5], off
	global_store_b8 v[6:7], v17, off
.LBB17_390:
	s_nop 0
	s_sendmsg sendmsg(MSG_DEALLOC_VGPRS)
	s_endpgm
	.section	.rodata,"a",@progbits
	.p2align	6, 0x0
	.amdhsa_kernel _ZN5aiter18quant_mxfp4_kernelI6__halfLNS_16MxScaleRoundModeE3ELb1ELb0ELb0EEEvPKT_PhPfliiib
		.amdhsa_group_segment_fixed_size 0
		.amdhsa_private_segment_fixed_size 0
		.amdhsa_kernarg_size 304
		.amdhsa_user_sgpr_count 15
		.amdhsa_user_sgpr_dispatch_ptr 0
		.amdhsa_user_sgpr_queue_ptr 0
		.amdhsa_user_sgpr_kernarg_segment_ptr 1
		.amdhsa_user_sgpr_dispatch_id 0
		.amdhsa_user_sgpr_private_segment_size 0
		.amdhsa_wavefront_size32 1
		.amdhsa_uses_dynamic_stack 0
		.amdhsa_enable_private_segment 0
		.amdhsa_system_sgpr_workgroup_id_x 1
		.amdhsa_system_sgpr_workgroup_id_y 0
		.amdhsa_system_sgpr_workgroup_id_z 0
		.amdhsa_system_sgpr_workgroup_info 0
		.amdhsa_system_vgpr_workitem_id 0
		.amdhsa_next_free_vgpr 69
		.amdhsa_next_free_sgpr 16
		.amdhsa_reserve_vcc 1
		.amdhsa_float_round_mode_32 0
		.amdhsa_float_round_mode_16_64 0
		.amdhsa_float_denorm_mode_32 3
		.amdhsa_float_denorm_mode_16_64 3
		.amdhsa_dx10_clamp 1
		.amdhsa_ieee_mode 1
		.amdhsa_fp16_overflow 0
		.amdhsa_workgroup_processor_mode 1
		.amdhsa_memory_ordered 1
		.amdhsa_forward_progress 0
		.amdhsa_shared_vgpr_count 0
		.amdhsa_exception_fp_ieee_invalid_op 0
		.amdhsa_exception_fp_denorm_src 0
		.amdhsa_exception_fp_ieee_div_zero 0
		.amdhsa_exception_fp_ieee_overflow 0
		.amdhsa_exception_fp_ieee_underflow 0
		.amdhsa_exception_fp_ieee_inexact 0
		.amdhsa_exception_int_div_zero 0
	.end_amdhsa_kernel
	.section	.text._ZN5aiter18quant_mxfp4_kernelI6__halfLNS_16MxScaleRoundModeE3ELb1ELb0ELb0EEEvPKT_PhPfliiib,"axG",@progbits,_ZN5aiter18quant_mxfp4_kernelI6__halfLNS_16MxScaleRoundModeE3ELb1ELb0ELb0EEEvPKT_PhPfliiib,comdat
.Lfunc_end17:
	.size	_ZN5aiter18quant_mxfp4_kernelI6__halfLNS_16MxScaleRoundModeE3ELb1ELb0ELb0EEEvPKT_PhPfliiib, .Lfunc_end17-_ZN5aiter18quant_mxfp4_kernelI6__halfLNS_16MxScaleRoundModeE3ELb1ELb0ELb0EEEvPKT_PhPfliiib
                                        ; -- End function
	.section	.AMDGPU.csdata,"",@progbits
; Kernel info:
; codeLenInByte = 10096
; NumSgprs: 18
; NumVgprs: 69
; ScratchSize: 0
; MemoryBound: 0
; FloatMode: 240
; IeeeMode: 1
; LDSByteSize: 0 bytes/workgroup (compile time only)
; SGPRBlocks: 2
; VGPRBlocks: 8
; NumSGPRsForWavesPerEU: 18
; NumVGPRsForWavesPerEU: 69
; Occupancy: 16
; WaveLimiterHint : 0
; COMPUTE_PGM_RSRC2:SCRATCH_EN: 0
; COMPUTE_PGM_RSRC2:USER_SGPR: 15
; COMPUTE_PGM_RSRC2:TRAP_HANDLER: 0
; COMPUTE_PGM_RSRC2:TGID_X_EN: 1
; COMPUTE_PGM_RSRC2:TGID_Y_EN: 0
; COMPUTE_PGM_RSRC2:TGID_Z_EN: 0
; COMPUTE_PGM_RSRC2:TIDIG_COMP_CNT: 0
	.section	.text._ZN5aiter18quant_mxfp4_kernelI6__halfLNS_16MxScaleRoundModeE3ELb0ELb1ELb1EEEvPKT_PhPfliiib,"axG",@progbits,_ZN5aiter18quant_mxfp4_kernelI6__halfLNS_16MxScaleRoundModeE3ELb0ELb1ELb1EEEvPKT_PhPfliiib,comdat
	.protected	_ZN5aiter18quant_mxfp4_kernelI6__halfLNS_16MxScaleRoundModeE3ELb0ELb1ELb1EEEvPKT_PhPfliiib ; -- Begin function _ZN5aiter18quant_mxfp4_kernelI6__halfLNS_16MxScaleRoundModeE3ELb0ELb1ELb1EEEvPKT_PhPfliiib
	.globl	_ZN5aiter18quant_mxfp4_kernelI6__halfLNS_16MxScaleRoundModeE3ELb0ELb1ELb1EEEvPKT_PhPfliiib
	.p2align	8
	.type	_ZN5aiter18quant_mxfp4_kernelI6__halfLNS_16MxScaleRoundModeE3ELb0ELb1ELb1EEEvPKT_PhPfliiib,@function
_ZN5aiter18quant_mxfp4_kernelI6__halfLNS_16MxScaleRoundModeE3ELb0ELb1ELb1EEEvPKT_PhPfliiib: ; @_ZN5aiter18quant_mxfp4_kernelI6__halfLNS_16MxScaleRoundModeE3ELb0ELb1ELb1EEEvPKT_PhPfliiib
; %bb.0:
	s_clause 0x1
	s_load_b32 s2, s[0:1], 0x3c
	s_load_b128 s[4:7], s[0:1], 0x20
	v_mov_b32_e32 v1, 0
	s_delay_alu instid0(VALU_DEP_1)
	v_mov_b32_e32 v4, v1
	s_waitcnt lgkmcnt(0)
	s_and_b32 s2, s2, 0xffff
	s_mov_b32 s3, s6
	v_mad_u64_u32 v[2:3], null, s2, s15, v[0:1]
	s_ashr_i32 s2, s6, 31
	s_mov_b32 s6, exec_lo
                                        ; implicit-def: $vgpr0_vgpr1
	s_delay_alu instid0(VALU_DEP_1) | instskip(NEXT) | instid1(VALU_DEP_1)
	v_or_b32_e32 v5, s2, v3
	v_cmpx_ne_u64_e32 0, v[4:5]
	s_xor_b32 s6, exec_lo, s6
	s_cbranch_execz .LBB18_2
; %bb.1:
	s_add_u32 s10, s3, s2
	s_mov_b32 s8, s2
	s_mov_b32 s9, s2
	s_addc_u32 s11, s2, s2
	s_delay_alu instid0(SALU_CYCLE_1) | instskip(NEXT) | instid1(SALU_CYCLE_1)
	s_xor_b64 s[10:11], s[10:11], s[8:9]
	v_cvt_f32_u32_e32 v0, s10
	v_cvt_f32_u32_e32 v1, s11
	s_sub_u32 s2, 0, s10
	s_subb_u32 s12, 0, s11
	s_delay_alu instid0(VALU_DEP_1) | instskip(NEXT) | instid1(VALU_DEP_1)
	v_fmamk_f32 v0, v1, 0x4f800000, v0
	v_rcp_f32_e32 v0, v0
	s_waitcnt_depctr 0xfff
	v_mul_f32_e32 v0, 0x5f7ffffc, v0
	s_delay_alu instid0(VALU_DEP_1) | instskip(NEXT) | instid1(VALU_DEP_1)
	v_mul_f32_e32 v1, 0x2f800000, v0
	v_trunc_f32_e32 v1, v1
	s_delay_alu instid0(VALU_DEP_1) | instskip(SKIP_1) | instid1(VALU_DEP_2)
	v_fmamk_f32 v0, v1, 0xcf800000, v0
	v_cvt_u32_f32_e32 v1, v1
	v_cvt_u32_f32_e32 v0, v0
	s_delay_alu instid0(VALU_DEP_2) | instskip(NEXT) | instid1(VALU_DEP_2)
	v_mul_lo_u32 v4, s2, v1
	v_mul_hi_u32 v5, s2, v0
	v_mul_lo_u32 v6, s12, v0
	s_delay_alu instid0(VALU_DEP_2) | instskip(SKIP_1) | instid1(VALU_DEP_2)
	v_add_nc_u32_e32 v4, v5, v4
	v_mul_lo_u32 v5, s2, v0
	v_add_nc_u32_e32 v4, v4, v6
	s_delay_alu instid0(VALU_DEP_2) | instskip(NEXT) | instid1(VALU_DEP_2)
	v_mul_hi_u32 v6, v0, v5
	v_mul_lo_u32 v7, v0, v4
	v_mul_hi_u32 v8, v0, v4
	v_mul_hi_u32 v9, v1, v5
	v_mul_lo_u32 v5, v1, v5
	v_mul_hi_u32 v10, v1, v4
	v_mul_lo_u32 v4, v1, v4
	v_add_co_u32 v6, vcc_lo, v6, v7
	v_add_co_ci_u32_e32 v7, vcc_lo, 0, v8, vcc_lo
	s_delay_alu instid0(VALU_DEP_2) | instskip(NEXT) | instid1(VALU_DEP_2)
	v_add_co_u32 v5, vcc_lo, v6, v5
	v_add_co_ci_u32_e32 v5, vcc_lo, v7, v9, vcc_lo
	v_add_co_ci_u32_e32 v6, vcc_lo, 0, v10, vcc_lo
	v_ashrrev_i32_e32 v9, 31, v3
	s_delay_alu instid0(VALU_DEP_3) | instskip(NEXT) | instid1(VALU_DEP_3)
	v_add_co_u32 v4, vcc_lo, v5, v4
	v_add_co_ci_u32_e32 v5, vcc_lo, 0, v6, vcc_lo
	s_delay_alu instid0(VALU_DEP_2) | instskip(NEXT) | instid1(VALU_DEP_2)
	v_add_co_u32 v0, vcc_lo, v0, v4
	v_add_co_ci_u32_e32 v1, vcc_lo, v1, v5, vcc_lo
	s_delay_alu instid0(VALU_DEP_2) | instskip(SKIP_1) | instid1(VALU_DEP_3)
	v_mul_hi_u32 v4, s2, v0
	v_mul_lo_u32 v6, s12, v0
	v_mul_lo_u32 v5, s2, v1
	s_delay_alu instid0(VALU_DEP_1) | instskip(SKIP_1) | instid1(VALU_DEP_2)
	v_add_nc_u32_e32 v4, v4, v5
	v_mul_lo_u32 v5, s2, v0
	v_add_nc_u32_e32 v4, v4, v6
	s_delay_alu instid0(VALU_DEP_2) | instskip(NEXT) | instid1(VALU_DEP_2)
	v_mul_hi_u32 v6, v0, v5
	v_mul_lo_u32 v7, v0, v4
	v_mul_hi_u32 v8, v0, v4
	v_mul_hi_u32 v10, v1, v5
	v_mul_lo_u32 v5, v1, v5
	v_mul_hi_u32 v11, v1, v4
	v_mul_lo_u32 v4, v1, v4
	v_add_co_u32 v6, vcc_lo, v6, v7
	v_add_co_ci_u32_e32 v7, vcc_lo, 0, v8, vcc_lo
	s_delay_alu instid0(VALU_DEP_2) | instskip(NEXT) | instid1(VALU_DEP_2)
	v_add_co_u32 v5, vcc_lo, v6, v5
	v_add_co_ci_u32_e32 v5, vcc_lo, v7, v10, vcc_lo
	v_add_co_ci_u32_e32 v6, vcc_lo, 0, v11, vcc_lo
	v_add_co_u32 v7, vcc_lo, v2, v9
	v_add_co_ci_u32_e32 v3, vcc_lo, v3, v9, vcc_lo
	s_delay_alu instid0(VALU_DEP_4) | instskip(NEXT) | instid1(VALU_DEP_4)
	v_add_co_u32 v4, vcc_lo, v5, v4
	v_add_co_ci_u32_e32 v5, vcc_lo, 0, v6, vcc_lo
	s_delay_alu instid0(VALU_DEP_4) | instskip(NEXT) | instid1(VALU_DEP_3)
	v_xor_b32_e32 v7, v7, v9
	v_add_co_u32 v6, vcc_lo, v0, v4
	s_delay_alu instid0(VALU_DEP_3) | instskip(SKIP_1) | instid1(VALU_DEP_3)
	v_add_co_ci_u32_e32 v8, vcc_lo, v1, v5, vcc_lo
	v_xor_b32_e32 v10, v3, v9
	v_mul_hi_u32 v11, v7, v6
	s_delay_alu instid0(VALU_DEP_3) | instskip(NEXT) | instid1(VALU_DEP_3)
	v_mad_u64_u32 v[0:1], null, v7, v8, 0
	v_mad_u64_u32 v[3:4], null, v10, v6, 0
	;; [unrolled: 1-line block ×3, first 2 shown]
	s_delay_alu instid0(VALU_DEP_3) | instskip(NEXT) | instid1(VALU_DEP_4)
	v_add_co_u32 v0, vcc_lo, v11, v0
	v_add_co_ci_u32_e32 v1, vcc_lo, 0, v1, vcc_lo
	s_delay_alu instid0(VALU_DEP_2) | instskip(NEXT) | instid1(VALU_DEP_2)
	v_add_co_u32 v0, vcc_lo, v0, v3
	v_add_co_ci_u32_e32 v0, vcc_lo, v1, v4, vcc_lo
	v_add_co_ci_u32_e32 v1, vcc_lo, 0, v6, vcc_lo
	s_delay_alu instid0(VALU_DEP_2) | instskip(NEXT) | instid1(VALU_DEP_2)
	v_add_co_u32 v3, vcc_lo, v0, v5
	v_add_co_ci_u32_e32 v4, vcc_lo, 0, v1, vcc_lo
	s_delay_alu instid0(VALU_DEP_2) | instskip(SKIP_1) | instid1(VALU_DEP_3)
	v_mul_lo_u32 v5, s11, v3
	v_mad_u64_u32 v[0:1], null, s10, v3, 0
	v_mul_lo_u32 v6, s10, v4
	s_delay_alu instid0(VALU_DEP_2) | instskip(NEXT) | instid1(VALU_DEP_2)
	v_sub_co_u32 v0, vcc_lo, v7, v0
	v_add3_u32 v1, v1, v6, v5
	s_delay_alu instid0(VALU_DEP_1) | instskip(NEXT) | instid1(VALU_DEP_1)
	v_sub_nc_u32_e32 v5, v10, v1
	v_subrev_co_ci_u32_e64 v5, s2, s11, v5, vcc_lo
	v_add_co_u32 v6, s2, v3, 2
	s_delay_alu instid0(VALU_DEP_1) | instskip(SKIP_3) | instid1(VALU_DEP_3)
	v_add_co_ci_u32_e64 v7, s2, 0, v4, s2
	v_sub_co_u32 v8, s2, v0, s10
	v_sub_co_ci_u32_e32 v1, vcc_lo, v10, v1, vcc_lo
	v_subrev_co_ci_u32_e64 v5, s2, 0, v5, s2
	v_cmp_le_u32_e32 vcc_lo, s10, v8
	s_delay_alu instid0(VALU_DEP_3) | instskip(SKIP_1) | instid1(VALU_DEP_4)
	v_cmp_eq_u32_e64 s2, s11, v1
	v_cndmask_b32_e64 v8, 0, -1, vcc_lo
	v_cmp_le_u32_e32 vcc_lo, s11, v5
	v_cndmask_b32_e64 v10, 0, -1, vcc_lo
	v_cmp_le_u32_e32 vcc_lo, s10, v0
	v_cndmask_b32_e64 v0, 0, -1, vcc_lo
	v_cmp_le_u32_e32 vcc_lo, s11, v1
	v_cndmask_b32_e64 v11, 0, -1, vcc_lo
	v_cmp_eq_u32_e32 vcc_lo, s11, v5
	s_delay_alu instid0(VALU_DEP_2) | instskip(SKIP_3) | instid1(VALU_DEP_3)
	v_cndmask_b32_e64 v0, v11, v0, s2
	v_cndmask_b32_e32 v5, v10, v8, vcc_lo
	v_add_co_u32 v8, vcc_lo, v3, 1
	v_add_co_ci_u32_e32 v10, vcc_lo, 0, v4, vcc_lo
	v_cmp_ne_u32_e32 vcc_lo, 0, v5
	s_delay_alu instid0(VALU_DEP_2) | instskip(NEXT) | instid1(VALU_DEP_4)
	v_cndmask_b32_e32 v1, v10, v7, vcc_lo
	v_cndmask_b32_e32 v5, v8, v6, vcc_lo
	v_cmp_ne_u32_e32 vcc_lo, 0, v0
	v_xor_b32_e32 v0, s8, v9
	s_delay_alu instid0(VALU_DEP_3) | instskip(SKIP_2) | instid1(VALU_DEP_3)
	v_cndmask_b32_e32 v3, v3, v5, vcc_lo
	v_cndmask_b32_e32 v1, v4, v1, vcc_lo
	v_xor_b32_e32 v4, s9, v9
	v_xor_b32_e32 v3, v3, v0
	s_delay_alu instid0(VALU_DEP_2) | instskip(NEXT) | instid1(VALU_DEP_2)
	v_xor_b32_e32 v1, v1, v4
	v_sub_co_u32 v0, vcc_lo, v3, v0
	s_delay_alu instid0(VALU_DEP_2)
	v_sub_co_ci_u32_e32 v1, vcc_lo, v1, v4, vcc_lo
.LBB18_2:
	s_and_not1_saveexec_b32 s2, s6
	s_cbranch_execz .LBB18_4
; %bb.3:
	v_cvt_f32_u32_e32 v0, s3
	s_sub_i32 s6, 0, s3
	s_delay_alu instid0(VALU_DEP_1) | instskip(SKIP_2) | instid1(VALU_DEP_1)
	v_rcp_iflag_f32_e32 v0, v0
	s_waitcnt_depctr 0xfff
	v_mul_f32_e32 v0, 0x4f7ffffe, v0
	v_cvt_u32_f32_e32 v0, v0
	s_delay_alu instid0(VALU_DEP_1) | instskip(NEXT) | instid1(VALU_DEP_1)
	v_mul_lo_u32 v1, s6, v0
	v_mul_hi_u32 v1, v0, v1
	s_delay_alu instid0(VALU_DEP_1) | instskip(NEXT) | instid1(VALU_DEP_1)
	v_add_nc_u32_e32 v0, v0, v1
	v_mul_hi_u32 v0, v2, v0
	s_delay_alu instid0(VALU_DEP_1) | instskip(SKIP_1) | instid1(VALU_DEP_2)
	v_mul_lo_u32 v1, v0, s3
	v_add_nc_u32_e32 v3, 1, v0
	v_sub_nc_u32_e32 v1, v2, v1
	s_delay_alu instid0(VALU_DEP_1) | instskip(SKIP_1) | instid1(VALU_DEP_2)
	v_subrev_nc_u32_e32 v4, s3, v1
	v_cmp_le_u32_e32 vcc_lo, s3, v1
	v_dual_cndmask_b32 v1, v1, v4 :: v_dual_cndmask_b32 v0, v0, v3
	s_delay_alu instid0(VALU_DEP_1) | instskip(NEXT) | instid1(VALU_DEP_2)
	v_cmp_le_u32_e32 vcc_lo, s3, v1
	v_add_nc_u32_e32 v3, 1, v0
	s_delay_alu instid0(VALU_DEP_1)
	v_dual_mov_b32 v1, 0 :: v_dual_cndmask_b32 v0, v0, v3
.LBB18_4:
	s_or_b32 exec_lo, exec_lo, s2
	s_load_b64 s[8:9], s[0:1], 0x18
	s_delay_alu instid0(VALU_DEP_1) | instskip(NEXT) | instid1(VALU_DEP_1)
	v_mad_u64_u32 v[3:4], null, v0, s3, 0
	v_sub_co_u32 v5, null, v2, v3
	s_delay_alu instid0(VALU_DEP_1) | instskip(SKIP_2) | instid1(VALU_DEP_2)
	v_cmp_gt_i32_e64 s2, s5, v5
	s_waitcnt lgkmcnt(0)
	v_cmp_gt_i64_e32 vcc_lo, s[8:9], v[0:1]
	s_and_b32 s2, vcc_lo, s2
	s_delay_alu instid0(SALU_CYCLE_1)
	s_and_saveexec_b32 s3, s2
	s_cbranch_execz .LBB18_398
; %bb.5:
	s_ashr_i32 s6, s4, 31
	s_load_b64 s[2:3], s[0:1], 0x0
	v_mul_lo_u32 v2, v1, s4
	v_mad_u64_u32 v[6:7], null, v0, s4, 0
	v_mul_lo_u32 v3, v0, s6
	s_delay_alu instid0(VALU_DEP_1) | instskip(SKIP_1) | instid1(VALU_DEP_2)
	v_add3_u32 v7, v7, v3, v2
	v_dual_mov_b32 v3, 0 :: v_dual_lshlrev_b32 v2, 5, v5
	v_lshlrev_b64 v[6:7], 1, v[6:7]
	s_delay_alu instid0(VALU_DEP_2) | instskip(SKIP_1) | instid1(VALU_DEP_2)
	v_lshlrev_b64 v[3:4], 1, v[2:3]
	s_waitcnt lgkmcnt(0)
	v_add_co_u32 v6, vcc_lo, s2, v6
	s_delay_alu instid0(VALU_DEP_3) | instskip(SKIP_1) | instid1(VALU_DEP_2)
	v_add_co_ci_u32_e32 v7, vcc_lo, s3, v7, vcc_lo
	s_mov_b32 s2, exec_lo
	v_add_co_u32 v3, vcc_lo, v6, v3
	s_delay_alu instid0(VALU_DEP_2)
	v_add_co_ci_u32_e32 v4, vcc_lo, v7, v4, vcc_lo
	s_clause 0x3
	global_load_b128 v[6:9], v[3:4], off
	global_load_b128 v[27:30], v[3:4], off offset:16
	global_load_b128 v[53:56], v[3:4], off offset:32
	;; [unrolled: 1-line block ×3, first 2 shown]
	s_waitcnt vmcnt(3)
	v_lshrrev_b32_e32 v3, 16, v6
	v_cvt_f32_f16_e32 v12, v6
	v_lshrrev_b32_e32 v4, 16, v7
	v_cvt_f32_f16_e32 v11, v7
	v_cvt_f32_f16_e32 v15, v8
	;; [unrolled: 1-line block ×3, first 2 shown]
	v_lshrrev_b32_e32 v3, 16, v8
	v_cvt_f32_f16_e32 v14, v4
	v_lshrrev_b32_e32 v6, 16, v9
	v_cvt_f32_f16_e32 v21, v9
	v_max3_f32 v4, |v12|, 0, |v10|
	v_cvt_f32_f16_e32 v19, v3
	s_waitcnt vmcnt(2)
	v_cvt_f32_f16_e32 v33, v28
	v_cvt_f32_f16_e32 v25, v6
	v_lshrrev_b32_e32 v6, 16, v28
	v_max3_f32 v3, v4, |v11|, |v14|
	v_lshrrev_b32_e32 v4, 16, v27
	v_cvt_f32_f16_e32 v27, v27
	v_cvt_f32_f16_e32 v39, v29
	;; [unrolled: 1-line block ×3, first 2 shown]
	v_max3_f32 v3, v3, |v15|, |v19|
	v_cvt_f32_f16_e32 v31, v4
	v_lshrrev_b32_e32 v4, 16, v29
	v_lshrrev_b32_e32 v6, 16, v30
	v_cvt_f32_f16_e32 v45, v30
	v_max3_f32 v3, v3, |v21|, |v25|
	s_waitcnt vmcnt(1)
	v_cvt_f32_f16_e32 v51, v53
	v_cvt_f32_f16_e32 v41, v4
	v_lshrrev_b32_e32 v4, 16, v53
	v_cvt_f32_f16_e32 v47, v6
	v_max3_f32 v3, v3, |v27|, |v31|
	v_lshrrev_b32_e32 v6, 16, v54
	v_cvt_f32_f16_e32 v52, v54
	v_cvt_f32_f16_e32 v53, v4
	v_lshrrev_b32_e32 v4, 16, v55
	v_max3_f32 v3, v3, |v33|, |v36|
	v_cvt_f32_f16_e32 v50, v6
	v_cvt_f32_f16_e32 v46, v55
	v_lshrrev_b32_e32 v6, 16, v56
	v_cvt_f32_f16_e32 v44, v4
	v_max3_f32 v3, v3, |v39|, |v41|
	v_cvt_f32_f16_e32 v40, v56
	s_waitcnt vmcnt(0)
	v_lshrrev_b32_e32 v4, 16, v57
	v_cvt_f32_f16_e32 v38, v6
	v_cvt_f32_f16_e32 v34, v57
	v_max3_f32 v3, v3, |v45|, |v47|
	v_lshrrev_b32_e32 v6, 16, v58
	v_cvt_f32_f16_e32 v32, v4
	v_cvt_f32_f16_e32 v28, v58
	v_lshrrev_b32_e32 v4, 16, v59
	v_max3_f32 v3, v3, |v51|, |v53|
	v_cvt_f32_f16_e32 v26, v6
	v_cvt_f32_f16_e32 v23, v59
	v_lshrrev_b32_e32 v6, 16, v60
	v_cvt_f32_f16_e32 v20, v4
	v_max3_f32 v3, v3, |v52|, |v50|
	v_cvt_f32_f16_e32 v18, v60
	s_delay_alu instid0(VALU_DEP_2) | instskip(NEXT) | instid1(VALU_DEP_1)
	v_max3_f32 v3, v3, |v46|, |v44|
	v_max3_f32 v3, v3, |v40|, |v38|
	s_delay_alu instid0(VALU_DEP_1) | instskip(NEXT) | instid1(VALU_DEP_1)
	v_max3_f32 v3, v3, |v34|, |v32|
	v_max3_f32 v4, v3, |v28|, |v26|
	v_cvt_f32_f16_e32 v3, v6
	s_delay_alu instid0(VALU_DEP_2) | instskip(NEXT) | instid1(VALU_DEP_1)
	v_max3_f32 v4, v4, |v23|, |v20|
	v_max3_f32 v4, v4, |v18|, |v3|
	s_delay_alu instid0(VALU_DEP_1) | instskip(NEXT) | instid1(VALU_DEP_1)
	v_mul_f32_e32 v4, 0x3e800000, v4
	v_and_b32_e32 v6, 0x7fffff, v4
	v_bfe_u32 v4, v4, 23, 8
	s_delay_alu instid0(VALU_DEP_2) | instskip(NEXT) | instid1(VALU_DEP_2)
	v_cmp_ne_u32_e32 vcc_lo, 0, v6
	v_add_co_ci_u32_e32 v6, vcc_lo, 0, v4, vcc_lo
	v_cmp_ne_u32_e32 vcc_lo, 0xff, v4
	s_delay_alu instid0(VALU_DEP_2) | instskip(NEXT) | instid1(VALU_DEP_1)
	v_lshlrev_b32_e32 v6, 23, v6
	v_cndmask_b32_e32 v6, 0x7f800000, v6, vcc_lo
	s_delay_alu instid0(VALU_DEP_1) | instskip(SKIP_1) | instid1(VALU_DEP_2)
	v_div_scale_f32 v4, null, v6, v6, 1.0
	v_div_scale_f32 v9, vcc_lo, 1.0, v6, 1.0
	v_rcp_f32_e32 v7, v4
	s_waitcnt_depctr 0xfff
	v_fma_f32 v8, -v4, v7, 1.0
	s_delay_alu instid0(VALU_DEP_1) | instskip(NEXT) | instid1(VALU_DEP_1)
	v_fmac_f32_e32 v7, v8, v7
	v_mul_f32_e32 v8, v9, v7
	s_delay_alu instid0(VALU_DEP_1) | instskip(NEXT) | instid1(VALU_DEP_1)
	v_fma_f32 v13, -v4, v8, v9
	v_fmac_f32_e32 v8, v13, v7
	s_delay_alu instid0(VALU_DEP_1) | instskip(SKIP_1) | instid1(VALU_DEP_2)
	v_fma_f32 v4, -v4, v8, v9
	v_mov_b32_e32 v9, 7
	v_div_fmas_f32 v4, v4, v7, v8
	v_cmp_neq_f32_e32 vcc_lo, 0, v6
	v_mov_b32_e32 v8, 7
	s_delay_alu instid0(VALU_DEP_3) | instskip(NEXT) | instid1(VALU_DEP_1)
	v_div_fixup_f32 v4, v4, v6, 1.0
	v_cndmask_b32_e32 v4, 0, v4, vcc_lo
	s_delay_alu instid0(VALU_DEP_1) | instskip(NEXT) | instid1(VALU_DEP_1)
	v_mul_f32_e32 v7, v4, v12
	v_cmpx_nle_f32_e64 0x40a00000, |v7|
	s_cbranch_execz .LBB18_17
; %bb.6:
	v_mov_b32_e32 v8, 6
	s_mov_b32 s3, exec_lo
	v_cmpx_nle_f32_e64 0x40600000, |v7|
	s_cbranch_execz .LBB18_16
; %bb.7:
	v_mov_b32_e32 v8, 5
	s_mov_b32 s6, exec_lo
	;; [unrolled: 5-line block ×5, first 2 shown]
	v_cmpx_nle_f32_e64 0x3f400000, |v7|
; %bb.11:
	v_cmp_le_f32_e64 s12, 0x3e800000, |v7|
	s_delay_alu instid0(VALU_DEP_1)
	v_cndmask_b32_e64 v8, 0, 1, s12
; %bb.12:
	s_or_b32 exec_lo, exec_lo, s11
.LBB18_13:
	s_delay_alu instid0(SALU_CYCLE_1)
	s_or_b32 exec_lo, exec_lo, s10
.LBB18_14:
	s_delay_alu instid0(SALU_CYCLE_1)
	s_or_b32 exec_lo, exec_lo, s9
.LBB18_15:
	s_delay_alu instid0(SALU_CYCLE_1)
	s_or_b32 exec_lo, exec_lo, s6
.LBB18_16:
	s_delay_alu instid0(SALU_CYCLE_1)
	s_or_b32 exec_lo, exec_lo, s3
.LBB18_17:
	s_delay_alu instid0(SALU_CYCLE_1) | instskip(SKIP_2) | instid1(VALU_DEP_1)
	s_or_b32 exec_lo, exec_lo, s2
	v_mul_f32_e32 v10, v4, v10
	s_mov_b32 s2, exec_lo
	v_cmpx_nle_f32_e64 0x40a00000, |v10|
	s_cbranch_execz .LBB18_29
; %bb.18:
	v_mov_b32_e32 v9, 6
	s_mov_b32 s3, exec_lo
	v_cmpx_nle_f32_e64 0x40600000, |v10|
	s_cbranch_execz .LBB18_28
; %bb.19:
	v_mov_b32_e32 v9, 5
	s_mov_b32 s6, exec_lo
	v_cmpx_nle_f32_e64 0x40200000, |v10|
	s_cbranch_execz .LBB18_27
; %bb.20:
	v_mov_b32_e32 v9, 4
	s_mov_b32 s9, exec_lo
	v_cmpx_nle_f32_e64 0x3fe00000, |v10|
	s_cbranch_execz .LBB18_26
; %bb.21:
	v_mov_b32_e32 v9, 3
	s_mov_b32 s10, exec_lo
	v_cmpx_nle_f32_e64 0x3fa00000, |v10|
	s_cbranch_execz .LBB18_25
; %bb.22:
	v_mov_b32_e32 v9, 2
	s_mov_b32 s11, exec_lo
	v_cmpx_nle_f32_e64 0x3f400000, |v10|
; %bb.23:
	v_cmp_le_f32_e64 s12, 0x3e800000, |v10|
	s_delay_alu instid0(VALU_DEP_1)
	v_cndmask_b32_e64 v9, 0, 1, s12
; %bb.24:
	s_or_b32 exec_lo, exec_lo, s11
.LBB18_25:
	s_delay_alu instid0(SALU_CYCLE_1)
	s_or_b32 exec_lo, exec_lo, s10
.LBB18_26:
	s_delay_alu instid0(SALU_CYCLE_1)
	s_or_b32 exec_lo, exec_lo, s9
.LBB18_27:
	s_delay_alu instid0(SALU_CYCLE_1)
	s_or_b32 exec_lo, exec_lo, s6
.LBB18_28:
	s_delay_alu instid0(SALU_CYCLE_1)
	s_or_b32 exec_lo, exec_lo, s3
.LBB18_29:
	s_delay_alu instid0(SALU_CYCLE_1) | instskip(SKIP_3) | instid1(VALU_DEP_2)
	s_or_b32 exec_lo, exec_lo, s2
	v_dual_mul_f32 v12, v4, v11 :: v_dual_mov_b32 v11, 7
	v_mov_b32_e32 v13, 7
	s_mov_b32 s2, exec_lo
	v_cmpx_nle_f32_e64 0x40a00000, |v12|
	s_cbranch_execz .LBB18_41
; %bb.30:
	v_mov_b32_e32 v13, 6
	s_mov_b32 s3, exec_lo
	v_cmpx_nle_f32_e64 0x40600000, |v12|
	s_cbranch_execz .LBB18_40
; %bb.31:
	;; [unrolled: 5-line block ×5, first 2 shown]
	v_mov_b32_e32 v13, 2
	s_mov_b32 s11, exec_lo
	v_cmpx_nle_f32_e64 0x3f400000, |v12|
; %bb.35:
	v_cmp_le_f32_e64 s12, 0x3e800000, |v12|
	s_delay_alu instid0(VALU_DEP_1)
	v_cndmask_b32_e64 v13, 0, 1, s12
; %bb.36:
	s_or_b32 exec_lo, exec_lo, s11
.LBB18_37:
	s_delay_alu instid0(SALU_CYCLE_1)
	s_or_b32 exec_lo, exec_lo, s10
.LBB18_38:
	s_delay_alu instid0(SALU_CYCLE_1)
	s_or_b32 exec_lo, exec_lo, s9
.LBB18_39:
	s_delay_alu instid0(SALU_CYCLE_1)
	s_or_b32 exec_lo, exec_lo, s6
.LBB18_40:
	s_delay_alu instid0(SALU_CYCLE_1)
	s_or_b32 exec_lo, exec_lo, s3
.LBB18_41:
	s_delay_alu instid0(SALU_CYCLE_1) | instskip(SKIP_2) | instid1(VALU_DEP_1)
	s_or_b32 exec_lo, exec_lo, s2
	v_mul_f32_e32 v14, v4, v14
	s_mov_b32 s2, exec_lo
	v_cmpx_nle_f32_e64 0x40a00000, |v14|
	s_cbranch_execz .LBB18_53
; %bb.42:
	v_mov_b32_e32 v11, 6
	s_mov_b32 s3, exec_lo
	v_cmpx_nle_f32_e64 0x40600000, |v14|
	s_cbranch_execz .LBB18_52
; %bb.43:
	v_mov_b32_e32 v11, 5
	;; [unrolled: 5-line block ×5, first 2 shown]
	s_mov_b32 s11, exec_lo
	v_cmpx_nle_f32_e64 0x3f400000, |v14|
; %bb.47:
	v_cmp_le_f32_e64 s12, 0x3e800000, |v14|
	s_delay_alu instid0(VALU_DEP_1)
	v_cndmask_b32_e64 v11, 0, 1, s12
; %bb.48:
	s_or_b32 exec_lo, exec_lo, s11
.LBB18_49:
	s_delay_alu instid0(SALU_CYCLE_1)
	s_or_b32 exec_lo, exec_lo, s10
.LBB18_50:
	s_delay_alu instid0(SALU_CYCLE_1)
	s_or_b32 exec_lo, exec_lo, s9
.LBB18_51:
	s_delay_alu instid0(SALU_CYCLE_1)
	s_or_b32 exec_lo, exec_lo, s6
.LBB18_52:
	s_delay_alu instid0(SALU_CYCLE_1)
	s_or_b32 exec_lo, exec_lo, s3
.LBB18_53:
	s_delay_alu instid0(SALU_CYCLE_1) | instskip(SKIP_3) | instid1(VALU_DEP_2)
	s_or_b32 exec_lo, exec_lo, s2
	v_dual_mul_f32 v17, v4, v15 :: v_dual_mov_b32 v16, 7
	v_mov_b32_e32 v15, 7
	s_mov_b32 s2, exec_lo
	v_cmpx_nle_f32_e64 0x40a00000, |v17|
	s_cbranch_execz .LBB18_65
; %bb.54:
	v_mov_b32_e32 v16, 6
	s_mov_b32 s3, exec_lo
	v_cmpx_nle_f32_e64 0x40600000, |v17|
	s_cbranch_execz .LBB18_64
; %bb.55:
	;; [unrolled: 5-line block ×5, first 2 shown]
	v_mov_b32_e32 v16, 2
	s_mov_b32 s11, exec_lo
	v_cmpx_nle_f32_e64 0x3f400000, |v17|
; %bb.59:
	v_cmp_le_f32_e64 s12, 0x3e800000, |v17|
	s_delay_alu instid0(VALU_DEP_1)
	v_cndmask_b32_e64 v16, 0, 1, s12
; %bb.60:
	s_or_b32 exec_lo, exec_lo, s11
.LBB18_61:
	s_delay_alu instid0(SALU_CYCLE_1)
	s_or_b32 exec_lo, exec_lo, s10
.LBB18_62:
	s_delay_alu instid0(SALU_CYCLE_1)
	s_or_b32 exec_lo, exec_lo, s9
.LBB18_63:
	s_delay_alu instid0(SALU_CYCLE_1)
	s_or_b32 exec_lo, exec_lo, s6
.LBB18_64:
	s_delay_alu instid0(SALU_CYCLE_1)
	s_or_b32 exec_lo, exec_lo, s3
.LBB18_65:
	s_delay_alu instid0(SALU_CYCLE_1) | instskip(SKIP_2) | instid1(VALU_DEP_1)
	s_or_b32 exec_lo, exec_lo, s2
	v_mul_f32_e32 v19, v4, v19
	s_mov_b32 s2, exec_lo
	v_cmpx_nle_f32_e64 0x40a00000, |v19|
	s_cbranch_execz .LBB18_77
; %bb.66:
	v_mov_b32_e32 v15, 6
	s_mov_b32 s3, exec_lo
	v_cmpx_nle_f32_e64 0x40600000, |v19|
	s_cbranch_execz .LBB18_76
; %bb.67:
	v_mov_b32_e32 v15, 5
	;; [unrolled: 5-line block ×5, first 2 shown]
	s_mov_b32 s11, exec_lo
	v_cmpx_nle_f32_e64 0x3f400000, |v19|
; %bb.71:
	v_cmp_le_f32_e64 s12, 0x3e800000, |v19|
	s_delay_alu instid0(VALU_DEP_1)
	v_cndmask_b32_e64 v15, 0, 1, s12
; %bb.72:
	s_or_b32 exec_lo, exec_lo, s11
.LBB18_73:
	s_delay_alu instid0(SALU_CYCLE_1)
	s_or_b32 exec_lo, exec_lo, s10
.LBB18_74:
	s_delay_alu instid0(SALU_CYCLE_1)
	s_or_b32 exec_lo, exec_lo, s9
.LBB18_75:
	s_delay_alu instid0(SALU_CYCLE_1)
	s_or_b32 exec_lo, exec_lo, s6
.LBB18_76:
	s_delay_alu instid0(SALU_CYCLE_1)
	s_or_b32 exec_lo, exec_lo, s3
.LBB18_77:
	s_delay_alu instid0(SALU_CYCLE_1) | instskip(SKIP_3) | instid1(VALU_DEP_2)
	s_or_b32 exec_lo, exec_lo, s2
	v_dual_mul_f32 v24, v4, v21 :: v_dual_mov_b32 v21, 7
	v_mov_b32_e32 v22, 7
	s_mov_b32 s2, exec_lo
	v_cmpx_nle_f32_e64 0x40a00000, |v24|
	s_cbranch_execz .LBB18_89
; %bb.78:
	v_mov_b32_e32 v22, 6
	s_mov_b32 s3, exec_lo
	v_cmpx_nle_f32_e64 0x40600000, |v24|
	s_cbranch_execz .LBB18_88
; %bb.79:
	;; [unrolled: 5-line block ×5, first 2 shown]
	v_mov_b32_e32 v22, 2
	s_mov_b32 s11, exec_lo
	v_cmpx_nle_f32_e64 0x3f400000, |v24|
; %bb.83:
	v_cmp_le_f32_e64 s12, 0x3e800000, |v24|
	s_delay_alu instid0(VALU_DEP_1)
	v_cndmask_b32_e64 v22, 0, 1, s12
; %bb.84:
	s_or_b32 exec_lo, exec_lo, s11
.LBB18_85:
	s_delay_alu instid0(SALU_CYCLE_1)
	s_or_b32 exec_lo, exec_lo, s10
.LBB18_86:
	s_delay_alu instid0(SALU_CYCLE_1)
	s_or_b32 exec_lo, exec_lo, s9
.LBB18_87:
	s_delay_alu instid0(SALU_CYCLE_1)
	s_or_b32 exec_lo, exec_lo, s6
.LBB18_88:
	s_delay_alu instid0(SALU_CYCLE_1)
	s_or_b32 exec_lo, exec_lo, s3
.LBB18_89:
	s_delay_alu instid0(SALU_CYCLE_1) | instskip(SKIP_2) | instid1(VALU_DEP_1)
	s_or_b32 exec_lo, exec_lo, s2
	v_mul_f32_e32 v25, v4, v25
	s_mov_b32 s2, exec_lo
	v_cmpx_nle_f32_e64 0x40a00000, |v25|
	s_cbranch_execz .LBB18_101
; %bb.90:
	v_mov_b32_e32 v21, 6
	s_mov_b32 s3, exec_lo
	v_cmpx_nle_f32_e64 0x40600000, |v25|
	s_cbranch_execz .LBB18_100
; %bb.91:
	v_mov_b32_e32 v21, 5
	s_mov_b32 s6, exec_lo
	v_cmpx_nle_f32_e64 0x40200000, |v25|
	s_cbranch_execz .LBB18_99
; %bb.92:
	v_mov_b32_e32 v21, 4
	s_mov_b32 s9, exec_lo
	v_cmpx_nle_f32_e64 0x3fe00000, |v25|
	s_cbranch_execz .LBB18_98
; %bb.93:
	v_mov_b32_e32 v21, 3
	s_mov_b32 s10, exec_lo
	v_cmpx_nle_f32_e64 0x3fa00000, |v25|
	s_cbranch_execz .LBB18_97
; %bb.94:
	v_mov_b32_e32 v21, 2
	s_mov_b32 s11, exec_lo
	v_cmpx_nle_f32_e64 0x3f400000, |v25|
; %bb.95:
	v_cmp_le_f32_e64 s12, 0x3e800000, |v25|
	s_delay_alu instid0(VALU_DEP_1)
	v_cndmask_b32_e64 v21, 0, 1, s12
; %bb.96:
	s_or_b32 exec_lo, exec_lo, s11
.LBB18_97:
	s_delay_alu instid0(SALU_CYCLE_1)
	s_or_b32 exec_lo, exec_lo, s10
.LBB18_98:
	s_delay_alu instid0(SALU_CYCLE_1)
	s_or_b32 exec_lo, exec_lo, s9
.LBB18_99:
	s_delay_alu instid0(SALU_CYCLE_1)
	s_or_b32 exec_lo, exec_lo, s6
.LBB18_100:
	s_delay_alu instid0(SALU_CYCLE_1)
	s_or_b32 exec_lo, exec_lo, s3
.LBB18_101:
	s_delay_alu instid0(SALU_CYCLE_1) | instskip(SKIP_3) | instid1(VALU_DEP_2)
	s_or_b32 exec_lo, exec_lo, s2
	v_dual_mul_f32 v29, v4, v27 :: v_dual_mov_b32 v30, 7
	v_mov_b32_e32 v27, 7
	s_mov_b32 s2, exec_lo
	v_cmpx_nle_f32_e64 0x40a00000, |v29|
	s_cbranch_execz .LBB18_113
; %bb.102:
	v_mov_b32_e32 v30, 6
	s_mov_b32 s3, exec_lo
	v_cmpx_nle_f32_e64 0x40600000, |v29|
	s_cbranch_execz .LBB18_112
; %bb.103:
	;; [unrolled: 5-line block ×5, first 2 shown]
	v_mov_b32_e32 v30, 2
	s_mov_b32 s11, exec_lo
	v_cmpx_nle_f32_e64 0x3f400000, |v29|
; %bb.107:
	v_cmp_le_f32_e64 s12, 0x3e800000, |v29|
	s_delay_alu instid0(VALU_DEP_1)
	v_cndmask_b32_e64 v30, 0, 1, s12
; %bb.108:
	s_or_b32 exec_lo, exec_lo, s11
.LBB18_109:
	s_delay_alu instid0(SALU_CYCLE_1)
	s_or_b32 exec_lo, exec_lo, s10
.LBB18_110:
	s_delay_alu instid0(SALU_CYCLE_1)
	s_or_b32 exec_lo, exec_lo, s9
.LBB18_111:
	s_delay_alu instid0(SALU_CYCLE_1)
	s_or_b32 exec_lo, exec_lo, s6
.LBB18_112:
	s_delay_alu instid0(SALU_CYCLE_1)
	s_or_b32 exec_lo, exec_lo, s3
.LBB18_113:
	s_delay_alu instid0(SALU_CYCLE_1) | instskip(SKIP_2) | instid1(VALU_DEP_1)
	s_or_b32 exec_lo, exec_lo, s2
	v_mul_f32_e32 v31, v4, v31
	s_mov_b32 s2, exec_lo
	v_cmpx_nle_f32_e64 0x40a00000, |v31|
	s_cbranch_execz .LBB18_125
; %bb.114:
	v_mov_b32_e32 v27, 6
	s_mov_b32 s3, exec_lo
	v_cmpx_nle_f32_e64 0x40600000, |v31|
	s_cbranch_execz .LBB18_124
; %bb.115:
	v_mov_b32_e32 v27, 5
	;; [unrolled: 5-line block ×5, first 2 shown]
	s_mov_b32 s11, exec_lo
	v_cmpx_nle_f32_e64 0x3f400000, |v31|
; %bb.119:
	v_cmp_le_f32_e64 s12, 0x3e800000, |v31|
	s_delay_alu instid0(VALU_DEP_1)
	v_cndmask_b32_e64 v27, 0, 1, s12
; %bb.120:
	s_or_b32 exec_lo, exec_lo, s11
.LBB18_121:
	s_delay_alu instid0(SALU_CYCLE_1)
	s_or_b32 exec_lo, exec_lo, s10
.LBB18_122:
	s_delay_alu instid0(SALU_CYCLE_1)
	s_or_b32 exec_lo, exec_lo, s9
.LBB18_123:
	s_delay_alu instid0(SALU_CYCLE_1)
	s_or_b32 exec_lo, exec_lo, s6
.LBB18_124:
	s_delay_alu instid0(SALU_CYCLE_1)
	s_or_b32 exec_lo, exec_lo, s3
.LBB18_125:
	s_delay_alu instid0(SALU_CYCLE_1) | instskip(SKIP_4) | instid1(VALU_DEP_3)
	s_or_b32 exec_lo, exec_lo, s2
	v_mul_f32_e32 v35, v4, v33
	v_mov_b32_e32 v33, 7
	v_mov_b32_e32 v37, 7
	s_mov_b32 s2, exec_lo
	v_cmpx_nle_f32_e64 0x40a00000, |v35|
	s_cbranch_execz .LBB18_137
; %bb.126:
	v_mov_b32_e32 v37, 6
	s_mov_b32 s3, exec_lo
	v_cmpx_nle_f32_e64 0x40600000, |v35|
	s_cbranch_execz .LBB18_136
; %bb.127:
	;; [unrolled: 5-line block ×5, first 2 shown]
	v_mov_b32_e32 v37, 2
	s_mov_b32 s11, exec_lo
	v_cmpx_nle_f32_e64 0x3f400000, |v35|
; %bb.131:
	v_cmp_le_f32_e64 s12, 0x3e800000, |v35|
	s_delay_alu instid0(VALU_DEP_1)
	v_cndmask_b32_e64 v37, 0, 1, s12
; %bb.132:
	s_or_b32 exec_lo, exec_lo, s11
.LBB18_133:
	s_delay_alu instid0(SALU_CYCLE_1)
	s_or_b32 exec_lo, exec_lo, s10
.LBB18_134:
	s_delay_alu instid0(SALU_CYCLE_1)
	s_or_b32 exec_lo, exec_lo, s9
.LBB18_135:
	s_delay_alu instid0(SALU_CYCLE_1)
	s_or_b32 exec_lo, exec_lo, s6
.LBB18_136:
	s_delay_alu instid0(SALU_CYCLE_1)
	s_or_b32 exec_lo, exec_lo, s3
.LBB18_137:
	s_delay_alu instid0(SALU_CYCLE_1) | instskip(SKIP_2) | instid1(VALU_DEP_1)
	s_or_b32 exec_lo, exec_lo, s2
	v_mul_f32_e32 v36, v4, v36
	s_mov_b32 s2, exec_lo
	v_cmpx_nle_f32_e64 0x40a00000, |v36|
	s_cbranch_execz .LBB18_149
; %bb.138:
	v_mov_b32_e32 v33, 6
	s_mov_b32 s3, exec_lo
	v_cmpx_nle_f32_e64 0x40600000, |v36|
	s_cbranch_execz .LBB18_148
; %bb.139:
	v_mov_b32_e32 v33, 5
	;; [unrolled: 5-line block ×5, first 2 shown]
	s_mov_b32 s11, exec_lo
	v_cmpx_nle_f32_e64 0x3f400000, |v36|
; %bb.143:
	v_cmp_le_f32_e64 s12, 0x3e800000, |v36|
	s_delay_alu instid0(VALU_DEP_1)
	v_cndmask_b32_e64 v33, 0, 1, s12
; %bb.144:
	s_or_b32 exec_lo, exec_lo, s11
.LBB18_145:
	s_delay_alu instid0(SALU_CYCLE_1)
	s_or_b32 exec_lo, exec_lo, s10
.LBB18_146:
	s_delay_alu instid0(SALU_CYCLE_1)
	s_or_b32 exec_lo, exec_lo, s9
.LBB18_147:
	s_delay_alu instid0(SALU_CYCLE_1)
	s_or_b32 exec_lo, exec_lo, s6
.LBB18_148:
	s_delay_alu instid0(SALU_CYCLE_1)
	s_or_b32 exec_lo, exec_lo, s3
.LBB18_149:
	s_delay_alu instid0(SALU_CYCLE_1) | instskip(SKIP_3) | instid1(VALU_DEP_2)
	s_or_b32 exec_lo, exec_lo, s2
	v_dual_mul_f32 v43, v4, v39 :: v_dual_mov_b32 v42, 7
	v_mov_b32_e32 v39, 7
	s_mov_b32 s2, exec_lo
	v_cmpx_nle_f32_e64 0x40a00000, |v43|
	s_cbranch_execz .LBB18_161
; %bb.150:
	v_mov_b32_e32 v42, 6
	s_mov_b32 s3, exec_lo
	v_cmpx_nle_f32_e64 0x40600000, |v43|
	s_cbranch_execz .LBB18_160
; %bb.151:
	;; [unrolled: 5-line block ×5, first 2 shown]
	v_mov_b32_e32 v42, 2
	s_mov_b32 s11, exec_lo
	v_cmpx_nle_f32_e64 0x3f400000, |v43|
; %bb.155:
	v_cmp_le_f32_e64 s12, 0x3e800000, |v43|
	s_delay_alu instid0(VALU_DEP_1)
	v_cndmask_b32_e64 v42, 0, 1, s12
; %bb.156:
	s_or_b32 exec_lo, exec_lo, s11
.LBB18_157:
	s_delay_alu instid0(SALU_CYCLE_1)
	s_or_b32 exec_lo, exec_lo, s10
.LBB18_158:
	s_delay_alu instid0(SALU_CYCLE_1)
	s_or_b32 exec_lo, exec_lo, s9
.LBB18_159:
	s_delay_alu instid0(SALU_CYCLE_1)
	s_or_b32 exec_lo, exec_lo, s6
.LBB18_160:
	s_delay_alu instid0(SALU_CYCLE_1)
	s_or_b32 exec_lo, exec_lo, s3
.LBB18_161:
	s_delay_alu instid0(SALU_CYCLE_1) | instskip(SKIP_2) | instid1(VALU_DEP_1)
	s_or_b32 exec_lo, exec_lo, s2
	v_mul_f32_e32 v41, v4, v41
	s_mov_b32 s2, exec_lo
	v_cmpx_nle_f32_e64 0x40a00000, |v41|
	s_cbranch_execz .LBB18_173
; %bb.162:
	v_mov_b32_e32 v39, 6
	s_mov_b32 s3, exec_lo
	v_cmpx_nle_f32_e64 0x40600000, |v41|
	s_cbranch_execz .LBB18_172
; %bb.163:
	v_mov_b32_e32 v39, 5
	;; [unrolled: 5-line block ×5, first 2 shown]
	s_mov_b32 s11, exec_lo
	v_cmpx_nle_f32_e64 0x3f400000, |v41|
; %bb.167:
	v_cmp_le_f32_e64 s12, 0x3e800000, |v41|
	s_delay_alu instid0(VALU_DEP_1)
	v_cndmask_b32_e64 v39, 0, 1, s12
; %bb.168:
	s_or_b32 exec_lo, exec_lo, s11
.LBB18_169:
	s_delay_alu instid0(SALU_CYCLE_1)
	s_or_b32 exec_lo, exec_lo, s10
.LBB18_170:
	s_delay_alu instid0(SALU_CYCLE_1)
	s_or_b32 exec_lo, exec_lo, s9
.LBB18_171:
	s_delay_alu instid0(SALU_CYCLE_1)
	s_or_b32 exec_lo, exec_lo, s6
.LBB18_172:
	s_delay_alu instid0(SALU_CYCLE_1)
	s_or_b32 exec_lo, exec_lo, s3
.LBB18_173:
	s_delay_alu instid0(SALU_CYCLE_1) | instskip(SKIP_3) | instid1(VALU_DEP_2)
	s_or_b32 exec_lo, exec_lo, s2
	v_dual_mul_f32 v49, v4, v45 :: v_dual_mov_b32 v48, 7
	v_mov_b32_e32 v45, 7
	s_mov_b32 s2, exec_lo
	v_cmpx_nle_f32_e64 0x40a00000, |v49|
	s_cbranch_execz .LBB18_185
; %bb.174:
	v_mov_b32_e32 v48, 6
	s_mov_b32 s3, exec_lo
	v_cmpx_nle_f32_e64 0x40600000, |v49|
	s_cbranch_execz .LBB18_184
; %bb.175:
	;; [unrolled: 5-line block ×5, first 2 shown]
	v_mov_b32_e32 v48, 2
	s_mov_b32 s11, exec_lo
	v_cmpx_nle_f32_e64 0x3f400000, |v49|
; %bb.179:
	v_cmp_le_f32_e64 s12, 0x3e800000, |v49|
	s_delay_alu instid0(VALU_DEP_1)
	v_cndmask_b32_e64 v48, 0, 1, s12
; %bb.180:
	s_or_b32 exec_lo, exec_lo, s11
.LBB18_181:
	s_delay_alu instid0(SALU_CYCLE_1)
	s_or_b32 exec_lo, exec_lo, s10
.LBB18_182:
	s_delay_alu instid0(SALU_CYCLE_1)
	s_or_b32 exec_lo, exec_lo, s9
.LBB18_183:
	s_delay_alu instid0(SALU_CYCLE_1)
	s_or_b32 exec_lo, exec_lo, s6
.LBB18_184:
	s_delay_alu instid0(SALU_CYCLE_1)
	s_or_b32 exec_lo, exec_lo, s3
.LBB18_185:
	s_delay_alu instid0(SALU_CYCLE_1) | instskip(SKIP_2) | instid1(VALU_DEP_1)
	s_or_b32 exec_lo, exec_lo, s2
	v_mul_f32_e32 v47, v4, v47
	s_mov_b32 s2, exec_lo
	v_cmpx_nle_f32_e64 0x40a00000, |v47|
	s_cbranch_execz .LBB18_197
; %bb.186:
	v_mov_b32_e32 v45, 6
	s_mov_b32 s3, exec_lo
	v_cmpx_nle_f32_e64 0x40600000, |v47|
	s_cbranch_execz .LBB18_196
; %bb.187:
	v_mov_b32_e32 v45, 5
	;; [unrolled: 5-line block ×5, first 2 shown]
	s_mov_b32 s11, exec_lo
	v_cmpx_nle_f32_e64 0x3f400000, |v47|
; %bb.191:
	v_cmp_le_f32_e64 s12, 0x3e800000, |v47|
	s_delay_alu instid0(VALU_DEP_1)
	v_cndmask_b32_e64 v45, 0, 1, s12
; %bb.192:
	s_or_b32 exec_lo, exec_lo, s11
.LBB18_193:
	s_delay_alu instid0(SALU_CYCLE_1)
	s_or_b32 exec_lo, exec_lo, s10
.LBB18_194:
	s_delay_alu instid0(SALU_CYCLE_1)
	s_or_b32 exec_lo, exec_lo, s9
.LBB18_195:
	s_delay_alu instid0(SALU_CYCLE_1)
	s_or_b32 exec_lo, exec_lo, s6
.LBB18_196:
	s_delay_alu instid0(SALU_CYCLE_1)
	s_or_b32 exec_lo, exec_lo, s3
.LBB18_197:
	s_delay_alu instid0(SALU_CYCLE_1) | instskip(SKIP_3) | instid1(VALU_DEP_2)
	s_or_b32 exec_lo, exec_lo, s2
	v_dual_mul_f32 v55, v4, v51 :: v_dual_mov_b32 v54, 7
	v_mov_b32_e32 v51, 7
	s_mov_b32 s2, exec_lo
	v_cmpx_nle_f32_e64 0x40a00000, |v55|
	s_cbranch_execz .LBB18_209
; %bb.198:
	v_mov_b32_e32 v54, 6
	s_mov_b32 s3, exec_lo
	v_cmpx_nle_f32_e64 0x40600000, |v55|
	s_cbranch_execz .LBB18_208
; %bb.199:
	;; [unrolled: 5-line block ×5, first 2 shown]
	v_mov_b32_e32 v54, 2
	s_mov_b32 s11, exec_lo
	v_cmpx_nle_f32_e64 0x3f400000, |v55|
; %bb.203:
	v_cmp_le_f32_e64 s12, 0x3e800000, |v55|
	s_delay_alu instid0(VALU_DEP_1)
	v_cndmask_b32_e64 v54, 0, 1, s12
; %bb.204:
	s_or_b32 exec_lo, exec_lo, s11
.LBB18_205:
	s_delay_alu instid0(SALU_CYCLE_1)
	s_or_b32 exec_lo, exec_lo, s10
.LBB18_206:
	s_delay_alu instid0(SALU_CYCLE_1)
	s_or_b32 exec_lo, exec_lo, s9
.LBB18_207:
	s_delay_alu instid0(SALU_CYCLE_1)
	s_or_b32 exec_lo, exec_lo, s6
.LBB18_208:
	s_delay_alu instid0(SALU_CYCLE_1)
	s_or_b32 exec_lo, exec_lo, s3
.LBB18_209:
	s_delay_alu instid0(SALU_CYCLE_1) | instskip(SKIP_2) | instid1(VALU_DEP_1)
	s_or_b32 exec_lo, exec_lo, s2
	v_mul_f32_e32 v53, v4, v53
	s_mov_b32 s2, exec_lo
	v_cmpx_nle_f32_e64 0x40a00000, |v53|
	s_cbranch_execz .LBB18_221
; %bb.210:
	v_mov_b32_e32 v51, 6
	s_mov_b32 s3, exec_lo
	v_cmpx_nle_f32_e64 0x40600000, |v53|
	s_cbranch_execz .LBB18_220
; %bb.211:
	v_mov_b32_e32 v51, 5
	;; [unrolled: 5-line block ×5, first 2 shown]
	s_mov_b32 s11, exec_lo
	v_cmpx_nle_f32_e64 0x3f400000, |v53|
; %bb.215:
	v_cmp_le_f32_e64 s12, 0x3e800000, |v53|
	s_delay_alu instid0(VALU_DEP_1)
	v_cndmask_b32_e64 v51, 0, 1, s12
; %bb.216:
	s_or_b32 exec_lo, exec_lo, s11
.LBB18_217:
	s_delay_alu instid0(SALU_CYCLE_1)
	s_or_b32 exec_lo, exec_lo, s10
.LBB18_218:
	s_delay_alu instid0(SALU_CYCLE_1)
	s_or_b32 exec_lo, exec_lo, s9
.LBB18_219:
	s_delay_alu instid0(SALU_CYCLE_1)
	s_or_b32 exec_lo, exec_lo, s6
.LBB18_220:
	s_delay_alu instid0(SALU_CYCLE_1)
	s_or_b32 exec_lo, exec_lo, s3
.LBB18_221:
	s_delay_alu instid0(SALU_CYCLE_1) | instskip(SKIP_3) | instid1(VALU_DEP_2)
	s_or_b32 exec_lo, exec_lo, s2
	v_dual_mul_f32 v56, v4, v52 :: v_dual_mov_b32 v57, 7
	v_mov_b32_e32 v52, 7
	s_mov_b32 s2, exec_lo
	v_cmpx_nle_f32_e64 0x40a00000, |v56|
	s_cbranch_execz .LBB18_233
; %bb.222:
	v_mov_b32_e32 v57, 6
	s_mov_b32 s3, exec_lo
	v_cmpx_nle_f32_e64 0x40600000, |v56|
	s_cbranch_execz .LBB18_232
; %bb.223:
	;; [unrolled: 5-line block ×5, first 2 shown]
	v_mov_b32_e32 v57, 2
	s_mov_b32 s11, exec_lo
	v_cmpx_nle_f32_e64 0x3f400000, |v56|
; %bb.227:
	v_cmp_le_f32_e64 s12, 0x3e800000, |v56|
	s_delay_alu instid0(VALU_DEP_1)
	v_cndmask_b32_e64 v57, 0, 1, s12
; %bb.228:
	s_or_b32 exec_lo, exec_lo, s11
.LBB18_229:
	s_delay_alu instid0(SALU_CYCLE_1)
	s_or_b32 exec_lo, exec_lo, s10
.LBB18_230:
	s_delay_alu instid0(SALU_CYCLE_1)
	s_or_b32 exec_lo, exec_lo, s9
.LBB18_231:
	s_delay_alu instid0(SALU_CYCLE_1)
	s_or_b32 exec_lo, exec_lo, s6
.LBB18_232:
	s_delay_alu instid0(SALU_CYCLE_1)
	s_or_b32 exec_lo, exec_lo, s3
.LBB18_233:
	s_delay_alu instid0(SALU_CYCLE_1) | instskip(SKIP_2) | instid1(VALU_DEP_1)
	s_or_b32 exec_lo, exec_lo, s2
	v_mul_f32_e32 v50, v4, v50
	s_mov_b32 s2, exec_lo
	v_cmpx_nle_f32_e64 0x40a00000, |v50|
	s_cbranch_execz .LBB18_245
; %bb.234:
	v_mov_b32_e32 v52, 6
	s_mov_b32 s3, exec_lo
	v_cmpx_nle_f32_e64 0x40600000, |v50|
	s_cbranch_execz .LBB18_244
; %bb.235:
	v_mov_b32_e32 v52, 5
	;; [unrolled: 5-line block ×5, first 2 shown]
	s_mov_b32 s11, exec_lo
	v_cmpx_nle_f32_e64 0x3f400000, |v50|
; %bb.239:
	v_cmp_le_f32_e64 s12, 0x3e800000, |v50|
	s_delay_alu instid0(VALU_DEP_1)
	v_cndmask_b32_e64 v52, 0, 1, s12
; %bb.240:
	s_or_b32 exec_lo, exec_lo, s11
.LBB18_241:
	s_delay_alu instid0(SALU_CYCLE_1)
	s_or_b32 exec_lo, exec_lo, s10
.LBB18_242:
	s_delay_alu instid0(SALU_CYCLE_1)
	s_or_b32 exec_lo, exec_lo, s9
.LBB18_243:
	s_delay_alu instid0(SALU_CYCLE_1)
	s_or_b32 exec_lo, exec_lo, s6
.LBB18_244:
	s_delay_alu instid0(SALU_CYCLE_1)
	s_or_b32 exec_lo, exec_lo, s3
.LBB18_245:
	s_delay_alu instid0(SALU_CYCLE_1) | instskip(SKIP_3) | instid1(VALU_DEP_2)
	s_or_b32 exec_lo, exec_lo, s2
	v_dual_mul_f32 v58, v4, v46 :: v_dual_mov_b32 v59, 7
	v_mov_b32_e32 v46, 7
	s_mov_b32 s2, exec_lo
	v_cmpx_nle_f32_e64 0x40a00000, |v58|
	s_cbranch_execz .LBB18_257
; %bb.246:
	v_mov_b32_e32 v59, 6
	s_mov_b32 s3, exec_lo
	v_cmpx_nle_f32_e64 0x40600000, |v58|
	s_cbranch_execz .LBB18_256
; %bb.247:
	;; [unrolled: 5-line block ×5, first 2 shown]
	v_mov_b32_e32 v59, 2
	s_mov_b32 s11, exec_lo
	v_cmpx_nle_f32_e64 0x3f400000, |v58|
; %bb.251:
	v_cmp_le_f32_e64 s12, 0x3e800000, |v58|
	s_delay_alu instid0(VALU_DEP_1)
	v_cndmask_b32_e64 v59, 0, 1, s12
; %bb.252:
	s_or_b32 exec_lo, exec_lo, s11
.LBB18_253:
	s_delay_alu instid0(SALU_CYCLE_1)
	s_or_b32 exec_lo, exec_lo, s10
.LBB18_254:
	s_delay_alu instid0(SALU_CYCLE_1)
	s_or_b32 exec_lo, exec_lo, s9
.LBB18_255:
	s_delay_alu instid0(SALU_CYCLE_1)
	s_or_b32 exec_lo, exec_lo, s6
.LBB18_256:
	s_delay_alu instid0(SALU_CYCLE_1)
	s_or_b32 exec_lo, exec_lo, s3
.LBB18_257:
	s_delay_alu instid0(SALU_CYCLE_1) | instskip(SKIP_2) | instid1(VALU_DEP_1)
	s_or_b32 exec_lo, exec_lo, s2
	v_mul_f32_e32 v44, v4, v44
	s_mov_b32 s2, exec_lo
	v_cmpx_nle_f32_e64 0x40a00000, |v44|
	s_cbranch_execz .LBB18_269
; %bb.258:
	v_mov_b32_e32 v46, 6
	s_mov_b32 s3, exec_lo
	v_cmpx_nle_f32_e64 0x40600000, |v44|
	s_cbranch_execz .LBB18_268
; %bb.259:
	v_mov_b32_e32 v46, 5
	;; [unrolled: 5-line block ×5, first 2 shown]
	s_mov_b32 s11, exec_lo
	v_cmpx_nle_f32_e64 0x3f400000, |v44|
; %bb.263:
	v_cmp_le_f32_e64 s12, 0x3e800000, |v44|
	s_delay_alu instid0(VALU_DEP_1)
	v_cndmask_b32_e64 v46, 0, 1, s12
; %bb.264:
	s_or_b32 exec_lo, exec_lo, s11
.LBB18_265:
	s_delay_alu instid0(SALU_CYCLE_1)
	s_or_b32 exec_lo, exec_lo, s10
.LBB18_266:
	s_delay_alu instid0(SALU_CYCLE_1)
	s_or_b32 exec_lo, exec_lo, s9
.LBB18_267:
	s_delay_alu instid0(SALU_CYCLE_1)
	s_or_b32 exec_lo, exec_lo, s6
.LBB18_268:
	s_delay_alu instid0(SALU_CYCLE_1)
	s_or_b32 exec_lo, exec_lo, s3
.LBB18_269:
	s_delay_alu instid0(SALU_CYCLE_1) | instskip(SKIP_3) | instid1(VALU_DEP_2)
	s_or_b32 exec_lo, exec_lo, s2
	v_dual_mul_f32 v61, v4, v40 :: v_dual_mov_b32 v40, 7
	v_mov_b32_e32 v60, 7
	s_mov_b32 s2, exec_lo
	v_cmpx_nle_f32_e64 0x40a00000, |v61|
	s_cbranch_execz .LBB18_281
; %bb.270:
	v_mov_b32_e32 v60, 6
	s_mov_b32 s3, exec_lo
	v_cmpx_nle_f32_e64 0x40600000, |v61|
	s_cbranch_execz .LBB18_280
; %bb.271:
	;; [unrolled: 5-line block ×5, first 2 shown]
	v_mov_b32_e32 v60, 2
	s_mov_b32 s11, exec_lo
	v_cmpx_nle_f32_e64 0x3f400000, |v61|
; %bb.275:
	v_cmp_le_f32_e64 s12, 0x3e800000, |v61|
	s_delay_alu instid0(VALU_DEP_1)
	v_cndmask_b32_e64 v60, 0, 1, s12
; %bb.276:
	s_or_b32 exec_lo, exec_lo, s11
.LBB18_277:
	s_delay_alu instid0(SALU_CYCLE_1)
	s_or_b32 exec_lo, exec_lo, s10
.LBB18_278:
	s_delay_alu instid0(SALU_CYCLE_1)
	s_or_b32 exec_lo, exec_lo, s9
.LBB18_279:
	s_delay_alu instid0(SALU_CYCLE_1)
	s_or_b32 exec_lo, exec_lo, s6
.LBB18_280:
	s_delay_alu instid0(SALU_CYCLE_1)
	s_or_b32 exec_lo, exec_lo, s3
.LBB18_281:
	s_delay_alu instid0(SALU_CYCLE_1) | instskip(SKIP_2) | instid1(VALU_DEP_1)
	s_or_b32 exec_lo, exec_lo, s2
	v_mul_f32_e32 v38, v4, v38
	s_mov_b32 s2, exec_lo
	v_cmpx_nle_f32_e64 0x40a00000, |v38|
	s_cbranch_execz .LBB18_293
; %bb.282:
	v_mov_b32_e32 v40, 6
	s_mov_b32 s3, exec_lo
	v_cmpx_nle_f32_e64 0x40600000, |v38|
	s_cbranch_execz .LBB18_292
; %bb.283:
	v_mov_b32_e32 v40, 5
	;; [unrolled: 5-line block ×5, first 2 shown]
	s_mov_b32 s11, exec_lo
	v_cmpx_nle_f32_e64 0x3f400000, |v38|
; %bb.287:
	v_cmp_le_f32_e64 s12, 0x3e800000, |v38|
	s_delay_alu instid0(VALU_DEP_1)
	v_cndmask_b32_e64 v40, 0, 1, s12
; %bb.288:
	s_or_b32 exec_lo, exec_lo, s11
.LBB18_289:
	s_delay_alu instid0(SALU_CYCLE_1)
	s_or_b32 exec_lo, exec_lo, s10
.LBB18_290:
	s_delay_alu instid0(SALU_CYCLE_1)
	s_or_b32 exec_lo, exec_lo, s9
.LBB18_291:
	s_delay_alu instid0(SALU_CYCLE_1)
	s_or_b32 exec_lo, exec_lo, s6
.LBB18_292:
	s_delay_alu instid0(SALU_CYCLE_1)
	s_or_b32 exec_lo, exec_lo, s3
.LBB18_293:
	s_delay_alu instid0(SALU_CYCLE_1) | instskip(SKIP_3) | instid1(VALU_DEP_2)
	s_or_b32 exec_lo, exec_lo, s2
	v_dual_mul_f32 v63, v4, v34 :: v_dual_mov_b32 v34, 7
	v_mov_b32_e32 v62, 7
	s_mov_b32 s2, exec_lo
	v_cmpx_nle_f32_e64 0x40a00000, |v63|
	s_cbranch_execz .LBB18_305
; %bb.294:
	v_mov_b32_e32 v62, 6
	s_mov_b32 s3, exec_lo
	v_cmpx_nle_f32_e64 0x40600000, |v63|
	s_cbranch_execz .LBB18_304
; %bb.295:
	;; [unrolled: 5-line block ×5, first 2 shown]
	v_mov_b32_e32 v62, 2
	s_mov_b32 s11, exec_lo
	v_cmpx_nle_f32_e64 0x3f400000, |v63|
; %bb.299:
	v_cmp_le_f32_e64 s12, 0x3e800000, |v63|
	s_delay_alu instid0(VALU_DEP_1)
	v_cndmask_b32_e64 v62, 0, 1, s12
; %bb.300:
	s_or_b32 exec_lo, exec_lo, s11
.LBB18_301:
	s_delay_alu instid0(SALU_CYCLE_1)
	s_or_b32 exec_lo, exec_lo, s10
.LBB18_302:
	s_delay_alu instid0(SALU_CYCLE_1)
	s_or_b32 exec_lo, exec_lo, s9
.LBB18_303:
	s_delay_alu instid0(SALU_CYCLE_1)
	s_or_b32 exec_lo, exec_lo, s6
.LBB18_304:
	s_delay_alu instid0(SALU_CYCLE_1)
	s_or_b32 exec_lo, exec_lo, s3
.LBB18_305:
	s_delay_alu instid0(SALU_CYCLE_1) | instskip(SKIP_2) | instid1(VALU_DEP_1)
	s_or_b32 exec_lo, exec_lo, s2
	v_mul_f32_e32 v32, v4, v32
	s_mov_b32 s2, exec_lo
	v_cmpx_nle_f32_e64 0x40a00000, |v32|
	s_cbranch_execz .LBB18_317
; %bb.306:
	v_mov_b32_e32 v34, 6
	s_mov_b32 s3, exec_lo
	v_cmpx_nle_f32_e64 0x40600000, |v32|
	s_cbranch_execz .LBB18_316
; %bb.307:
	v_mov_b32_e32 v34, 5
	;; [unrolled: 5-line block ×5, first 2 shown]
	s_mov_b32 s11, exec_lo
	v_cmpx_nle_f32_e64 0x3f400000, |v32|
; %bb.311:
	v_cmp_le_f32_e64 s12, 0x3e800000, |v32|
	s_delay_alu instid0(VALU_DEP_1)
	v_cndmask_b32_e64 v34, 0, 1, s12
; %bb.312:
	s_or_b32 exec_lo, exec_lo, s11
.LBB18_313:
	s_delay_alu instid0(SALU_CYCLE_1)
	s_or_b32 exec_lo, exec_lo, s10
.LBB18_314:
	s_delay_alu instid0(SALU_CYCLE_1)
	s_or_b32 exec_lo, exec_lo, s9
.LBB18_315:
	s_delay_alu instid0(SALU_CYCLE_1)
	s_or_b32 exec_lo, exec_lo, s6
.LBB18_316:
	s_delay_alu instid0(SALU_CYCLE_1)
	s_or_b32 exec_lo, exec_lo, s3
.LBB18_317:
	s_delay_alu instid0(SALU_CYCLE_1) | instskip(SKIP_3) | instid1(VALU_DEP_2)
	s_or_b32 exec_lo, exec_lo, s2
	v_dual_mul_f32 v65, v4, v28 :: v_dual_mov_b32 v28, 7
	v_mov_b32_e32 v64, 7
	s_mov_b32 s2, exec_lo
	v_cmpx_nle_f32_e64 0x40a00000, |v65|
	s_cbranch_execz .LBB18_329
; %bb.318:
	v_mov_b32_e32 v64, 6
	s_mov_b32 s3, exec_lo
	v_cmpx_nle_f32_e64 0x40600000, |v65|
	s_cbranch_execz .LBB18_328
; %bb.319:
	;; [unrolled: 5-line block ×5, first 2 shown]
	v_mov_b32_e32 v64, 2
	s_mov_b32 s11, exec_lo
	v_cmpx_nle_f32_e64 0x3f400000, |v65|
; %bb.323:
	v_cmp_le_f32_e64 s12, 0x3e800000, |v65|
	s_delay_alu instid0(VALU_DEP_1)
	v_cndmask_b32_e64 v64, 0, 1, s12
; %bb.324:
	s_or_b32 exec_lo, exec_lo, s11
.LBB18_325:
	s_delay_alu instid0(SALU_CYCLE_1)
	s_or_b32 exec_lo, exec_lo, s10
.LBB18_326:
	s_delay_alu instid0(SALU_CYCLE_1)
	s_or_b32 exec_lo, exec_lo, s9
.LBB18_327:
	s_delay_alu instid0(SALU_CYCLE_1)
	s_or_b32 exec_lo, exec_lo, s6
.LBB18_328:
	s_delay_alu instid0(SALU_CYCLE_1)
	s_or_b32 exec_lo, exec_lo, s3
.LBB18_329:
	s_delay_alu instid0(SALU_CYCLE_1) | instskip(SKIP_2) | instid1(VALU_DEP_1)
	s_or_b32 exec_lo, exec_lo, s2
	v_mul_f32_e32 v26, v4, v26
	s_mov_b32 s2, exec_lo
	v_cmpx_nle_f32_e64 0x40a00000, |v26|
	s_cbranch_execz .LBB18_341
; %bb.330:
	v_mov_b32_e32 v28, 6
	s_mov_b32 s3, exec_lo
	v_cmpx_nle_f32_e64 0x40600000, |v26|
	s_cbranch_execz .LBB18_340
; %bb.331:
	v_mov_b32_e32 v28, 5
	s_mov_b32 s6, exec_lo
	v_cmpx_nle_f32_e64 0x40200000, |v26|
	s_cbranch_execz .LBB18_339
; %bb.332:
	v_mov_b32_e32 v28, 4
	s_mov_b32 s9, exec_lo
	v_cmpx_nle_f32_e64 0x3fe00000, |v26|
	s_cbranch_execz .LBB18_338
; %bb.333:
	v_mov_b32_e32 v28, 3
	s_mov_b32 s10, exec_lo
	v_cmpx_nle_f32_e64 0x3fa00000, |v26|
	s_cbranch_execz .LBB18_337
; %bb.334:
	v_mov_b32_e32 v28, 2
	s_mov_b32 s11, exec_lo
	v_cmpx_nle_f32_e64 0x3f400000, |v26|
; %bb.335:
	v_cmp_le_f32_e64 s12, 0x3e800000, |v26|
	s_delay_alu instid0(VALU_DEP_1)
	v_cndmask_b32_e64 v28, 0, 1, s12
; %bb.336:
	s_or_b32 exec_lo, exec_lo, s11
.LBB18_337:
	s_delay_alu instid0(SALU_CYCLE_1)
	s_or_b32 exec_lo, exec_lo, s10
.LBB18_338:
	s_delay_alu instid0(SALU_CYCLE_1)
	s_or_b32 exec_lo, exec_lo, s9
.LBB18_339:
	s_delay_alu instid0(SALU_CYCLE_1)
	s_or_b32 exec_lo, exec_lo, s6
.LBB18_340:
	s_delay_alu instid0(SALU_CYCLE_1)
	s_or_b32 exec_lo, exec_lo, s3
.LBB18_341:
	s_delay_alu instid0(SALU_CYCLE_1) | instskip(SKIP_3) | instid1(VALU_DEP_2)
	s_or_b32 exec_lo, exec_lo, s2
	v_dual_mul_f32 v66, v4, v23 :: v_dual_mov_b32 v23, 7
	v_mov_b32_e32 v67, 7
	s_mov_b32 s2, exec_lo
	v_cmpx_nle_f32_e64 0x40a00000, |v66|
	s_cbranch_execz .LBB18_353
; %bb.342:
	v_mov_b32_e32 v67, 6
	s_mov_b32 s3, exec_lo
	v_cmpx_nle_f32_e64 0x40600000, |v66|
	s_cbranch_execz .LBB18_352
; %bb.343:
	;; [unrolled: 5-line block ×5, first 2 shown]
	v_mov_b32_e32 v67, 2
	s_mov_b32 s11, exec_lo
	v_cmpx_nle_f32_e64 0x3f400000, |v66|
; %bb.347:
	v_cmp_le_f32_e64 s12, 0x3e800000, |v66|
	s_delay_alu instid0(VALU_DEP_1)
	v_cndmask_b32_e64 v67, 0, 1, s12
; %bb.348:
	s_or_b32 exec_lo, exec_lo, s11
.LBB18_349:
	s_delay_alu instid0(SALU_CYCLE_1)
	s_or_b32 exec_lo, exec_lo, s10
.LBB18_350:
	s_delay_alu instid0(SALU_CYCLE_1)
	s_or_b32 exec_lo, exec_lo, s9
.LBB18_351:
	s_delay_alu instid0(SALU_CYCLE_1)
	s_or_b32 exec_lo, exec_lo, s6
.LBB18_352:
	s_delay_alu instid0(SALU_CYCLE_1)
	s_or_b32 exec_lo, exec_lo, s3
.LBB18_353:
	s_delay_alu instid0(SALU_CYCLE_1) | instskip(SKIP_2) | instid1(VALU_DEP_1)
	s_or_b32 exec_lo, exec_lo, s2
	v_mul_f32_e32 v20, v4, v20
	s_mov_b32 s2, exec_lo
	v_cmpx_nle_f32_e64 0x40a00000, |v20|
	s_cbranch_execz .LBB18_365
; %bb.354:
	v_mov_b32_e32 v23, 6
	s_mov_b32 s3, exec_lo
	v_cmpx_nle_f32_e64 0x40600000, |v20|
	s_cbranch_execz .LBB18_364
; %bb.355:
	v_mov_b32_e32 v23, 5
	;; [unrolled: 5-line block ×5, first 2 shown]
	s_mov_b32 s11, exec_lo
	v_cmpx_nle_f32_e64 0x3f400000, |v20|
; %bb.359:
	v_cmp_le_f32_e64 s12, 0x3e800000, |v20|
	s_delay_alu instid0(VALU_DEP_1)
	v_cndmask_b32_e64 v23, 0, 1, s12
; %bb.360:
	s_or_b32 exec_lo, exec_lo, s11
.LBB18_361:
	s_delay_alu instid0(SALU_CYCLE_1)
	s_or_b32 exec_lo, exec_lo, s10
.LBB18_362:
	s_delay_alu instid0(SALU_CYCLE_1)
	s_or_b32 exec_lo, exec_lo, s9
.LBB18_363:
	s_delay_alu instid0(SALU_CYCLE_1)
	s_or_b32 exec_lo, exec_lo, s6
.LBB18_364:
	s_delay_alu instid0(SALU_CYCLE_1)
	s_or_b32 exec_lo, exec_lo, s3
.LBB18_365:
	s_delay_alu instid0(SALU_CYCLE_1) | instskip(SKIP_3) | instid1(VALU_DEP_2)
	s_or_b32 exec_lo, exec_lo, s2
	v_dual_mul_f32 v69, v4, v18 :: v_dual_mov_b32 v18, 7
	v_mov_b32_e32 v70, 7
	s_mov_b32 s2, exec_lo
	v_cmpx_nle_f32_e64 0x40a00000, |v69|
	s_cbranch_execz .LBB18_377
; %bb.366:
	v_mov_b32_e32 v70, 6
	s_mov_b32 s3, exec_lo
	v_cmpx_nle_f32_e64 0x40600000, |v69|
	s_cbranch_execz .LBB18_376
; %bb.367:
	v_mov_b32_e32 v70, 5
	s_mov_b32 s6, exec_lo
	v_cmpx_nle_f32_e64 0x40200000, |v69|
	s_cbranch_execz .LBB18_375
; %bb.368:
	v_mov_b32_e32 v70, 4
	s_mov_b32 s9, exec_lo
	v_cmpx_nle_f32_e64 0x3fe00000, |v69|
	s_cbranch_execz .LBB18_374
; %bb.369:
	v_mov_b32_e32 v70, 3
	s_mov_b32 s10, exec_lo
	v_cmpx_nle_f32_e64 0x3fa00000, |v69|
	s_cbranch_execz .LBB18_373
; %bb.370:
	v_mov_b32_e32 v70, 2
	s_mov_b32 s11, exec_lo
	v_cmpx_nle_f32_e64 0x3f400000, |v69|
; %bb.371:
	v_cmp_le_f32_e64 s12, 0x3e800000, |v69|
	s_delay_alu instid0(VALU_DEP_1)
	v_cndmask_b32_e64 v70, 0, 1, s12
; %bb.372:
	s_or_b32 exec_lo, exec_lo, s11
.LBB18_373:
	s_delay_alu instid0(SALU_CYCLE_1)
	s_or_b32 exec_lo, exec_lo, s10
.LBB18_374:
	s_delay_alu instid0(SALU_CYCLE_1)
	s_or_b32 exec_lo, exec_lo, s9
.LBB18_375:
	s_delay_alu instid0(SALU_CYCLE_1)
	s_or_b32 exec_lo, exec_lo, s6
.LBB18_376:
	s_delay_alu instid0(SALU_CYCLE_1)
	s_or_b32 exec_lo, exec_lo, s3
.LBB18_377:
	s_delay_alu instid0(SALU_CYCLE_1) | instskip(SKIP_2) | instid1(VALU_DEP_1)
	s_or_b32 exec_lo, exec_lo, s2
	v_mul_f32_e32 v68, v4, v3
	s_mov_b32 s2, exec_lo
	v_cmpx_nle_f32_e64 0x40a00000, |v68|
	s_cbranch_execz .LBB18_389
; %bb.378:
	v_mov_b32_e32 v18, 6
	s_mov_b32 s3, exec_lo
	v_cmpx_nle_f32_e64 0x40600000, |v68|
	s_cbranch_execz .LBB18_388
; %bb.379:
	v_mov_b32_e32 v18, 5
	;; [unrolled: 5-line block ×5, first 2 shown]
	s_mov_b32 s11, exec_lo
	v_cmpx_nle_f32_e64 0x3f400000, |v68|
; %bb.383:
	v_cmp_le_f32_e64 s12, 0x3e800000, |v68|
	s_delay_alu instid0(VALU_DEP_1)
	v_cndmask_b32_e64 v18, 0, 1, s12
; %bb.384:
	s_or_b32 exec_lo, exec_lo, s11
.LBB18_385:
	s_delay_alu instid0(SALU_CYCLE_1)
	s_or_b32 exec_lo, exec_lo, s10
.LBB18_386:
	s_delay_alu instid0(SALU_CYCLE_1)
	s_or_b32 exec_lo, exec_lo, s9
.LBB18_387:
	s_delay_alu instid0(SALU_CYCLE_1)
	s_or_b32 exec_lo, exec_lo, s6
.LBB18_388:
	s_delay_alu instid0(SALU_CYCLE_1)
	s_or_b32 exec_lo, exec_lo, s3
.LBB18_389:
	s_delay_alu instid0(SALU_CYCLE_1)
	s_or_b32 exec_lo, exec_lo, s2
	s_load_b64 s[2:3], s[0:1], 0x8
	v_lshrrev_b32_e32 v3, 2, v5
	s_bitcmp1_b32 s7, 0
	v_and_b32_e32 v71, 3, v5
	s_cselect_b32 s6, -1, 0
	s_lshr_b32 s9, s4, 31
	v_lshlrev_b32_e32 v72, 10, v3
	s_xor_b32 s6, s6, -1
	s_add_i32 s4, s4, s9
	s_mov_b32 s7, -1
	s_and_b32 vcc_lo, exec_lo, s6
	s_ashr_i32 s4, s4, 1
	s_cbranch_vccz .LBB18_391
; %bb.390:
	v_dual_mov_b32 v4, 0 :: v_dual_lshlrev_b32 v3, 4, v0
	v_and_b32_e32 v75, -16, v0
	s_ashr_i32 s7, s4, 31
	v_mul_lo_u32 v1, v1, s4
	s_delay_alu instid0(VALU_DEP_3) | instskip(NEXT) | instid1(VALU_DEP_3)
	v_and_b32_e32 v3, 0xf0, v3
	v_mul_lo_u32 v76, v75, s7
	s_delay_alu instid0(VALU_DEP_2) | instskip(SKIP_1) | instid1(VALU_DEP_2)
	v_mad_u64_u32 v[73:74], null, v75, s4, v[3:4]
	v_lshlrev_b32_e32 v3, 8, v71
	v_add3_u32 v1, v1, v74, v76
	s_delay_alu instid0(VALU_DEP_3) | instskip(NEXT) | instid1(VALU_DEP_2)
	v_add_co_u32 v4, vcc_lo, v73, v72
	v_add_co_ci_u32_e32 v1, vcc_lo, 0, v1, vcc_lo
	s_delay_alu instid0(VALU_DEP_2) | instskip(NEXT) | instid1(VALU_DEP_2)
	v_add_co_u32 v3, vcc_lo, v4, v3
	v_add_co_ci_u32_e32 v4, vcc_lo, 0, v1, vcc_lo
	s_cbranch_execz .LBB18_392
	s_branch .LBB18_393
.LBB18_391:
                                        ; implicit-def: $vgpr3_vgpr4
	s_and_not1_b32 vcc_lo, exec_lo, s7
	s_cbranch_vccnz .LBB18_393
.LBB18_392:
	s_ashr_i32 s7, s8, 1
	v_sub_nc_u32_e32 v4, 0, v0
	s_abs_i32 s9, s7
	s_ashr_i32 s4, s4, 6
	v_cvt_f32_u32_e32 v1, s9
	s_sub_i32 s10, 0, s9
	v_max_i32_e32 v4, v0, v4
	s_delay_alu instid0(VALU_DEP_2) | instskip(SKIP_2) | instid1(VALU_DEP_1)
	v_rcp_iflag_f32_e32 v1, v1
	s_waitcnt_depctr 0xfff
	v_mul_f32_e32 v1, 0x4f7ffffe, v1
	v_cvt_u32_f32_e32 v1, v1
	s_delay_alu instid0(VALU_DEP_1) | instskip(NEXT) | instid1(VALU_DEP_1)
	v_mul_lo_u32 v3, s10, v1
	v_mul_hi_u32 v3, v1, v3
	s_delay_alu instid0(VALU_DEP_1) | instskip(NEXT) | instid1(VALU_DEP_1)
	v_add_nc_u32_e32 v1, v1, v3
	v_mul_hi_u32 v1, v4, v1
	s_delay_alu instid0(VALU_DEP_1) | instskip(NEXT) | instid1(VALU_DEP_1)
	v_mul_lo_u32 v3, v1, s9
	v_sub_nc_u32_e32 v3, v4, v3
	v_add_nc_u32_e32 v4, 1, v1
	s_delay_alu instid0(VALU_DEP_2) | instskip(SKIP_1) | instid1(VALU_DEP_3)
	v_subrev_nc_u32_e32 v73, s9, v3
	v_cmp_le_u32_e32 vcc_lo, s9, v3
	v_cndmask_b32_e32 v1, v1, v4, vcc_lo
	s_delay_alu instid0(VALU_DEP_3) | instskip(SKIP_1) | instid1(VALU_DEP_3)
	v_cndmask_b32_e32 v3, v3, v73, vcc_lo
	v_xor_b32_e32 v4, s7, v0
	v_add_nc_u32_e32 v73, 1, v1
	s_delay_alu instid0(VALU_DEP_3) | instskip(NEXT) | instid1(VALU_DEP_3)
	v_cmp_le_u32_e32 vcc_lo, s9, v3
	v_ashrrev_i32_e32 v4, 31, v4
	v_lshl_or_b32 v3, v71, 8, v72
	s_delay_alu instid0(VALU_DEP_4) | instskip(NEXT) | instid1(VALU_DEP_1)
	v_cndmask_b32_e32 v1, v1, v73, vcc_lo
	v_xor_b32_e32 v1, v1, v4
	s_delay_alu instid0(VALU_DEP_1) | instskip(SKIP_1) | instid1(VALU_DEP_2)
	v_sub_nc_u32_e32 v1, v1, v4
	v_mov_b32_e32 v4, 0
	v_mul_lo_u32 v73, v1, s7
	s_lshl_b32 s7, s4, 10
	s_lshl_b32 s4, s4, 11
	s_delay_alu instid0(VALU_DEP_2) | instskip(NEXT) | instid1(VALU_DEP_2)
	v_mad_i64_i32 v[71:72], null, v1, s7, v[3:4]
	v_sub_nc_u32_e32 v73, v0, v73
	s_delay_alu instid0(VALU_DEP_1) | instskip(NEXT) | instid1(VALU_DEP_1)
	v_ashrrev_i32_e32 v1, 4, v73
	v_mad_i64_i32 v[3:4], null, v1, s4, v[71:72]
	v_lshlrev_b32_e32 v1, 4, v73
	s_delay_alu instid0(VALU_DEP_1)
	v_and_or_b32 v3, 0xf0, v1, v3
.LBB18_393:
	v_cmp_gt_f32_e32 vcc_lo, 0, v69
	v_lshlrev_b16 v9, 4, v9
	v_lshlrev_b16 v18, 4, v18
	;; [unrolled: 1-line block ×3, first 2 shown]
	s_load_b64 s[0:1], s[0:1], 0x10
	v_cndmask_b32_e64 v1, 0, 1, vcc_lo
	v_cmp_gt_f32_e32 vcc_lo, 0, v66
	s_delay_alu instid0(VALU_DEP_2) | instskip(SKIP_2) | instid1(VALU_DEP_3)
	v_lshlrev_b16 v1, 3, v1
	v_cndmask_b32_e64 v66, 0, 1, vcc_lo
	v_cmp_gt_f32_e32 vcc_lo, 0, v65
	v_or_b32_e32 v1, v1, v70
	s_delay_alu instid0(VALU_DEP_3) | instskip(SKIP_2) | instid1(VALU_DEP_3)
	v_lshlrev_b16 v66, 3, v66
	v_cndmask_b32_e64 v65, 0, 1, vcc_lo
	v_cmp_gt_f32_e32 vcc_lo, 0, v63
	v_or_b32_e32 v66, v66, v67
	s_delay_alu instid0(VALU_DEP_3) | instskip(SKIP_2) | instid1(VALU_DEP_3)
	;; [unrolled: 5-line block ×12, first 2 shown]
	v_lshlrev_b16 v24, 3, v24
	v_cndmask_b32_e64 v17, 0, 1, vcc_lo
	v_cmp_gt_f32_e32 vcc_lo, 0, v7
	v_or_b32_e32 v22, v24, v22
	s_delay_alu instid0(VALU_DEP_3) | instskip(SKIP_2) | instid1(VALU_DEP_2)
	v_lshlrev_b16 v17, 3, v17
	v_cndmask_b32_e64 v7, 0, 1, vcc_lo
	v_cmp_gt_f32_e32 vcc_lo, 0, v10
	v_lshlrev_b16 v7, 3, v7
	v_cndmask_b32_e64 v10, 0, 1, vcc_lo
	v_cmp_gt_f32_e32 vcc_lo, 0, v12
	s_delay_alu instid0(VALU_DEP_3) | instskip(NEXT) | instid1(VALU_DEP_3)
	v_or_b32_e32 v7, v7, v8
	v_lshlrev_b16 v10, 7, v10
	v_cndmask_b32_e64 v12, 0, 1, vcc_lo
	v_cmp_gt_f32_e32 vcc_lo, 0, v14
	v_lshlrev_b16 v14, 4, v21
	v_lshlrev_b16 v21, 4, v52
	v_or_b32_e32 v8, v10, v9
	v_lshlrev_b16 v12, 3, v12
	v_cndmask_b32_e64 v9, 0, 1, vcc_lo
	v_cmp_gt_f32_e32 vcc_lo, 0, v19
	v_or_b32_e32 v10, v17, v16
	v_or_b32_e32 v7, v8, v7
	v_lshlrev_b16 v8, 4, v11
	v_or_b32_e32 v12, v12, v13
	v_cndmask_b32_e64 v11, 0, 1, vcc_lo
	v_cmp_gt_f32_e32 vcc_lo, 0, v25
	v_lshlrev_b16 v9, 7, v9
	v_lshlrev_b16 v16, 4, v39
	;; [unrolled: 1-line block ×4, first 2 shown]
	v_cndmask_b32_e64 v13, 0, 1, vcc_lo
	v_cmp_gt_f32_e32 vcc_lo, 0, v31
	v_or_b32_e32 v8, v9, v8
	v_lshlrev_b16 v9, 4, v15
	s_delay_alu instid0(VALU_DEP_4) | instskip(SKIP_2) | instid1(VALU_DEP_4)
	v_lshlrev_b16 v13, 7, v13
	v_cndmask_b32_e64 v15, 0, 1, vcc_lo
	v_cmp_gt_f32_e32 vcc_lo, 0, v36
	v_or_b32_e32 v9, v11, v9
	v_or_b32_e32 v8, v8, v12
	;; [unrolled: 1-line block ×3, first 2 shown]
	v_lshlrev_b16 v12, 4, v27
	v_cndmask_b32_e64 v14, 0, 1, vcc_lo
	v_cmp_gt_f32_e32 vcc_lo, 0, v41
	v_lshlrev_b16 v13, 7, v15
	v_or_b32_e32 v9, v9, v10
	v_or_b32_e32 v10, v11, v22
	v_lshlrev_b16 v14, 7, v14
	v_cndmask_b32_e64 v15, 0, 1, vcc_lo
	v_or_b32_e32 v12, v13, v12
	v_lshlrev_b16 v13, 4, v33
	v_cmp_gt_f32_e32 vcc_lo, 0, v47
	v_lshlrev_b16 v22, 4, v34
	v_lshlrev_b16 v15, 7, v15
	v_or_b32_e32 v11, v12, v29
	v_or_b32_e32 v12, v14, v13
	v_lshlrev_b16 v14, 4, v45
	v_lshlrev_b16 v8, 8, v8
	v_or_b32_e32 v13, v15, v16
	v_cndmask_b32_e64 v15, 0, 1, vcc_lo
	v_cmp_gt_f32_e32 vcc_lo, 0, v53
	v_or_b32_e32 v12, v12, v35
	v_lshlrev_b16 v10, 8, v10
	v_or_b32_e32 v13, v13, v42
	v_lshlrev_b16 v15, 7, v15
	v_cndmask_b32_e64 v16, 0, 1, vcc_lo
	v_cmp_gt_f32_e32 vcc_lo, 0, v50
	v_lshlrev_b16 v12, 8, v12
	v_or_b32_e32 v7, v7, v8
	v_or_b32_e32 v14, v15, v14
	v_lshlrev_b16 v16, 7, v16
	v_cndmask_b32_e64 v17, 0, 1, vcc_lo
	v_cmp_gt_f32_e32 vcc_lo, 0, v44
	v_or_b32_e32 v11, v11, v12
	v_or_b32_e32 v14, v14, v48
	;; [unrolled: 1-line block ×3, first 2 shown]
	v_lshlrev_b16 v17, 7, v17
	v_lshlrev_b16 v19, 4, v46
	v_or_b32_e32 v8, v9, v10
	v_lshlrev_b16 v14, 8, v14
	v_or_b32_e32 v15, v15, v54
	v_or_b32_e32 v16, v17, v21
	v_cndmask_b32_e64 v17, 0, 1, vcc_lo
	v_cmp_gt_f32_e32 vcc_lo, 0, v26
	v_lshlrev_b16 v26, 4, v28
	v_lshlrev_b16 v21, 4, v40
	v_or_b32_e32 v16, v16, v56
	v_lshlrev_b16 v17, 7, v17
	v_cndmask_b32_e64 v24, 0, 1, vcc_lo
	v_cmp_gt_f32_e32 vcc_lo, 0, v32
	v_or_b32_e32 v12, v13, v14
	v_lshlrev_b16 v16, 8, v16
	v_or_b32_e32 v17, v17, v19
	v_lshlrev_b16 v24, 7, v24
	v_cndmask_b32_e64 v25, 0, 1, vcc_lo
	v_cmp_gt_f32_e32 vcc_lo, 0, v68
	v_or_b32_e32 v15, v15, v16
	v_or_b32_e32 v17, v17, v58
	;; [unrolled: 1-line block ×3, first 2 shown]
	v_lshlrev_b16 v25, 7, v25
	v_cndmask_b32_e64 v27, 0, 1, vcc_lo
	v_cmp_gt_f32_e32 vcc_lo, 0, v20
	v_and_b32_e32 v15, 0xffff, v15
	v_and_b32_e32 v11, 0xffff, v11
	v_or_b32_e32 v22, v25, v22
	v_lshlrev_b16 v27, 7, v27
	v_cndmask_b32_e64 v20, 0, 1, vcc_lo
	v_cmp_gt_f32_e32 vcc_lo, 0, v38
	v_lshlrev_b32_e32 v12, 16, v12
	v_or_b32_e32 v22, v22, v62
	v_or_b32_e32 v18, v27, v18
	v_lshlrev_b16 v20, 7, v20
	v_cndmask_b32_e64 v26, 0, 1, vcc_lo
	v_and_b32_e32 v7, 0xffff, v7
	v_lshlrev_b32_e32 v13, 16, v8
	v_or_b32_e32 v1, v18, v1
	v_or_b32_e32 v20, v20, v23
	v_lshlrev_b16 v18, 7, v26
	v_or_b32_e32 v23, v24, v64
	s_waitcnt lgkmcnt(0)
	v_add_co_u32 v3, vcc_lo, s2, v3
	v_or_b32_e32 v20, v20, v66
	v_or_b32_e32 v18, v18, v21
	v_lshlrev_b16 v23, 8, v23
	v_lshlrev_b16 v1, 8, v1
	v_or_b32_e32 v8, v11, v12
	v_or_b32_e32 v7, v7, v13
	;; [unrolled: 1-line block ×5, first 2 shown]
	v_add_co_ci_u32_e32 v4, vcc_lo, s3, v4, vcc_lo
	s_delay_alu instid0(VALU_DEP_4) | instskip(NEXT) | instid1(VALU_DEP_4)
	v_lshlrev_b16 v16, 8, v16
	v_and_b32_e32 v18, 0xffff, v19
	s_delay_alu instid0(VALU_DEP_4) | instskip(SKIP_3) | instid1(VALU_DEP_2)
	v_lshlrev_b32_e32 v1, 16, v1
	s_mov_b32 s2, 0
	s_and_b32 vcc_lo, exec_lo, s6
	v_or_b32_e32 v16, v17, v16
	v_or_b32_e32 v10, v18, v1
	s_delay_alu instid0(VALU_DEP_2) | instskip(NEXT) | instid1(VALU_DEP_1)
	v_lshlrev_b32_e32 v9, 16, v16
	v_or_b32_e32 v9, v15, v9
	global_store_b128 v[3:4], v[7:10], off
	s_cbranch_vccz .LBB18_395
; %bb.394:
	v_ashrrev_i32_e32 v1, 31, v0
	s_delay_alu instid0(VALU_DEP_1) | instskip(NEXT) | instid1(VALU_DEP_1)
	v_lshrrev_b32_e32 v1, 27, v1
	v_add_nc_u32_e32 v1, v0, v1
	s_delay_alu instid0(VALU_DEP_1) | instskip(NEXT) | instid1(VALU_DEP_1)
	v_and_b32_e32 v3, 0xffe0, v1
	v_sub_nc_u32_e32 v3, v0, v3
	s_delay_alu instid0(VALU_DEP_1) | instskip(NEXT) | instid1(VALU_DEP_1)
	v_bfe_i32 v4, v3, 0, 8
	v_lshrrev_b16 v4, 11, v4
	s_delay_alu instid0(VALU_DEP_1) | instskip(NEXT) | instid1(VALU_DEP_1)
	v_and_b32_e32 v4, 15, v4
	v_add_nc_u16 v3, v3, v4
	s_delay_alu instid0(VALU_DEP_1) | instskip(NEXT) | instid1(VALU_DEP_1)
	v_bfe_i32 v3, v3, 0, 8
	v_ashrrev_i16 v4, 4, v3
	v_ashrrev_i32_e32 v3, 5, v1
	s_delay_alu instid0(VALU_DEP_2)
	v_bfe_i32 v1, v4, 0, 16
	s_and_not1_b32 vcc_lo, exec_lo, s2
	s_cbranch_vccz .LBB18_396
	s_branch .LBB18_397
.LBB18_395:
                                        ; implicit-def: $vgpr3
                                        ; implicit-def: $vgpr1
.LBB18_396:
	s_lshr_b32 s2, s8, 31
	v_sub_nc_u32_e32 v4, 0, v0
	s_add_i32 s2, s8, s2
	s_delay_alu instid0(SALU_CYCLE_1) | instskip(NEXT) | instid1(VALU_DEP_1)
	s_ashr_i32 s2, s2, 1
	v_max_i32_e32 v4, v0, v4
	s_abs_i32 s3, s2
	s_delay_alu instid0(SALU_CYCLE_1) | instskip(SKIP_1) | instid1(VALU_DEP_1)
	v_cvt_f32_u32_e32 v1, s3
	s_sub_i32 s4, 0, s3
	v_rcp_iflag_f32_e32 v1, v1
	s_waitcnt_depctr 0xfff
	v_mul_f32_e32 v1, 0x4f7ffffe, v1
	s_delay_alu instid0(VALU_DEP_1) | instskip(NEXT) | instid1(VALU_DEP_1)
	v_cvt_u32_f32_e32 v1, v1
	v_mul_lo_u32 v3, s4, v1
	s_delay_alu instid0(VALU_DEP_1) | instskip(NEXT) | instid1(VALU_DEP_1)
	v_mul_hi_u32 v3, v1, v3
	v_add_nc_u32_e32 v1, v1, v3
	s_delay_alu instid0(VALU_DEP_1) | instskip(NEXT) | instid1(VALU_DEP_1)
	v_mul_hi_u32 v1, v4, v1
	v_mul_lo_u32 v3, v1, s3
	s_delay_alu instid0(VALU_DEP_1) | instskip(NEXT) | instid1(VALU_DEP_1)
	v_sub_nc_u32_e32 v3, v4, v3
	v_subrev_nc_u32_e32 v7, s3, v3
	v_cmp_le_u32_e32 vcc_lo, s3, v3
	s_delay_alu instid0(VALU_DEP_2) | instskip(NEXT) | instid1(VALU_DEP_1)
	v_dual_cndmask_b32 v3, v3, v7 :: v_dual_add_nc_u32 v4, 1, v1
	v_cndmask_b32_e32 v1, v1, v4, vcc_lo
	v_xor_b32_e32 v4, s2, v0
	s_delay_alu instid0(VALU_DEP_3) | instskip(NEXT) | instid1(VALU_DEP_3)
	v_cmp_le_u32_e32 vcc_lo, s3, v3
	v_add_nc_u32_e32 v7, 1, v1
	s_delay_alu instid0(VALU_DEP_3) | instskip(NEXT) | instid1(VALU_DEP_2)
	v_ashrrev_i32_e32 v4, 31, v4
	v_cndmask_b32_e32 v1, v1, v7, vcc_lo
	s_delay_alu instid0(VALU_DEP_1) | instskip(NEXT) | instid1(VALU_DEP_1)
	v_xor_b32_e32 v1, v1, v4
	v_sub_nc_u32_e32 v1, v1, v4
	s_delay_alu instid0(VALU_DEP_1) | instskip(NEXT) | instid1(VALU_DEP_1)
	v_mul_lo_u32 v3, v1, s2
	v_sub_nc_u32_e32 v0, v0, v3
	s_delay_alu instid0(VALU_DEP_1) | instskip(NEXT) | instid1(VALU_DEP_1)
	v_ashrrev_i32_e32 v3, 31, v0
	v_lshrrev_b32_e32 v3, 28, v3
	s_delay_alu instid0(VALU_DEP_1) | instskip(NEXT) | instid1(VALU_DEP_1)
	v_add_nc_u32_e32 v3, v0, v3
	v_ashrrev_i32_e32 v3, 4, v3
.LBB18_397:
	v_ashrrev_i32_e32 v4, 31, v0
	v_lshlrev_b32_e32 v7, 6, v5
	v_lshrrev_b32_e32 v5, 1, v5
	v_and_b32_e32 v2, 0x7fffff00, v2
	s_lshl_b32 s2, s5, 5
	v_lshrrev_b32_e32 v4, 28, v4
	v_and_b32_e32 v7, 0xc0, v7
	v_and_b32_e32 v5, 2, v5
	s_and_b32 s2, s2, 0x7fffff00
	s_delay_alu instid0(SALU_CYCLE_1) | instskip(SKIP_1) | instid1(VALU_DEP_3)
	v_mul_lo_u32 v3, v3, s2
	v_add_nc_u32_e32 v4, v0, v4
	v_or3_b32 v2, v7, v2, v5
	s_delay_alu instid0(VALU_DEP_2) | instskip(NEXT) | instid1(VALU_DEP_2)
	v_and_b32_e32 v4, 0x3ffffff0, v4
	v_add_nc_u32_e32 v1, v2, v1
	v_lshrrev_b32_e32 v2, 23, v6
	s_delay_alu instid0(VALU_DEP_3) | instskip(NEXT) | instid1(VALU_DEP_1)
	v_sub_nc_u32_e32 v0, v0, v4
	v_lshlrev_b32_e32 v0, 2, v0
	s_delay_alu instid0(VALU_DEP_1) | instskip(NEXT) | instid1(VALU_DEP_1)
	v_add3_u32 v0, v1, v0, v3
	v_ashrrev_i32_e32 v1, 31, v0
	v_add_co_u32 v0, vcc_lo, s0, v0
	s_delay_alu instid0(VALU_DEP_2)
	v_add_co_ci_u32_e32 v1, vcc_lo, s1, v1, vcc_lo
	global_store_b8 v[0:1], v2, off
.LBB18_398:
	s_nop 0
	s_sendmsg sendmsg(MSG_DEALLOC_VGPRS)
	s_endpgm
	.section	.rodata,"a",@progbits
	.p2align	6, 0x0
	.amdhsa_kernel _ZN5aiter18quant_mxfp4_kernelI6__halfLNS_16MxScaleRoundModeE3ELb0ELb1ELb1EEEvPKT_PhPfliiib
		.amdhsa_group_segment_fixed_size 0
		.amdhsa_private_segment_fixed_size 0
		.amdhsa_kernarg_size 304
		.amdhsa_user_sgpr_count 15
		.amdhsa_user_sgpr_dispatch_ptr 0
		.amdhsa_user_sgpr_queue_ptr 0
		.amdhsa_user_sgpr_kernarg_segment_ptr 1
		.amdhsa_user_sgpr_dispatch_id 0
		.amdhsa_user_sgpr_private_segment_size 0
		.amdhsa_wavefront_size32 1
		.amdhsa_uses_dynamic_stack 0
		.amdhsa_enable_private_segment 0
		.amdhsa_system_sgpr_workgroup_id_x 1
		.amdhsa_system_sgpr_workgroup_id_y 0
		.amdhsa_system_sgpr_workgroup_id_z 0
		.amdhsa_system_sgpr_workgroup_info 0
		.amdhsa_system_vgpr_workitem_id 0
		.amdhsa_next_free_vgpr 77
		.amdhsa_next_free_sgpr 16
		.amdhsa_reserve_vcc 1
		.amdhsa_float_round_mode_32 0
		.amdhsa_float_round_mode_16_64 0
		.amdhsa_float_denorm_mode_32 3
		.amdhsa_float_denorm_mode_16_64 3
		.amdhsa_dx10_clamp 1
		.amdhsa_ieee_mode 1
		.amdhsa_fp16_overflow 0
		.amdhsa_workgroup_processor_mode 1
		.amdhsa_memory_ordered 1
		.amdhsa_forward_progress 0
		.amdhsa_shared_vgpr_count 0
		.amdhsa_exception_fp_ieee_invalid_op 0
		.amdhsa_exception_fp_denorm_src 0
		.amdhsa_exception_fp_ieee_div_zero 0
		.amdhsa_exception_fp_ieee_overflow 0
		.amdhsa_exception_fp_ieee_underflow 0
		.amdhsa_exception_fp_ieee_inexact 0
		.amdhsa_exception_int_div_zero 0
	.end_amdhsa_kernel
	.section	.text._ZN5aiter18quant_mxfp4_kernelI6__halfLNS_16MxScaleRoundModeE3ELb0ELb1ELb1EEEvPKT_PhPfliiib,"axG",@progbits,_ZN5aiter18quant_mxfp4_kernelI6__halfLNS_16MxScaleRoundModeE3ELb0ELb1ELb1EEEvPKT_PhPfliiib,comdat
.Lfunc_end18:
	.size	_ZN5aiter18quant_mxfp4_kernelI6__halfLNS_16MxScaleRoundModeE3ELb0ELb1ELb1EEEvPKT_PhPfliiib, .Lfunc_end18-_ZN5aiter18quant_mxfp4_kernelI6__halfLNS_16MxScaleRoundModeE3ELb0ELb1ELb1EEEvPKT_PhPfliiib
                                        ; -- End function
	.section	.AMDGPU.csdata,"",@progbits
; Kernel info:
; codeLenInByte = 10728
; NumSgprs: 18
; NumVgprs: 77
; ScratchSize: 0
; MemoryBound: 0
; FloatMode: 240
; IeeeMode: 1
; LDSByteSize: 0 bytes/workgroup (compile time only)
; SGPRBlocks: 2
; VGPRBlocks: 9
; NumSGPRsForWavesPerEU: 18
; NumVGPRsForWavesPerEU: 77
; Occupancy: 16
; WaveLimiterHint : 0
; COMPUTE_PGM_RSRC2:SCRATCH_EN: 0
; COMPUTE_PGM_RSRC2:USER_SGPR: 15
; COMPUTE_PGM_RSRC2:TRAP_HANDLER: 0
; COMPUTE_PGM_RSRC2:TGID_X_EN: 1
; COMPUTE_PGM_RSRC2:TGID_Y_EN: 0
; COMPUTE_PGM_RSRC2:TGID_Z_EN: 0
; COMPUTE_PGM_RSRC2:TIDIG_COMP_CNT: 0
	.section	.text._ZN5aiter18quant_mxfp4_kernelI6__halfLNS_16MxScaleRoundModeE3ELb0ELb1ELb0EEEvPKT_PhPfliiib,"axG",@progbits,_ZN5aiter18quant_mxfp4_kernelI6__halfLNS_16MxScaleRoundModeE3ELb0ELb1ELb0EEEvPKT_PhPfliiib,comdat
	.protected	_ZN5aiter18quant_mxfp4_kernelI6__halfLNS_16MxScaleRoundModeE3ELb0ELb1ELb0EEEvPKT_PhPfliiib ; -- Begin function _ZN5aiter18quant_mxfp4_kernelI6__halfLNS_16MxScaleRoundModeE3ELb0ELb1ELb0EEEvPKT_PhPfliiib
	.globl	_ZN5aiter18quant_mxfp4_kernelI6__halfLNS_16MxScaleRoundModeE3ELb0ELb1ELb0EEEvPKT_PhPfliiib
	.p2align	8
	.type	_ZN5aiter18quant_mxfp4_kernelI6__halfLNS_16MxScaleRoundModeE3ELb0ELb1ELb0EEEvPKT_PhPfliiib,@function
_ZN5aiter18quant_mxfp4_kernelI6__halfLNS_16MxScaleRoundModeE3ELb0ELb1ELb0EEEvPKT_PhPfliiib: ; @_ZN5aiter18quant_mxfp4_kernelI6__halfLNS_16MxScaleRoundModeE3ELb0ELb1ELb0EEEvPKT_PhPfliiib
; %bb.0:
	s_clause 0x1
	s_load_b32 s2, s[0:1], 0x3c
	s_load_b128 s[4:7], s[0:1], 0x20
	v_mov_b32_e32 v1, 0
	s_delay_alu instid0(VALU_DEP_1)
	v_mov_b32_e32 v4, v1
	s_waitcnt lgkmcnt(0)
	s_and_b32 s2, s2, 0xffff
	s_mov_b32 s3, s6
	v_mad_u64_u32 v[2:3], null, s2, s15, v[0:1]
	s_ashr_i32 s2, s6, 31
	s_mov_b32 s6, exec_lo
                                        ; implicit-def: $vgpr0_vgpr1
	s_delay_alu instid0(VALU_DEP_1) | instskip(NEXT) | instid1(VALU_DEP_1)
	v_or_b32_e32 v5, s2, v3
	v_cmpx_ne_u64_e32 0, v[4:5]
	s_xor_b32 s6, exec_lo, s6
	s_cbranch_execz .LBB19_2
; %bb.1:
	s_add_u32 s10, s3, s2
	s_mov_b32 s8, s2
	s_mov_b32 s9, s2
	s_addc_u32 s11, s2, s2
	s_delay_alu instid0(SALU_CYCLE_1) | instskip(NEXT) | instid1(SALU_CYCLE_1)
	s_xor_b64 s[10:11], s[10:11], s[8:9]
	v_cvt_f32_u32_e32 v0, s10
	v_cvt_f32_u32_e32 v1, s11
	s_sub_u32 s2, 0, s10
	s_subb_u32 s12, 0, s11
	s_delay_alu instid0(VALU_DEP_1) | instskip(NEXT) | instid1(VALU_DEP_1)
	v_fmamk_f32 v0, v1, 0x4f800000, v0
	v_rcp_f32_e32 v0, v0
	s_waitcnt_depctr 0xfff
	v_mul_f32_e32 v0, 0x5f7ffffc, v0
	s_delay_alu instid0(VALU_DEP_1) | instskip(NEXT) | instid1(VALU_DEP_1)
	v_mul_f32_e32 v1, 0x2f800000, v0
	v_trunc_f32_e32 v1, v1
	s_delay_alu instid0(VALU_DEP_1) | instskip(SKIP_1) | instid1(VALU_DEP_2)
	v_fmamk_f32 v0, v1, 0xcf800000, v0
	v_cvt_u32_f32_e32 v1, v1
	v_cvt_u32_f32_e32 v0, v0
	s_delay_alu instid0(VALU_DEP_2) | instskip(NEXT) | instid1(VALU_DEP_2)
	v_mul_lo_u32 v4, s2, v1
	v_mul_hi_u32 v5, s2, v0
	v_mul_lo_u32 v6, s12, v0
	s_delay_alu instid0(VALU_DEP_2) | instskip(SKIP_1) | instid1(VALU_DEP_2)
	v_add_nc_u32_e32 v4, v5, v4
	v_mul_lo_u32 v5, s2, v0
	v_add_nc_u32_e32 v4, v4, v6
	s_delay_alu instid0(VALU_DEP_2) | instskip(NEXT) | instid1(VALU_DEP_2)
	v_mul_hi_u32 v6, v0, v5
	v_mul_lo_u32 v7, v0, v4
	v_mul_hi_u32 v8, v0, v4
	v_mul_hi_u32 v9, v1, v5
	v_mul_lo_u32 v5, v1, v5
	v_mul_hi_u32 v10, v1, v4
	v_mul_lo_u32 v4, v1, v4
	v_add_co_u32 v6, vcc_lo, v6, v7
	v_add_co_ci_u32_e32 v7, vcc_lo, 0, v8, vcc_lo
	s_delay_alu instid0(VALU_DEP_2) | instskip(NEXT) | instid1(VALU_DEP_2)
	v_add_co_u32 v5, vcc_lo, v6, v5
	v_add_co_ci_u32_e32 v5, vcc_lo, v7, v9, vcc_lo
	v_add_co_ci_u32_e32 v6, vcc_lo, 0, v10, vcc_lo
	v_ashrrev_i32_e32 v9, 31, v3
	s_delay_alu instid0(VALU_DEP_3) | instskip(NEXT) | instid1(VALU_DEP_3)
	v_add_co_u32 v4, vcc_lo, v5, v4
	v_add_co_ci_u32_e32 v5, vcc_lo, 0, v6, vcc_lo
	s_delay_alu instid0(VALU_DEP_2) | instskip(NEXT) | instid1(VALU_DEP_2)
	v_add_co_u32 v0, vcc_lo, v0, v4
	v_add_co_ci_u32_e32 v1, vcc_lo, v1, v5, vcc_lo
	s_delay_alu instid0(VALU_DEP_2) | instskip(SKIP_1) | instid1(VALU_DEP_3)
	v_mul_hi_u32 v4, s2, v0
	v_mul_lo_u32 v6, s12, v0
	v_mul_lo_u32 v5, s2, v1
	s_delay_alu instid0(VALU_DEP_1) | instskip(SKIP_1) | instid1(VALU_DEP_2)
	v_add_nc_u32_e32 v4, v4, v5
	v_mul_lo_u32 v5, s2, v0
	v_add_nc_u32_e32 v4, v4, v6
	s_delay_alu instid0(VALU_DEP_2) | instskip(NEXT) | instid1(VALU_DEP_2)
	v_mul_hi_u32 v6, v0, v5
	v_mul_lo_u32 v7, v0, v4
	v_mul_hi_u32 v8, v0, v4
	v_mul_hi_u32 v10, v1, v5
	v_mul_lo_u32 v5, v1, v5
	v_mul_hi_u32 v11, v1, v4
	v_mul_lo_u32 v4, v1, v4
	v_add_co_u32 v6, vcc_lo, v6, v7
	v_add_co_ci_u32_e32 v7, vcc_lo, 0, v8, vcc_lo
	s_delay_alu instid0(VALU_DEP_2) | instskip(NEXT) | instid1(VALU_DEP_2)
	v_add_co_u32 v5, vcc_lo, v6, v5
	v_add_co_ci_u32_e32 v5, vcc_lo, v7, v10, vcc_lo
	v_add_co_ci_u32_e32 v6, vcc_lo, 0, v11, vcc_lo
	v_add_co_u32 v7, vcc_lo, v2, v9
	v_add_co_ci_u32_e32 v3, vcc_lo, v3, v9, vcc_lo
	s_delay_alu instid0(VALU_DEP_4) | instskip(NEXT) | instid1(VALU_DEP_4)
	v_add_co_u32 v4, vcc_lo, v5, v4
	v_add_co_ci_u32_e32 v5, vcc_lo, 0, v6, vcc_lo
	s_delay_alu instid0(VALU_DEP_4) | instskip(NEXT) | instid1(VALU_DEP_3)
	v_xor_b32_e32 v7, v7, v9
	v_add_co_u32 v6, vcc_lo, v0, v4
	s_delay_alu instid0(VALU_DEP_3) | instskip(SKIP_1) | instid1(VALU_DEP_3)
	v_add_co_ci_u32_e32 v8, vcc_lo, v1, v5, vcc_lo
	v_xor_b32_e32 v10, v3, v9
	v_mul_hi_u32 v11, v7, v6
	s_delay_alu instid0(VALU_DEP_3) | instskip(NEXT) | instid1(VALU_DEP_3)
	v_mad_u64_u32 v[0:1], null, v7, v8, 0
	v_mad_u64_u32 v[3:4], null, v10, v6, 0
	;; [unrolled: 1-line block ×3, first 2 shown]
	s_delay_alu instid0(VALU_DEP_3) | instskip(NEXT) | instid1(VALU_DEP_4)
	v_add_co_u32 v0, vcc_lo, v11, v0
	v_add_co_ci_u32_e32 v1, vcc_lo, 0, v1, vcc_lo
	s_delay_alu instid0(VALU_DEP_2) | instskip(NEXT) | instid1(VALU_DEP_2)
	v_add_co_u32 v0, vcc_lo, v0, v3
	v_add_co_ci_u32_e32 v0, vcc_lo, v1, v4, vcc_lo
	v_add_co_ci_u32_e32 v1, vcc_lo, 0, v6, vcc_lo
	s_delay_alu instid0(VALU_DEP_2) | instskip(NEXT) | instid1(VALU_DEP_2)
	v_add_co_u32 v3, vcc_lo, v0, v5
	v_add_co_ci_u32_e32 v4, vcc_lo, 0, v1, vcc_lo
	s_delay_alu instid0(VALU_DEP_2) | instskip(SKIP_1) | instid1(VALU_DEP_3)
	v_mul_lo_u32 v5, s11, v3
	v_mad_u64_u32 v[0:1], null, s10, v3, 0
	v_mul_lo_u32 v6, s10, v4
	s_delay_alu instid0(VALU_DEP_2) | instskip(NEXT) | instid1(VALU_DEP_2)
	v_sub_co_u32 v0, vcc_lo, v7, v0
	v_add3_u32 v1, v1, v6, v5
	s_delay_alu instid0(VALU_DEP_1) | instskip(NEXT) | instid1(VALU_DEP_1)
	v_sub_nc_u32_e32 v5, v10, v1
	v_subrev_co_ci_u32_e64 v5, s2, s11, v5, vcc_lo
	v_add_co_u32 v6, s2, v3, 2
	s_delay_alu instid0(VALU_DEP_1) | instskip(SKIP_3) | instid1(VALU_DEP_3)
	v_add_co_ci_u32_e64 v7, s2, 0, v4, s2
	v_sub_co_u32 v8, s2, v0, s10
	v_sub_co_ci_u32_e32 v1, vcc_lo, v10, v1, vcc_lo
	v_subrev_co_ci_u32_e64 v5, s2, 0, v5, s2
	v_cmp_le_u32_e32 vcc_lo, s10, v8
	s_delay_alu instid0(VALU_DEP_3) | instskip(SKIP_1) | instid1(VALU_DEP_4)
	v_cmp_eq_u32_e64 s2, s11, v1
	v_cndmask_b32_e64 v8, 0, -1, vcc_lo
	v_cmp_le_u32_e32 vcc_lo, s11, v5
	v_cndmask_b32_e64 v10, 0, -1, vcc_lo
	v_cmp_le_u32_e32 vcc_lo, s10, v0
	;; [unrolled: 2-line block ×3, first 2 shown]
	v_cndmask_b32_e64 v11, 0, -1, vcc_lo
	v_cmp_eq_u32_e32 vcc_lo, s11, v5
	s_delay_alu instid0(VALU_DEP_2) | instskip(SKIP_3) | instid1(VALU_DEP_3)
	v_cndmask_b32_e64 v0, v11, v0, s2
	v_cndmask_b32_e32 v5, v10, v8, vcc_lo
	v_add_co_u32 v8, vcc_lo, v3, 1
	v_add_co_ci_u32_e32 v10, vcc_lo, 0, v4, vcc_lo
	v_cmp_ne_u32_e32 vcc_lo, 0, v5
	s_delay_alu instid0(VALU_DEP_2) | instskip(NEXT) | instid1(VALU_DEP_4)
	v_cndmask_b32_e32 v1, v10, v7, vcc_lo
	v_cndmask_b32_e32 v5, v8, v6, vcc_lo
	v_cmp_ne_u32_e32 vcc_lo, 0, v0
	v_xor_b32_e32 v0, s8, v9
	s_delay_alu instid0(VALU_DEP_3) | instskip(SKIP_2) | instid1(VALU_DEP_3)
	v_cndmask_b32_e32 v3, v3, v5, vcc_lo
	v_cndmask_b32_e32 v1, v4, v1, vcc_lo
	v_xor_b32_e32 v4, s9, v9
	v_xor_b32_e32 v3, v3, v0
	s_delay_alu instid0(VALU_DEP_2) | instskip(NEXT) | instid1(VALU_DEP_2)
	v_xor_b32_e32 v1, v1, v4
	v_sub_co_u32 v0, vcc_lo, v3, v0
	s_delay_alu instid0(VALU_DEP_2)
	v_sub_co_ci_u32_e32 v1, vcc_lo, v1, v4, vcc_lo
.LBB19_2:
	s_and_not1_saveexec_b32 s2, s6
	s_cbranch_execz .LBB19_4
; %bb.3:
	v_cvt_f32_u32_e32 v0, s3
	s_sub_i32 s6, 0, s3
	s_delay_alu instid0(VALU_DEP_1) | instskip(SKIP_2) | instid1(VALU_DEP_1)
	v_rcp_iflag_f32_e32 v0, v0
	s_waitcnt_depctr 0xfff
	v_mul_f32_e32 v0, 0x4f7ffffe, v0
	v_cvt_u32_f32_e32 v0, v0
	s_delay_alu instid0(VALU_DEP_1) | instskip(NEXT) | instid1(VALU_DEP_1)
	v_mul_lo_u32 v1, s6, v0
	v_mul_hi_u32 v1, v0, v1
	s_delay_alu instid0(VALU_DEP_1) | instskip(NEXT) | instid1(VALU_DEP_1)
	v_add_nc_u32_e32 v0, v0, v1
	v_mul_hi_u32 v0, v2, v0
	s_delay_alu instid0(VALU_DEP_1) | instskip(SKIP_1) | instid1(VALU_DEP_2)
	v_mul_lo_u32 v1, v0, s3
	v_add_nc_u32_e32 v3, 1, v0
	v_sub_nc_u32_e32 v1, v2, v1
	s_delay_alu instid0(VALU_DEP_1) | instskip(SKIP_1) | instid1(VALU_DEP_2)
	v_subrev_nc_u32_e32 v4, s3, v1
	v_cmp_le_u32_e32 vcc_lo, s3, v1
	v_dual_cndmask_b32 v1, v1, v4 :: v_dual_cndmask_b32 v0, v0, v3
	s_delay_alu instid0(VALU_DEP_1) | instskip(NEXT) | instid1(VALU_DEP_2)
	v_cmp_le_u32_e32 vcc_lo, s3, v1
	v_add_nc_u32_e32 v3, 1, v0
	s_delay_alu instid0(VALU_DEP_1)
	v_dual_mov_b32 v1, 0 :: v_dual_cndmask_b32 v0, v0, v3
.LBB19_4:
	s_or_b32 exec_lo, exec_lo, s2
	s_load_b64 s[8:9], s[0:1], 0x18
	s_delay_alu instid0(VALU_DEP_1) | instskip(NEXT) | instid1(VALU_DEP_1)
	v_mad_u64_u32 v[3:4], null, v0, s3, 0
	v_sub_co_u32 v4, null, v2, v3
	s_delay_alu instid0(VALU_DEP_1) | instskip(SKIP_2) | instid1(VALU_DEP_2)
	v_cmp_gt_i32_e64 s2, s5, v4
	s_waitcnt lgkmcnt(0)
	v_cmp_gt_i64_e32 vcc_lo, s[8:9], v[0:1]
	s_and_b32 s2, vcc_lo, s2
	s_delay_alu instid0(SALU_CYCLE_1)
	s_and_saveexec_b32 s3, s2
	s_cbranch_execz .LBB19_394
; %bb.5:
	s_ashr_i32 s6, s4, 31
	s_load_b64 s[2:3], s[0:1], 0x0
	v_mul_lo_u32 v2, v1, s4
	v_mad_u64_u32 v[5:6], null, v0, s4, 0
	v_mul_lo_u32 v3, v0, s6
	s_delay_alu instid0(VALU_DEP_1) | instskip(SKIP_1) | instid1(VALU_DEP_2)
	v_add3_u32 v6, v6, v3, v2
	v_dual_mov_b32 v3, 0 :: v_dual_lshlrev_b32 v2, 5, v4
	v_lshlrev_b64 v[5:6], 1, v[5:6]
	s_delay_alu instid0(VALU_DEP_2) | instskip(SKIP_1) | instid1(VALU_DEP_2)
	v_lshlrev_b64 v[7:8], 1, v[2:3]
	s_waitcnt lgkmcnt(0)
	v_add_co_u32 v3, vcc_lo, s2, v5
	s_delay_alu instid0(VALU_DEP_3) | instskip(SKIP_1) | instid1(VALU_DEP_2)
	v_add_co_ci_u32_e32 v6, vcc_lo, s3, v6, vcc_lo
	s_mov_b32 s2, exec_lo
	v_add_co_u32 v5, vcc_lo, v3, v7
	s_delay_alu instid0(VALU_DEP_2)
	v_add_co_ci_u32_e32 v6, vcc_lo, v6, v8, vcc_lo
	s_clause 0x3
	global_load_b128 v[9:12], v[5:6], off
	global_load_b128 v[29:32], v[5:6], off offset:16
	global_load_b128 v[53:56], v[5:6], off offset:32
	;; [unrolled: 1-line block ×3, first 2 shown]
	s_waitcnt vmcnt(3)
	v_lshrrev_b32_e32 v3, 16, v9
	v_cvt_f32_f16_e32 v5, v9
	v_lshrrev_b32_e32 v6, 16, v10
	v_cvt_f32_f16_e32 v10, v10
	v_cvt_f32_f16_e32 v17, v11
	;; [unrolled: 1-line block ×3, first 2 shown]
	v_lshrrev_b32_e32 v3, 16, v11
	v_cvt_f32_f16_e32 v15, v6
	v_lshrrev_b32_e32 v7, 16, v12
	v_cvt_f32_f16_e32 v23, v12
	v_max3_f32 v6, |v5|, 0, |v8|
	v_cvt_f32_f16_e32 v21, v3
	s_waitcnt vmcnt(2)
	v_cvt_f32_f16_e32 v35, v30
	v_cvt_f32_f16_e32 v27, v7
	v_lshrrev_b32_e32 v7, 16, v30
	v_max3_f32 v3, v6, |v10|, |v15|
	v_lshrrev_b32_e32 v6, 16, v29
	v_cvt_f32_f16_e32 v29, v29
	v_cvt_f32_f16_e32 v41, v31
	;; [unrolled: 1-line block ×3, first 2 shown]
	v_max3_f32 v3, v3, |v17|, |v21|
	v_cvt_f32_f16_e32 v33, v6
	v_lshrrev_b32_e32 v6, 16, v31
	v_lshrrev_b32_e32 v7, 16, v32
	v_cvt_f32_f16_e32 v46, v32
	v_max3_f32 v3, v3, |v23|, |v27|
	s_waitcnt vmcnt(1)
	v_cvt_f32_f16_e32 v49, v54
	v_cvt_f32_f16_e32 v43, v6
	v_lshrrev_b32_e32 v6, 16, v53
	v_cvt_f32_f16_e32 v48, v7
	v_max3_f32 v3, v3, |v29|, |v33|
	v_cvt_f32_f16_e32 v53, v53
	v_lshrrev_b32_e32 v7, 16, v54
	v_cvt_f32_f16_e32 v52, v6
	v_lshrrev_b32_e32 v6, 16, v55
	v_max3_f32 v3, v3, |v35|, |v39|
	v_cvt_f32_f16_e32 v42, v55
	v_cvt_f32_f16_e32 v47, v7
	v_lshrrev_b32_e32 v7, 16, v56
	v_cvt_f32_f16_e32 v40, v6
	v_max3_f32 v3, v3, |v41|, |v43|
	v_cvt_f32_f16_e32 v37, v56
	s_waitcnt vmcnt(0)
	v_lshrrev_b32_e32 v6, 16, v57
	v_cvt_f32_f16_e32 v34, v7
	v_cvt_f32_f16_e32 v32, v57
	v_max3_f32 v3, v3, |v46|, |v48|
	v_lshrrev_b32_e32 v7, 16, v58
	v_cvt_f32_f16_e32 v28, v6
	v_cvt_f32_f16_e32 v26, v58
	v_lshrrev_b32_e32 v6, 16, v59
	v_max3_f32 v3, v3, |v53|, |v52|
	v_cvt_f32_f16_e32 v22, v7
	v_cvt_f32_f16_e32 v20, v59
	v_lshrrev_b32_e32 v7, 16, v60
	v_cvt_f32_f16_e32 v16, v6
	v_max3_f32 v3, v3, |v49|, |v47|
	v_cvt_f32_f16_e32 v14, v60
	s_delay_alu instid0(VALU_DEP_4) | instskip(NEXT) | instid1(VALU_DEP_3)
	v_cvt_f32_f16_e32 v9, v7
	v_max3_f32 v3, v3, |v42|, |v40|
	s_delay_alu instid0(VALU_DEP_1) | instskip(NEXT) | instid1(VALU_DEP_1)
	v_max3_f32 v3, v3, |v37|, |v34|
	v_max3_f32 v3, v3, |v32|, |v28|
	s_delay_alu instid0(VALU_DEP_1) | instskip(NEXT) | instid1(VALU_DEP_1)
	v_max3_f32 v3, v3, |v26|, |v22|
	v_max3_f32 v3, v3, |v20|, |v16|
	s_delay_alu instid0(VALU_DEP_1) | instskip(NEXT) | instid1(VALU_DEP_1)
	v_max3_f32 v3, v3, |v14|, |v9|
	v_mul_f32_e32 v3, 0x3e800000, v3
	s_delay_alu instid0(VALU_DEP_1) | instskip(SKIP_1) | instid1(VALU_DEP_2)
	v_and_b32_e32 v6, 0x7fffff, v3
	v_bfe_u32 v3, v3, 23, 8
	v_cmp_ne_u32_e32 vcc_lo, 0, v6
	s_delay_alu instid0(VALU_DEP_2) | instskip(SKIP_1) | instid1(VALU_DEP_2)
	v_add_co_ci_u32_e32 v6, vcc_lo, 0, v3, vcc_lo
	v_cmp_ne_u32_e32 vcc_lo, 0xff, v3
	v_lshlrev_b32_e32 v6, 23, v6
	s_delay_alu instid0(VALU_DEP_1) | instskip(NEXT) | instid1(VALU_DEP_1)
	v_cndmask_b32_e32 v3, 0x7f800000, v6, vcc_lo
	v_div_scale_f32 v6, null, v3, v3, 1.0
	v_div_scale_f32 v12, vcc_lo, 1.0, v3, 1.0
	s_delay_alu instid0(VALU_DEP_2) | instskip(SKIP_2) | instid1(VALU_DEP_1)
	v_rcp_f32_e32 v7, v6
	s_waitcnt_depctr 0xfff
	v_fma_f32 v11, -v6, v7, 1.0
	v_fmac_f32_e32 v7, v11, v7
	s_delay_alu instid0(VALU_DEP_1) | instskip(NEXT) | instid1(VALU_DEP_1)
	v_mul_f32_e32 v11, v12, v7
	v_fma_f32 v13, -v6, v11, v12
	s_delay_alu instid0(VALU_DEP_1) | instskip(NEXT) | instid1(VALU_DEP_1)
	v_fmac_f32_e32 v11, v13, v7
	v_fma_f32 v6, -v6, v11, v12
	s_delay_alu instid0(VALU_DEP_1) | instskip(SKIP_2) | instid1(VALU_DEP_3)
	v_div_fmas_f32 v6, v6, v7, v11
	v_cmp_neq_f32_e32 vcc_lo, 0, v3
	v_mov_b32_e32 v7, 7
	v_div_fixup_f32 v6, v6, v3, 1.0
	s_delay_alu instid0(VALU_DEP_1) | instskip(NEXT) | instid1(VALU_DEP_1)
	v_cndmask_b32_e32 v11, 0, v6, vcc_lo
	v_dual_mul_f32 v6, v11, v5 :: v_dual_mov_b32 v5, 7
	s_delay_alu instid0(VALU_DEP_1)
	v_cmpx_nle_f32_e64 0x40a00000, |v6|
	s_cbranch_execz .LBB19_17
; %bb.6:
	v_mov_b32_e32 v5, 6
	s_mov_b32 s3, exec_lo
	v_cmpx_nle_f32_e64 0x40600000, |v6|
	s_cbranch_execz .LBB19_16
; %bb.7:
	v_mov_b32_e32 v5, 5
	s_mov_b32 s6, exec_lo
	;; [unrolled: 5-line block ×5, first 2 shown]
	v_cmpx_nle_f32_e64 0x3f400000, |v6|
; %bb.11:
	v_cmp_le_f32_e64 s12, 0x3e800000, |v6|
	s_delay_alu instid0(VALU_DEP_1)
	v_cndmask_b32_e64 v5, 0, 1, s12
; %bb.12:
	s_or_b32 exec_lo, exec_lo, s11
.LBB19_13:
	s_delay_alu instid0(SALU_CYCLE_1)
	s_or_b32 exec_lo, exec_lo, s10
.LBB19_14:
	s_delay_alu instid0(SALU_CYCLE_1)
	s_or_b32 exec_lo, exec_lo, s9
.LBB19_15:
	s_delay_alu instid0(SALU_CYCLE_1)
	s_or_b32 exec_lo, exec_lo, s6
.LBB19_16:
	s_delay_alu instid0(SALU_CYCLE_1)
	s_or_b32 exec_lo, exec_lo, s3
.LBB19_17:
	s_delay_alu instid0(SALU_CYCLE_1) | instskip(SKIP_2) | instid1(VALU_DEP_1)
	s_or_b32 exec_lo, exec_lo, s2
	v_mul_f32_e32 v8, v11, v8
	s_mov_b32 s2, exec_lo
	v_cmpx_nle_f32_e64 0x40a00000, |v8|
	s_cbranch_execz .LBB19_29
; %bb.18:
	v_mov_b32_e32 v7, 6
	s_mov_b32 s3, exec_lo
	v_cmpx_nle_f32_e64 0x40600000, |v8|
	s_cbranch_execz .LBB19_28
; %bb.19:
	v_mov_b32_e32 v7, 5
	;; [unrolled: 5-line block ×5, first 2 shown]
	s_mov_b32 s11, exec_lo
	v_cmpx_nle_f32_e64 0x3f400000, |v8|
; %bb.23:
	v_cmp_le_f32_e64 s12, 0x3e800000, |v8|
	s_delay_alu instid0(VALU_DEP_1)
	v_cndmask_b32_e64 v7, 0, 1, s12
; %bb.24:
	s_or_b32 exec_lo, exec_lo, s11
.LBB19_25:
	s_delay_alu instid0(SALU_CYCLE_1)
	s_or_b32 exec_lo, exec_lo, s10
.LBB19_26:
	s_delay_alu instid0(SALU_CYCLE_1)
	s_or_b32 exec_lo, exec_lo, s9
.LBB19_27:
	s_delay_alu instid0(SALU_CYCLE_1)
	s_or_b32 exec_lo, exec_lo, s6
.LBB19_28:
	s_delay_alu instid0(SALU_CYCLE_1)
	s_or_b32 exec_lo, exec_lo, s3
.LBB19_29:
	s_delay_alu instid0(SALU_CYCLE_1) | instskip(SKIP_3) | instid1(VALU_DEP_2)
	s_or_b32 exec_lo, exec_lo, s2
	v_dual_mul_f32 v12, v11, v10 :: v_dual_mov_b32 v13, 7
	v_mov_b32_e32 v10, 7
	s_mov_b32 s2, exec_lo
	v_cmpx_nle_f32_e64 0x40a00000, |v12|
	s_cbranch_execz .LBB19_41
; %bb.30:
	v_mov_b32_e32 v13, 6
	s_mov_b32 s3, exec_lo
	v_cmpx_nle_f32_e64 0x40600000, |v12|
	s_cbranch_execz .LBB19_40
; %bb.31:
	;; [unrolled: 5-line block ×5, first 2 shown]
	v_mov_b32_e32 v13, 2
	s_mov_b32 s11, exec_lo
	v_cmpx_nle_f32_e64 0x3f400000, |v12|
; %bb.35:
	v_cmp_le_f32_e64 s12, 0x3e800000, |v12|
	s_delay_alu instid0(VALU_DEP_1)
	v_cndmask_b32_e64 v13, 0, 1, s12
; %bb.36:
	s_or_b32 exec_lo, exec_lo, s11
.LBB19_37:
	s_delay_alu instid0(SALU_CYCLE_1)
	s_or_b32 exec_lo, exec_lo, s10
.LBB19_38:
	s_delay_alu instid0(SALU_CYCLE_1)
	s_or_b32 exec_lo, exec_lo, s9
.LBB19_39:
	s_delay_alu instid0(SALU_CYCLE_1)
	s_or_b32 exec_lo, exec_lo, s6
.LBB19_40:
	s_delay_alu instid0(SALU_CYCLE_1)
	s_or_b32 exec_lo, exec_lo, s3
.LBB19_41:
	s_delay_alu instid0(SALU_CYCLE_1) | instskip(SKIP_2) | instid1(VALU_DEP_1)
	s_or_b32 exec_lo, exec_lo, s2
	v_mul_f32_e32 v15, v11, v15
	s_mov_b32 s2, exec_lo
	v_cmpx_nle_f32_e64 0x40a00000, |v15|
	s_cbranch_execz .LBB19_53
; %bb.42:
	v_mov_b32_e32 v10, 6
	s_mov_b32 s3, exec_lo
	v_cmpx_nle_f32_e64 0x40600000, |v15|
	s_cbranch_execz .LBB19_52
; %bb.43:
	v_mov_b32_e32 v10, 5
	;; [unrolled: 5-line block ×5, first 2 shown]
	s_mov_b32 s11, exec_lo
	v_cmpx_nle_f32_e64 0x3f400000, |v15|
; %bb.47:
	v_cmp_le_f32_e64 s12, 0x3e800000, |v15|
	s_delay_alu instid0(VALU_DEP_1)
	v_cndmask_b32_e64 v10, 0, 1, s12
; %bb.48:
	s_or_b32 exec_lo, exec_lo, s11
.LBB19_49:
	s_delay_alu instid0(SALU_CYCLE_1)
	s_or_b32 exec_lo, exec_lo, s10
.LBB19_50:
	s_delay_alu instid0(SALU_CYCLE_1)
	s_or_b32 exec_lo, exec_lo, s9
.LBB19_51:
	s_delay_alu instid0(SALU_CYCLE_1)
	s_or_b32 exec_lo, exec_lo, s6
.LBB19_52:
	s_delay_alu instid0(SALU_CYCLE_1)
	s_or_b32 exec_lo, exec_lo, s3
.LBB19_53:
	s_delay_alu instid0(SALU_CYCLE_1) | instskip(SKIP_3) | instid1(VALU_DEP_2)
	s_or_b32 exec_lo, exec_lo, s2
	v_dual_mul_f32 v19, v11, v17 :: v_dual_mov_b32 v18, 7
	v_mov_b32_e32 v17, 7
	s_mov_b32 s2, exec_lo
	v_cmpx_nle_f32_e64 0x40a00000, |v19|
	s_cbranch_execz .LBB19_65
; %bb.54:
	v_mov_b32_e32 v17, 6
	s_mov_b32 s3, exec_lo
	v_cmpx_nle_f32_e64 0x40600000, |v19|
	s_cbranch_execz .LBB19_64
; %bb.55:
	;; [unrolled: 5-line block ×5, first 2 shown]
	v_mov_b32_e32 v17, 2
	s_mov_b32 s11, exec_lo
	v_cmpx_nle_f32_e64 0x3f400000, |v19|
; %bb.59:
	v_cmp_le_f32_e64 s12, 0x3e800000, |v19|
	s_delay_alu instid0(VALU_DEP_1)
	v_cndmask_b32_e64 v17, 0, 1, s12
; %bb.60:
	s_or_b32 exec_lo, exec_lo, s11
.LBB19_61:
	s_delay_alu instid0(SALU_CYCLE_1)
	s_or_b32 exec_lo, exec_lo, s10
.LBB19_62:
	s_delay_alu instid0(SALU_CYCLE_1)
	s_or_b32 exec_lo, exec_lo, s9
.LBB19_63:
	s_delay_alu instid0(SALU_CYCLE_1)
	s_or_b32 exec_lo, exec_lo, s6
.LBB19_64:
	s_delay_alu instid0(SALU_CYCLE_1)
	s_or_b32 exec_lo, exec_lo, s3
.LBB19_65:
	s_delay_alu instid0(SALU_CYCLE_1) | instskip(SKIP_2) | instid1(VALU_DEP_1)
	s_or_b32 exec_lo, exec_lo, s2
	v_mul_f32_e32 v21, v11, v21
	s_mov_b32 s2, exec_lo
	v_cmpx_nle_f32_e64 0x40a00000, |v21|
	s_cbranch_execz .LBB19_77
; %bb.66:
	v_mov_b32_e32 v18, 6
	s_mov_b32 s3, exec_lo
	v_cmpx_nle_f32_e64 0x40600000, |v21|
	s_cbranch_execz .LBB19_76
; %bb.67:
	v_mov_b32_e32 v18, 5
	;; [unrolled: 5-line block ×5, first 2 shown]
	s_mov_b32 s11, exec_lo
	v_cmpx_nle_f32_e64 0x3f400000, |v21|
; %bb.71:
	v_cmp_le_f32_e64 s12, 0x3e800000, |v21|
	s_delay_alu instid0(VALU_DEP_1)
	v_cndmask_b32_e64 v18, 0, 1, s12
; %bb.72:
	s_or_b32 exec_lo, exec_lo, s11
.LBB19_73:
	s_delay_alu instid0(SALU_CYCLE_1)
	s_or_b32 exec_lo, exec_lo, s10
.LBB19_74:
	s_delay_alu instid0(SALU_CYCLE_1)
	s_or_b32 exec_lo, exec_lo, s9
.LBB19_75:
	s_delay_alu instid0(SALU_CYCLE_1)
	s_or_b32 exec_lo, exec_lo, s6
.LBB19_76:
	s_delay_alu instid0(SALU_CYCLE_1)
	s_or_b32 exec_lo, exec_lo, s3
.LBB19_77:
	s_delay_alu instid0(SALU_CYCLE_1) | instskip(SKIP_3) | instid1(VALU_DEP_2)
	s_or_b32 exec_lo, exec_lo, s2
	v_dual_mul_f32 v25, v11, v23 :: v_dual_mov_b32 v24, 7
	v_mov_b32_e32 v23, 7
	s_mov_b32 s2, exec_lo
	v_cmpx_nle_f32_e64 0x40a00000, |v25|
	s_cbranch_execz .LBB19_89
; %bb.78:
	v_mov_b32_e32 v24, 6
	s_mov_b32 s3, exec_lo
	v_cmpx_nle_f32_e64 0x40600000, |v25|
	s_cbranch_execz .LBB19_88
; %bb.79:
	v_mov_b32_e32 v24, 5
	s_mov_b32 s6, exec_lo
	v_cmpx_nle_f32_e64 0x40200000, |v25|
	s_cbranch_execz .LBB19_87
; %bb.80:
	v_mov_b32_e32 v24, 4
	s_mov_b32 s9, exec_lo
	v_cmpx_nle_f32_e64 0x3fe00000, |v25|
	s_cbranch_execz .LBB19_86
; %bb.81:
	v_mov_b32_e32 v24, 3
	s_mov_b32 s10, exec_lo
	v_cmpx_nle_f32_e64 0x3fa00000, |v25|
	s_cbranch_execz .LBB19_85
; %bb.82:
	v_mov_b32_e32 v24, 2
	s_mov_b32 s11, exec_lo
	v_cmpx_nle_f32_e64 0x3f400000, |v25|
; %bb.83:
	v_cmp_le_f32_e64 s12, 0x3e800000, |v25|
	s_delay_alu instid0(VALU_DEP_1)
	v_cndmask_b32_e64 v24, 0, 1, s12
; %bb.84:
	s_or_b32 exec_lo, exec_lo, s11
.LBB19_85:
	s_delay_alu instid0(SALU_CYCLE_1)
	s_or_b32 exec_lo, exec_lo, s10
.LBB19_86:
	s_delay_alu instid0(SALU_CYCLE_1)
	s_or_b32 exec_lo, exec_lo, s9
.LBB19_87:
	s_delay_alu instid0(SALU_CYCLE_1)
	s_or_b32 exec_lo, exec_lo, s6
.LBB19_88:
	s_delay_alu instid0(SALU_CYCLE_1)
	s_or_b32 exec_lo, exec_lo, s3
.LBB19_89:
	s_delay_alu instid0(SALU_CYCLE_1) | instskip(SKIP_2) | instid1(VALU_DEP_1)
	s_or_b32 exec_lo, exec_lo, s2
	v_mul_f32_e32 v27, v11, v27
	s_mov_b32 s2, exec_lo
	v_cmpx_nle_f32_e64 0x40a00000, |v27|
	s_cbranch_execz .LBB19_101
; %bb.90:
	v_mov_b32_e32 v23, 6
	s_mov_b32 s3, exec_lo
	v_cmpx_nle_f32_e64 0x40600000, |v27|
	s_cbranch_execz .LBB19_100
; %bb.91:
	v_mov_b32_e32 v23, 5
	;; [unrolled: 5-line block ×5, first 2 shown]
	s_mov_b32 s11, exec_lo
	v_cmpx_nle_f32_e64 0x3f400000, |v27|
; %bb.95:
	v_cmp_le_f32_e64 s12, 0x3e800000, |v27|
	s_delay_alu instid0(VALU_DEP_1)
	v_cndmask_b32_e64 v23, 0, 1, s12
; %bb.96:
	s_or_b32 exec_lo, exec_lo, s11
.LBB19_97:
	s_delay_alu instid0(SALU_CYCLE_1)
	s_or_b32 exec_lo, exec_lo, s10
.LBB19_98:
	s_delay_alu instid0(SALU_CYCLE_1)
	s_or_b32 exec_lo, exec_lo, s9
.LBB19_99:
	s_delay_alu instid0(SALU_CYCLE_1)
	s_or_b32 exec_lo, exec_lo, s6
.LBB19_100:
	s_delay_alu instid0(SALU_CYCLE_1)
	s_or_b32 exec_lo, exec_lo, s3
.LBB19_101:
	s_delay_alu instid0(SALU_CYCLE_1) | instskip(SKIP_3) | instid1(VALU_DEP_2)
	s_or_b32 exec_lo, exec_lo, s2
	v_dual_mul_f32 v31, v11, v29 :: v_dual_mov_b32 v30, 7
	v_mov_b32_e32 v29, 7
	s_mov_b32 s2, exec_lo
	v_cmpx_nle_f32_e64 0x40a00000, |v31|
	s_cbranch_execz .LBB19_113
; %bb.102:
	v_mov_b32_e32 v30, 6
	s_mov_b32 s3, exec_lo
	v_cmpx_nle_f32_e64 0x40600000, |v31|
	s_cbranch_execz .LBB19_112
; %bb.103:
	;; [unrolled: 5-line block ×5, first 2 shown]
	v_mov_b32_e32 v30, 2
	s_mov_b32 s11, exec_lo
	v_cmpx_nle_f32_e64 0x3f400000, |v31|
; %bb.107:
	v_cmp_le_f32_e64 s12, 0x3e800000, |v31|
	s_delay_alu instid0(VALU_DEP_1)
	v_cndmask_b32_e64 v30, 0, 1, s12
; %bb.108:
	s_or_b32 exec_lo, exec_lo, s11
.LBB19_109:
	s_delay_alu instid0(SALU_CYCLE_1)
	s_or_b32 exec_lo, exec_lo, s10
.LBB19_110:
	s_delay_alu instid0(SALU_CYCLE_1)
	s_or_b32 exec_lo, exec_lo, s9
.LBB19_111:
	s_delay_alu instid0(SALU_CYCLE_1)
	s_or_b32 exec_lo, exec_lo, s6
.LBB19_112:
	s_delay_alu instid0(SALU_CYCLE_1)
	s_or_b32 exec_lo, exec_lo, s3
.LBB19_113:
	s_delay_alu instid0(SALU_CYCLE_1) | instskip(SKIP_2) | instid1(VALU_DEP_1)
	s_or_b32 exec_lo, exec_lo, s2
	v_mul_f32_e32 v33, v11, v33
	s_mov_b32 s2, exec_lo
	v_cmpx_nle_f32_e64 0x40a00000, |v33|
	s_cbranch_execz .LBB19_125
; %bb.114:
	v_mov_b32_e32 v29, 6
	s_mov_b32 s3, exec_lo
	v_cmpx_nle_f32_e64 0x40600000, |v33|
	s_cbranch_execz .LBB19_124
; %bb.115:
	v_mov_b32_e32 v29, 5
	;; [unrolled: 5-line block ×5, first 2 shown]
	s_mov_b32 s11, exec_lo
	v_cmpx_nle_f32_e64 0x3f400000, |v33|
; %bb.119:
	v_cmp_le_f32_e64 s12, 0x3e800000, |v33|
	s_delay_alu instid0(VALU_DEP_1)
	v_cndmask_b32_e64 v29, 0, 1, s12
; %bb.120:
	s_or_b32 exec_lo, exec_lo, s11
.LBB19_121:
	s_delay_alu instid0(SALU_CYCLE_1)
	s_or_b32 exec_lo, exec_lo, s10
.LBB19_122:
	s_delay_alu instid0(SALU_CYCLE_1)
	s_or_b32 exec_lo, exec_lo, s9
.LBB19_123:
	s_delay_alu instid0(SALU_CYCLE_1)
	s_or_b32 exec_lo, exec_lo, s6
.LBB19_124:
	s_delay_alu instid0(SALU_CYCLE_1)
	s_or_b32 exec_lo, exec_lo, s3
.LBB19_125:
	s_delay_alu instid0(SALU_CYCLE_1) | instskip(SKIP_3) | instid1(VALU_DEP_2)
	s_or_b32 exec_lo, exec_lo, s2
	v_dual_mul_f32 v38, v11, v35 :: v_dual_mov_b32 v35, 7
	v_mov_b32_e32 v36, 7
	s_mov_b32 s2, exec_lo
	v_cmpx_nle_f32_e64 0x40a00000, |v38|
	s_cbranch_execz .LBB19_137
; %bb.126:
	v_mov_b32_e32 v36, 6
	s_mov_b32 s3, exec_lo
	v_cmpx_nle_f32_e64 0x40600000, |v38|
	s_cbranch_execz .LBB19_136
; %bb.127:
	;; [unrolled: 5-line block ×5, first 2 shown]
	v_mov_b32_e32 v36, 2
	s_mov_b32 s11, exec_lo
	v_cmpx_nle_f32_e64 0x3f400000, |v38|
; %bb.131:
	v_cmp_le_f32_e64 s12, 0x3e800000, |v38|
	s_delay_alu instid0(VALU_DEP_1)
	v_cndmask_b32_e64 v36, 0, 1, s12
; %bb.132:
	s_or_b32 exec_lo, exec_lo, s11
.LBB19_133:
	s_delay_alu instid0(SALU_CYCLE_1)
	s_or_b32 exec_lo, exec_lo, s10
.LBB19_134:
	s_delay_alu instid0(SALU_CYCLE_1)
	s_or_b32 exec_lo, exec_lo, s9
.LBB19_135:
	s_delay_alu instid0(SALU_CYCLE_1)
	s_or_b32 exec_lo, exec_lo, s6
.LBB19_136:
	s_delay_alu instid0(SALU_CYCLE_1)
	s_or_b32 exec_lo, exec_lo, s3
.LBB19_137:
	s_delay_alu instid0(SALU_CYCLE_1) | instskip(SKIP_2) | instid1(VALU_DEP_1)
	s_or_b32 exec_lo, exec_lo, s2
	v_mul_f32_e32 v39, v11, v39
	s_mov_b32 s2, exec_lo
	v_cmpx_nle_f32_e64 0x40a00000, |v39|
	s_cbranch_execz .LBB19_149
; %bb.138:
	v_mov_b32_e32 v35, 6
	s_mov_b32 s3, exec_lo
	v_cmpx_nle_f32_e64 0x40600000, |v39|
	s_cbranch_execz .LBB19_148
; %bb.139:
	v_mov_b32_e32 v35, 5
	;; [unrolled: 5-line block ×5, first 2 shown]
	s_mov_b32 s11, exec_lo
	v_cmpx_nle_f32_e64 0x3f400000, |v39|
; %bb.143:
	v_cmp_le_f32_e64 s12, 0x3e800000, |v39|
	s_delay_alu instid0(VALU_DEP_1)
	v_cndmask_b32_e64 v35, 0, 1, s12
; %bb.144:
	s_or_b32 exec_lo, exec_lo, s11
.LBB19_145:
	s_delay_alu instid0(SALU_CYCLE_1)
	s_or_b32 exec_lo, exec_lo, s10
.LBB19_146:
	s_delay_alu instid0(SALU_CYCLE_1)
	s_or_b32 exec_lo, exec_lo, s9
.LBB19_147:
	s_delay_alu instid0(SALU_CYCLE_1)
	s_or_b32 exec_lo, exec_lo, s6
.LBB19_148:
	s_delay_alu instid0(SALU_CYCLE_1)
	s_or_b32 exec_lo, exec_lo, s3
.LBB19_149:
	s_delay_alu instid0(SALU_CYCLE_1) | instskip(SKIP_3) | instid1(VALU_DEP_2)
	s_or_b32 exec_lo, exec_lo, s2
	v_dual_mul_f32 v44, v11, v41 :: v_dual_mov_b32 v41, 7
	v_mov_b32_e32 v45, 7
	s_mov_b32 s2, exec_lo
	v_cmpx_nle_f32_e64 0x40a00000, |v44|
	s_cbranch_execz .LBB19_161
; %bb.150:
	v_mov_b32_e32 v45, 6
	s_mov_b32 s3, exec_lo
	v_cmpx_nle_f32_e64 0x40600000, |v44|
	s_cbranch_execz .LBB19_160
; %bb.151:
	;; [unrolled: 5-line block ×5, first 2 shown]
	v_mov_b32_e32 v45, 2
	s_mov_b32 s11, exec_lo
	v_cmpx_nle_f32_e64 0x3f400000, |v44|
; %bb.155:
	v_cmp_le_f32_e64 s12, 0x3e800000, |v44|
	s_delay_alu instid0(VALU_DEP_1)
	v_cndmask_b32_e64 v45, 0, 1, s12
; %bb.156:
	s_or_b32 exec_lo, exec_lo, s11
.LBB19_157:
	s_delay_alu instid0(SALU_CYCLE_1)
	s_or_b32 exec_lo, exec_lo, s10
.LBB19_158:
	s_delay_alu instid0(SALU_CYCLE_1)
	s_or_b32 exec_lo, exec_lo, s9
.LBB19_159:
	s_delay_alu instid0(SALU_CYCLE_1)
	s_or_b32 exec_lo, exec_lo, s6
.LBB19_160:
	s_delay_alu instid0(SALU_CYCLE_1)
	s_or_b32 exec_lo, exec_lo, s3
.LBB19_161:
	s_delay_alu instid0(SALU_CYCLE_1) | instskip(SKIP_2) | instid1(VALU_DEP_1)
	s_or_b32 exec_lo, exec_lo, s2
	v_mul_f32_e32 v43, v11, v43
	s_mov_b32 s2, exec_lo
	v_cmpx_nle_f32_e64 0x40a00000, |v43|
	s_cbranch_execz .LBB19_173
; %bb.162:
	v_mov_b32_e32 v41, 6
	s_mov_b32 s3, exec_lo
	v_cmpx_nle_f32_e64 0x40600000, |v43|
	s_cbranch_execz .LBB19_172
; %bb.163:
	v_mov_b32_e32 v41, 5
	;; [unrolled: 5-line block ×5, first 2 shown]
	s_mov_b32 s11, exec_lo
	v_cmpx_nle_f32_e64 0x3f400000, |v43|
; %bb.167:
	v_cmp_le_f32_e64 s12, 0x3e800000, |v43|
	s_delay_alu instid0(VALU_DEP_1)
	v_cndmask_b32_e64 v41, 0, 1, s12
; %bb.168:
	s_or_b32 exec_lo, exec_lo, s11
.LBB19_169:
	s_delay_alu instid0(SALU_CYCLE_1)
	s_or_b32 exec_lo, exec_lo, s10
.LBB19_170:
	s_delay_alu instid0(SALU_CYCLE_1)
	s_or_b32 exec_lo, exec_lo, s9
.LBB19_171:
	s_delay_alu instid0(SALU_CYCLE_1)
	s_or_b32 exec_lo, exec_lo, s6
.LBB19_172:
	s_delay_alu instid0(SALU_CYCLE_1)
	s_or_b32 exec_lo, exec_lo, s3
.LBB19_173:
	s_delay_alu instid0(SALU_CYCLE_1) | instskip(SKIP_3) | instid1(VALU_DEP_2)
	s_or_b32 exec_lo, exec_lo, s2
	v_dual_mul_f32 v51, v11, v46 :: v_dual_mov_b32 v46, 7
	v_mov_b32_e32 v50, 7
	s_mov_b32 s2, exec_lo
	v_cmpx_nle_f32_e64 0x40a00000, |v51|
	s_cbranch_execz .LBB19_185
; %bb.174:
	v_mov_b32_e32 v50, 6
	s_mov_b32 s3, exec_lo
	v_cmpx_nle_f32_e64 0x40600000, |v51|
	s_cbranch_execz .LBB19_184
; %bb.175:
	;; [unrolled: 5-line block ×5, first 2 shown]
	v_mov_b32_e32 v50, 2
	s_mov_b32 s11, exec_lo
	v_cmpx_nle_f32_e64 0x3f400000, |v51|
; %bb.179:
	v_cmp_le_f32_e64 s12, 0x3e800000, |v51|
	s_delay_alu instid0(VALU_DEP_1)
	v_cndmask_b32_e64 v50, 0, 1, s12
; %bb.180:
	s_or_b32 exec_lo, exec_lo, s11
.LBB19_181:
	s_delay_alu instid0(SALU_CYCLE_1)
	s_or_b32 exec_lo, exec_lo, s10
.LBB19_182:
	s_delay_alu instid0(SALU_CYCLE_1)
	s_or_b32 exec_lo, exec_lo, s9
.LBB19_183:
	s_delay_alu instid0(SALU_CYCLE_1)
	s_or_b32 exec_lo, exec_lo, s6
.LBB19_184:
	s_delay_alu instid0(SALU_CYCLE_1)
	s_or_b32 exec_lo, exec_lo, s3
.LBB19_185:
	s_delay_alu instid0(SALU_CYCLE_1) | instskip(SKIP_2) | instid1(VALU_DEP_1)
	s_or_b32 exec_lo, exec_lo, s2
	v_mul_f32_e32 v48, v11, v48
	s_mov_b32 s2, exec_lo
	v_cmpx_nle_f32_e64 0x40a00000, |v48|
	s_cbranch_execz .LBB19_197
; %bb.186:
	v_mov_b32_e32 v46, 6
	s_mov_b32 s3, exec_lo
	v_cmpx_nle_f32_e64 0x40600000, |v48|
	s_cbranch_execz .LBB19_196
; %bb.187:
	v_mov_b32_e32 v46, 5
	s_mov_b32 s6, exec_lo
	v_cmpx_nle_f32_e64 0x40200000, |v48|
	s_cbranch_execz .LBB19_195
; %bb.188:
	v_mov_b32_e32 v46, 4
	s_mov_b32 s9, exec_lo
	v_cmpx_nle_f32_e64 0x3fe00000, |v48|
	s_cbranch_execz .LBB19_194
; %bb.189:
	v_mov_b32_e32 v46, 3
	s_mov_b32 s10, exec_lo
	v_cmpx_nle_f32_e64 0x3fa00000, |v48|
	s_cbranch_execz .LBB19_193
; %bb.190:
	v_mov_b32_e32 v46, 2
	s_mov_b32 s11, exec_lo
	v_cmpx_nle_f32_e64 0x3f400000, |v48|
; %bb.191:
	v_cmp_le_f32_e64 s12, 0x3e800000, |v48|
	s_delay_alu instid0(VALU_DEP_1)
	v_cndmask_b32_e64 v46, 0, 1, s12
; %bb.192:
	s_or_b32 exec_lo, exec_lo, s11
.LBB19_193:
	s_delay_alu instid0(SALU_CYCLE_1)
	s_or_b32 exec_lo, exec_lo, s10
.LBB19_194:
	s_delay_alu instid0(SALU_CYCLE_1)
	s_or_b32 exec_lo, exec_lo, s9
.LBB19_195:
	s_delay_alu instid0(SALU_CYCLE_1)
	s_or_b32 exec_lo, exec_lo, s6
.LBB19_196:
	s_delay_alu instid0(SALU_CYCLE_1)
	s_or_b32 exec_lo, exec_lo, s3
.LBB19_197:
	s_delay_alu instid0(SALU_CYCLE_1) | instskip(SKIP_3) | instid1(VALU_DEP_2)
	s_or_b32 exec_lo, exec_lo, s2
	v_dual_mul_f32 v55, v11, v53 :: v_dual_mov_b32 v54, 7
	v_mov_b32_e32 v53, 7
	s_mov_b32 s2, exec_lo
	v_cmpx_nle_f32_e64 0x40a00000, |v55|
	s_cbranch_execz .LBB19_209
; %bb.198:
	v_mov_b32_e32 v54, 6
	s_mov_b32 s3, exec_lo
	v_cmpx_nle_f32_e64 0x40600000, |v55|
	s_cbranch_execz .LBB19_208
; %bb.199:
	;; [unrolled: 5-line block ×5, first 2 shown]
	v_mov_b32_e32 v54, 2
	s_mov_b32 s11, exec_lo
	v_cmpx_nle_f32_e64 0x3f400000, |v55|
; %bb.203:
	v_cmp_le_f32_e64 s12, 0x3e800000, |v55|
	s_delay_alu instid0(VALU_DEP_1)
	v_cndmask_b32_e64 v54, 0, 1, s12
; %bb.204:
	s_or_b32 exec_lo, exec_lo, s11
.LBB19_205:
	s_delay_alu instid0(SALU_CYCLE_1)
	s_or_b32 exec_lo, exec_lo, s10
.LBB19_206:
	s_delay_alu instid0(SALU_CYCLE_1)
	s_or_b32 exec_lo, exec_lo, s9
.LBB19_207:
	s_delay_alu instid0(SALU_CYCLE_1)
	s_or_b32 exec_lo, exec_lo, s6
.LBB19_208:
	s_delay_alu instid0(SALU_CYCLE_1)
	s_or_b32 exec_lo, exec_lo, s3
.LBB19_209:
	s_delay_alu instid0(SALU_CYCLE_1) | instskip(SKIP_2) | instid1(VALU_DEP_1)
	s_or_b32 exec_lo, exec_lo, s2
	v_mul_f32_e32 v52, v11, v52
	s_mov_b32 s2, exec_lo
	v_cmpx_nle_f32_e64 0x40a00000, |v52|
	s_cbranch_execz .LBB19_221
; %bb.210:
	v_mov_b32_e32 v53, 6
	s_mov_b32 s3, exec_lo
	v_cmpx_nle_f32_e64 0x40600000, |v52|
	s_cbranch_execz .LBB19_220
; %bb.211:
	v_mov_b32_e32 v53, 5
	;; [unrolled: 5-line block ×5, first 2 shown]
	s_mov_b32 s11, exec_lo
	v_cmpx_nle_f32_e64 0x3f400000, |v52|
; %bb.215:
	v_cmp_le_f32_e64 s12, 0x3e800000, |v52|
	s_delay_alu instid0(VALU_DEP_1)
	v_cndmask_b32_e64 v53, 0, 1, s12
; %bb.216:
	s_or_b32 exec_lo, exec_lo, s11
.LBB19_217:
	s_delay_alu instid0(SALU_CYCLE_1)
	s_or_b32 exec_lo, exec_lo, s10
.LBB19_218:
	s_delay_alu instid0(SALU_CYCLE_1)
	s_or_b32 exec_lo, exec_lo, s9
.LBB19_219:
	s_delay_alu instid0(SALU_CYCLE_1)
	s_or_b32 exec_lo, exec_lo, s6
.LBB19_220:
	s_delay_alu instid0(SALU_CYCLE_1)
	s_or_b32 exec_lo, exec_lo, s3
.LBB19_221:
	s_delay_alu instid0(SALU_CYCLE_1) | instskip(SKIP_3) | instid1(VALU_DEP_2)
	s_or_b32 exec_lo, exec_lo, s2
	v_dual_mul_f32 v57, v11, v49 :: v_dual_mov_b32 v56, 7
	v_mov_b32_e32 v49, 7
	s_mov_b32 s2, exec_lo
	v_cmpx_nle_f32_e64 0x40a00000, |v57|
	s_cbranch_execz .LBB19_233
; %bb.222:
	v_mov_b32_e32 v56, 6
	s_mov_b32 s3, exec_lo
	v_cmpx_nle_f32_e64 0x40600000, |v57|
	s_cbranch_execz .LBB19_232
; %bb.223:
	v_mov_b32_e32 v56, 5
	s_mov_b32 s6, exec_lo
	v_cmpx_nle_f32_e64 0x40200000, |v57|
	s_cbranch_execz .LBB19_231
; %bb.224:
	v_mov_b32_e32 v56, 4
	s_mov_b32 s9, exec_lo
	v_cmpx_nle_f32_e64 0x3fe00000, |v57|
	s_cbranch_execz .LBB19_230
; %bb.225:
	v_mov_b32_e32 v56, 3
	s_mov_b32 s10, exec_lo
	v_cmpx_nle_f32_e64 0x3fa00000, |v57|
	s_cbranch_execz .LBB19_229
; %bb.226:
	v_mov_b32_e32 v56, 2
	s_mov_b32 s11, exec_lo
	v_cmpx_nle_f32_e64 0x3f400000, |v57|
; %bb.227:
	v_cmp_le_f32_e64 s12, 0x3e800000, |v57|
	s_delay_alu instid0(VALU_DEP_1)
	v_cndmask_b32_e64 v56, 0, 1, s12
; %bb.228:
	s_or_b32 exec_lo, exec_lo, s11
.LBB19_229:
	s_delay_alu instid0(SALU_CYCLE_1)
	s_or_b32 exec_lo, exec_lo, s10
.LBB19_230:
	s_delay_alu instid0(SALU_CYCLE_1)
	s_or_b32 exec_lo, exec_lo, s9
.LBB19_231:
	s_delay_alu instid0(SALU_CYCLE_1)
	s_or_b32 exec_lo, exec_lo, s6
.LBB19_232:
	s_delay_alu instid0(SALU_CYCLE_1)
	s_or_b32 exec_lo, exec_lo, s3
.LBB19_233:
	s_delay_alu instid0(SALU_CYCLE_1) | instskip(SKIP_2) | instid1(VALU_DEP_1)
	s_or_b32 exec_lo, exec_lo, s2
	v_mul_f32_e32 v47, v11, v47
	s_mov_b32 s2, exec_lo
	v_cmpx_nle_f32_e64 0x40a00000, |v47|
	s_cbranch_execz .LBB19_245
; %bb.234:
	v_mov_b32_e32 v49, 6
	s_mov_b32 s3, exec_lo
	v_cmpx_nle_f32_e64 0x40600000, |v47|
	s_cbranch_execz .LBB19_244
; %bb.235:
	v_mov_b32_e32 v49, 5
	;; [unrolled: 5-line block ×5, first 2 shown]
	s_mov_b32 s11, exec_lo
	v_cmpx_nle_f32_e64 0x3f400000, |v47|
; %bb.239:
	v_cmp_le_f32_e64 s12, 0x3e800000, |v47|
	s_delay_alu instid0(VALU_DEP_1)
	v_cndmask_b32_e64 v49, 0, 1, s12
; %bb.240:
	s_or_b32 exec_lo, exec_lo, s11
.LBB19_241:
	s_delay_alu instid0(SALU_CYCLE_1)
	s_or_b32 exec_lo, exec_lo, s10
.LBB19_242:
	s_delay_alu instid0(SALU_CYCLE_1)
	s_or_b32 exec_lo, exec_lo, s9
.LBB19_243:
	s_delay_alu instid0(SALU_CYCLE_1)
	s_or_b32 exec_lo, exec_lo, s6
.LBB19_244:
	s_delay_alu instid0(SALU_CYCLE_1)
	s_or_b32 exec_lo, exec_lo, s3
.LBB19_245:
	s_delay_alu instid0(SALU_CYCLE_1) | instskip(SKIP_3) | instid1(VALU_DEP_2)
	s_or_b32 exec_lo, exec_lo, s2
	v_dual_mul_f32 v59, v11, v42 :: v_dual_mov_b32 v42, 7
	v_mov_b32_e32 v58, 7
	s_mov_b32 s2, exec_lo
	v_cmpx_nle_f32_e64 0x40a00000, |v59|
	s_cbranch_execz .LBB19_257
; %bb.246:
	v_mov_b32_e32 v58, 6
	s_mov_b32 s3, exec_lo
	v_cmpx_nle_f32_e64 0x40600000, |v59|
	s_cbranch_execz .LBB19_256
; %bb.247:
	;; [unrolled: 5-line block ×5, first 2 shown]
	v_mov_b32_e32 v58, 2
	s_mov_b32 s11, exec_lo
	v_cmpx_nle_f32_e64 0x3f400000, |v59|
; %bb.251:
	v_cmp_le_f32_e64 s12, 0x3e800000, |v59|
	s_delay_alu instid0(VALU_DEP_1)
	v_cndmask_b32_e64 v58, 0, 1, s12
; %bb.252:
	s_or_b32 exec_lo, exec_lo, s11
.LBB19_253:
	s_delay_alu instid0(SALU_CYCLE_1)
	s_or_b32 exec_lo, exec_lo, s10
.LBB19_254:
	s_delay_alu instid0(SALU_CYCLE_1)
	s_or_b32 exec_lo, exec_lo, s9
.LBB19_255:
	s_delay_alu instid0(SALU_CYCLE_1)
	s_or_b32 exec_lo, exec_lo, s6
.LBB19_256:
	s_delay_alu instid0(SALU_CYCLE_1)
	s_or_b32 exec_lo, exec_lo, s3
.LBB19_257:
	s_delay_alu instid0(SALU_CYCLE_1) | instskip(SKIP_2) | instid1(VALU_DEP_1)
	s_or_b32 exec_lo, exec_lo, s2
	v_mul_f32_e32 v40, v11, v40
	s_mov_b32 s2, exec_lo
	v_cmpx_nle_f32_e64 0x40a00000, |v40|
	s_cbranch_execz .LBB19_269
; %bb.258:
	v_mov_b32_e32 v42, 6
	s_mov_b32 s3, exec_lo
	v_cmpx_nle_f32_e64 0x40600000, |v40|
	s_cbranch_execz .LBB19_268
; %bb.259:
	v_mov_b32_e32 v42, 5
	;; [unrolled: 5-line block ×5, first 2 shown]
	s_mov_b32 s11, exec_lo
	v_cmpx_nle_f32_e64 0x3f400000, |v40|
; %bb.263:
	v_cmp_le_f32_e64 s12, 0x3e800000, |v40|
	s_delay_alu instid0(VALU_DEP_1)
	v_cndmask_b32_e64 v42, 0, 1, s12
; %bb.264:
	s_or_b32 exec_lo, exec_lo, s11
.LBB19_265:
	s_delay_alu instid0(SALU_CYCLE_1)
	s_or_b32 exec_lo, exec_lo, s10
.LBB19_266:
	s_delay_alu instid0(SALU_CYCLE_1)
	s_or_b32 exec_lo, exec_lo, s9
.LBB19_267:
	s_delay_alu instid0(SALU_CYCLE_1)
	s_or_b32 exec_lo, exec_lo, s6
.LBB19_268:
	s_delay_alu instid0(SALU_CYCLE_1)
	s_or_b32 exec_lo, exec_lo, s3
.LBB19_269:
	s_delay_alu instid0(SALU_CYCLE_1) | instskip(SKIP_3) | instid1(VALU_DEP_2)
	s_or_b32 exec_lo, exec_lo, s2
	v_dual_mul_f32 v60, v11, v37 :: v_dual_mov_b32 v37, 7
	v_mov_b32_e32 v61, 7
	s_mov_b32 s2, exec_lo
	v_cmpx_nle_f32_e64 0x40a00000, |v60|
	s_cbranch_execz .LBB19_281
; %bb.270:
	v_mov_b32_e32 v61, 6
	s_mov_b32 s3, exec_lo
	v_cmpx_nle_f32_e64 0x40600000, |v60|
	s_cbranch_execz .LBB19_280
; %bb.271:
	;; [unrolled: 5-line block ×5, first 2 shown]
	v_mov_b32_e32 v61, 2
	s_mov_b32 s11, exec_lo
	v_cmpx_nle_f32_e64 0x3f400000, |v60|
; %bb.275:
	v_cmp_le_f32_e64 s12, 0x3e800000, |v60|
	s_delay_alu instid0(VALU_DEP_1)
	v_cndmask_b32_e64 v61, 0, 1, s12
; %bb.276:
	s_or_b32 exec_lo, exec_lo, s11
.LBB19_277:
	s_delay_alu instid0(SALU_CYCLE_1)
	s_or_b32 exec_lo, exec_lo, s10
.LBB19_278:
	s_delay_alu instid0(SALU_CYCLE_1)
	s_or_b32 exec_lo, exec_lo, s9
.LBB19_279:
	s_delay_alu instid0(SALU_CYCLE_1)
	s_or_b32 exec_lo, exec_lo, s6
.LBB19_280:
	s_delay_alu instid0(SALU_CYCLE_1)
	s_or_b32 exec_lo, exec_lo, s3
.LBB19_281:
	s_delay_alu instid0(SALU_CYCLE_1) | instskip(SKIP_2) | instid1(VALU_DEP_1)
	s_or_b32 exec_lo, exec_lo, s2
	v_mul_f32_e32 v34, v11, v34
	s_mov_b32 s2, exec_lo
	v_cmpx_nle_f32_e64 0x40a00000, |v34|
	s_cbranch_execz .LBB19_293
; %bb.282:
	v_mov_b32_e32 v37, 6
	s_mov_b32 s3, exec_lo
	v_cmpx_nle_f32_e64 0x40600000, |v34|
	s_cbranch_execz .LBB19_292
; %bb.283:
	v_mov_b32_e32 v37, 5
	;; [unrolled: 5-line block ×5, first 2 shown]
	s_mov_b32 s11, exec_lo
	v_cmpx_nle_f32_e64 0x3f400000, |v34|
; %bb.287:
	v_cmp_le_f32_e64 s12, 0x3e800000, |v34|
	s_delay_alu instid0(VALU_DEP_1)
	v_cndmask_b32_e64 v37, 0, 1, s12
; %bb.288:
	s_or_b32 exec_lo, exec_lo, s11
.LBB19_289:
	s_delay_alu instid0(SALU_CYCLE_1)
	s_or_b32 exec_lo, exec_lo, s10
.LBB19_290:
	s_delay_alu instid0(SALU_CYCLE_1)
	s_or_b32 exec_lo, exec_lo, s9
.LBB19_291:
	s_delay_alu instid0(SALU_CYCLE_1)
	s_or_b32 exec_lo, exec_lo, s6
.LBB19_292:
	s_delay_alu instid0(SALU_CYCLE_1)
	s_or_b32 exec_lo, exec_lo, s3
.LBB19_293:
	s_delay_alu instid0(SALU_CYCLE_1) | instskip(SKIP_3) | instid1(VALU_DEP_2)
	s_or_b32 exec_lo, exec_lo, s2
	v_dual_mul_f32 v63, v11, v32 :: v_dual_mov_b32 v32, 7
	v_mov_b32_e32 v62, 7
	s_mov_b32 s2, exec_lo
	v_cmpx_nle_f32_e64 0x40a00000, |v63|
	s_cbranch_execz .LBB19_305
; %bb.294:
	v_mov_b32_e32 v62, 6
	s_mov_b32 s3, exec_lo
	v_cmpx_nle_f32_e64 0x40600000, |v63|
	s_cbranch_execz .LBB19_304
; %bb.295:
	;; [unrolled: 5-line block ×5, first 2 shown]
	v_mov_b32_e32 v62, 2
	s_mov_b32 s11, exec_lo
	v_cmpx_nle_f32_e64 0x3f400000, |v63|
; %bb.299:
	v_cmp_le_f32_e64 s12, 0x3e800000, |v63|
	s_delay_alu instid0(VALU_DEP_1)
	v_cndmask_b32_e64 v62, 0, 1, s12
; %bb.300:
	s_or_b32 exec_lo, exec_lo, s11
.LBB19_301:
	s_delay_alu instid0(SALU_CYCLE_1)
	s_or_b32 exec_lo, exec_lo, s10
.LBB19_302:
	s_delay_alu instid0(SALU_CYCLE_1)
	s_or_b32 exec_lo, exec_lo, s9
.LBB19_303:
	s_delay_alu instid0(SALU_CYCLE_1)
	s_or_b32 exec_lo, exec_lo, s6
.LBB19_304:
	s_delay_alu instid0(SALU_CYCLE_1)
	s_or_b32 exec_lo, exec_lo, s3
.LBB19_305:
	s_delay_alu instid0(SALU_CYCLE_1) | instskip(SKIP_2) | instid1(VALU_DEP_1)
	s_or_b32 exec_lo, exec_lo, s2
	v_mul_f32_e32 v28, v11, v28
	s_mov_b32 s2, exec_lo
	v_cmpx_nle_f32_e64 0x40a00000, |v28|
	s_cbranch_execz .LBB19_317
; %bb.306:
	v_mov_b32_e32 v32, 6
	s_mov_b32 s3, exec_lo
	v_cmpx_nle_f32_e64 0x40600000, |v28|
	s_cbranch_execz .LBB19_316
; %bb.307:
	v_mov_b32_e32 v32, 5
	;; [unrolled: 5-line block ×5, first 2 shown]
	s_mov_b32 s11, exec_lo
	v_cmpx_nle_f32_e64 0x3f400000, |v28|
; %bb.311:
	v_cmp_le_f32_e64 s12, 0x3e800000, |v28|
	s_delay_alu instid0(VALU_DEP_1)
	v_cndmask_b32_e64 v32, 0, 1, s12
; %bb.312:
	s_or_b32 exec_lo, exec_lo, s11
.LBB19_313:
	s_delay_alu instid0(SALU_CYCLE_1)
	s_or_b32 exec_lo, exec_lo, s10
.LBB19_314:
	s_delay_alu instid0(SALU_CYCLE_1)
	s_or_b32 exec_lo, exec_lo, s9
.LBB19_315:
	s_delay_alu instid0(SALU_CYCLE_1)
	s_or_b32 exec_lo, exec_lo, s6
.LBB19_316:
	s_delay_alu instid0(SALU_CYCLE_1)
	s_or_b32 exec_lo, exec_lo, s3
.LBB19_317:
	s_delay_alu instid0(SALU_CYCLE_1) | instskip(SKIP_3) | instid1(VALU_DEP_2)
	s_or_b32 exec_lo, exec_lo, s2
	v_dual_mul_f32 v65, v11, v26 :: v_dual_mov_b32 v26, 7
	v_mov_b32_e32 v64, 7
	s_mov_b32 s2, exec_lo
	v_cmpx_nle_f32_e64 0x40a00000, |v65|
	s_cbranch_execz .LBB19_329
; %bb.318:
	v_mov_b32_e32 v64, 6
	s_mov_b32 s3, exec_lo
	v_cmpx_nle_f32_e64 0x40600000, |v65|
	s_cbranch_execz .LBB19_328
; %bb.319:
	;; [unrolled: 5-line block ×5, first 2 shown]
	v_mov_b32_e32 v64, 2
	s_mov_b32 s11, exec_lo
	v_cmpx_nle_f32_e64 0x3f400000, |v65|
; %bb.323:
	v_cmp_le_f32_e64 s12, 0x3e800000, |v65|
	s_delay_alu instid0(VALU_DEP_1)
	v_cndmask_b32_e64 v64, 0, 1, s12
; %bb.324:
	s_or_b32 exec_lo, exec_lo, s11
.LBB19_325:
	s_delay_alu instid0(SALU_CYCLE_1)
	s_or_b32 exec_lo, exec_lo, s10
.LBB19_326:
	s_delay_alu instid0(SALU_CYCLE_1)
	s_or_b32 exec_lo, exec_lo, s9
.LBB19_327:
	s_delay_alu instid0(SALU_CYCLE_1)
	s_or_b32 exec_lo, exec_lo, s6
.LBB19_328:
	s_delay_alu instid0(SALU_CYCLE_1)
	s_or_b32 exec_lo, exec_lo, s3
.LBB19_329:
	s_delay_alu instid0(SALU_CYCLE_1) | instskip(SKIP_2) | instid1(VALU_DEP_1)
	s_or_b32 exec_lo, exec_lo, s2
	v_mul_f32_e32 v22, v11, v22
	s_mov_b32 s2, exec_lo
	v_cmpx_nle_f32_e64 0x40a00000, |v22|
	s_cbranch_execz .LBB19_341
; %bb.330:
	v_mov_b32_e32 v26, 6
	s_mov_b32 s3, exec_lo
	v_cmpx_nle_f32_e64 0x40600000, |v22|
	s_cbranch_execz .LBB19_340
; %bb.331:
	v_mov_b32_e32 v26, 5
	;; [unrolled: 5-line block ×5, first 2 shown]
	s_mov_b32 s11, exec_lo
	v_cmpx_nle_f32_e64 0x3f400000, |v22|
; %bb.335:
	v_cmp_le_f32_e64 s12, 0x3e800000, |v22|
	s_delay_alu instid0(VALU_DEP_1)
	v_cndmask_b32_e64 v26, 0, 1, s12
; %bb.336:
	s_or_b32 exec_lo, exec_lo, s11
.LBB19_337:
	s_delay_alu instid0(SALU_CYCLE_1)
	s_or_b32 exec_lo, exec_lo, s10
.LBB19_338:
	s_delay_alu instid0(SALU_CYCLE_1)
	s_or_b32 exec_lo, exec_lo, s9
.LBB19_339:
	s_delay_alu instid0(SALU_CYCLE_1)
	s_or_b32 exec_lo, exec_lo, s6
.LBB19_340:
	s_delay_alu instid0(SALU_CYCLE_1)
	s_or_b32 exec_lo, exec_lo, s3
.LBB19_341:
	s_delay_alu instid0(SALU_CYCLE_1) | instskip(SKIP_3) | instid1(VALU_DEP_2)
	s_or_b32 exec_lo, exec_lo, s2
	v_dual_mul_f32 v67, v11, v20 :: v_dual_mov_b32 v20, 7
	v_mov_b32_e32 v66, 7
	s_mov_b32 s2, exec_lo
	v_cmpx_nle_f32_e64 0x40a00000, |v67|
	s_cbranch_execz .LBB19_353
; %bb.342:
	v_mov_b32_e32 v66, 6
	s_mov_b32 s3, exec_lo
	v_cmpx_nle_f32_e64 0x40600000, |v67|
	s_cbranch_execz .LBB19_352
; %bb.343:
	;; [unrolled: 5-line block ×5, first 2 shown]
	v_mov_b32_e32 v66, 2
	s_mov_b32 s11, exec_lo
	v_cmpx_nle_f32_e64 0x3f400000, |v67|
; %bb.347:
	v_cmp_le_f32_e64 s12, 0x3e800000, |v67|
	s_delay_alu instid0(VALU_DEP_1)
	v_cndmask_b32_e64 v66, 0, 1, s12
; %bb.348:
	s_or_b32 exec_lo, exec_lo, s11
.LBB19_349:
	s_delay_alu instid0(SALU_CYCLE_1)
	s_or_b32 exec_lo, exec_lo, s10
.LBB19_350:
	s_delay_alu instid0(SALU_CYCLE_1)
	s_or_b32 exec_lo, exec_lo, s9
.LBB19_351:
	s_delay_alu instid0(SALU_CYCLE_1)
	s_or_b32 exec_lo, exec_lo, s6
.LBB19_352:
	s_delay_alu instid0(SALU_CYCLE_1)
	s_or_b32 exec_lo, exec_lo, s3
.LBB19_353:
	s_delay_alu instid0(SALU_CYCLE_1) | instskip(SKIP_2) | instid1(VALU_DEP_1)
	s_or_b32 exec_lo, exec_lo, s2
	v_mul_f32_e32 v16, v11, v16
	s_mov_b32 s2, exec_lo
	v_cmpx_nle_f32_e64 0x40a00000, |v16|
	s_cbranch_execz .LBB19_365
; %bb.354:
	v_mov_b32_e32 v20, 6
	s_mov_b32 s3, exec_lo
	v_cmpx_nle_f32_e64 0x40600000, |v16|
	s_cbranch_execz .LBB19_364
; %bb.355:
	v_mov_b32_e32 v20, 5
	;; [unrolled: 5-line block ×5, first 2 shown]
	s_mov_b32 s11, exec_lo
	v_cmpx_nle_f32_e64 0x3f400000, |v16|
; %bb.359:
	v_cmp_le_f32_e64 s12, 0x3e800000, |v16|
	s_delay_alu instid0(VALU_DEP_1)
	v_cndmask_b32_e64 v20, 0, 1, s12
; %bb.360:
	s_or_b32 exec_lo, exec_lo, s11
.LBB19_361:
	s_delay_alu instid0(SALU_CYCLE_1)
	s_or_b32 exec_lo, exec_lo, s10
.LBB19_362:
	s_delay_alu instid0(SALU_CYCLE_1)
	s_or_b32 exec_lo, exec_lo, s9
.LBB19_363:
	s_delay_alu instid0(SALU_CYCLE_1)
	s_or_b32 exec_lo, exec_lo, s6
.LBB19_364:
	s_delay_alu instid0(SALU_CYCLE_1)
	s_or_b32 exec_lo, exec_lo, s3
.LBB19_365:
	s_delay_alu instid0(SALU_CYCLE_1) | instskip(SKIP_3) | instid1(VALU_DEP_2)
	s_or_b32 exec_lo, exec_lo, s2
	v_dual_mul_f32 v69, v11, v14 :: v_dual_mov_b32 v14, 7
	v_mov_b32_e32 v68, 7
	s_mov_b32 s2, exec_lo
	v_cmpx_nle_f32_e64 0x40a00000, |v69|
	s_cbranch_execz .LBB19_377
; %bb.366:
	v_mov_b32_e32 v68, 6
	s_mov_b32 s3, exec_lo
	v_cmpx_nle_f32_e64 0x40600000, |v69|
	s_cbranch_execz .LBB19_376
; %bb.367:
	;; [unrolled: 5-line block ×5, first 2 shown]
	v_mov_b32_e32 v68, 2
	s_mov_b32 s11, exec_lo
	v_cmpx_nle_f32_e64 0x3f400000, |v69|
; %bb.371:
	v_cmp_le_f32_e64 s12, 0x3e800000, |v69|
	s_delay_alu instid0(VALU_DEP_1)
	v_cndmask_b32_e64 v68, 0, 1, s12
; %bb.372:
	s_or_b32 exec_lo, exec_lo, s11
.LBB19_373:
	s_delay_alu instid0(SALU_CYCLE_1)
	s_or_b32 exec_lo, exec_lo, s10
.LBB19_374:
	s_delay_alu instid0(SALU_CYCLE_1)
	s_or_b32 exec_lo, exec_lo, s9
.LBB19_375:
	s_delay_alu instid0(SALU_CYCLE_1)
	s_or_b32 exec_lo, exec_lo, s6
.LBB19_376:
	s_delay_alu instid0(SALU_CYCLE_1)
	s_or_b32 exec_lo, exec_lo, s3
.LBB19_377:
	s_delay_alu instid0(SALU_CYCLE_1) | instskip(SKIP_3) | instid1(VALU_DEP_1)
	s_or_b32 exec_lo, exec_lo, s2
	s_load_b64 s[2:3], s[0:1], 0x8
	v_mul_f32_e32 v9, v11, v9
	s_mov_b32 s6, exec_lo
	v_cmpx_nle_f32_e64 0x40a00000, |v9|
	s_cbranch_execz .LBB19_389
; %bb.378:
	v_mov_b32_e32 v14, 6
	s_mov_b32 s9, exec_lo
	v_cmpx_nle_f32_e64 0x40600000, |v9|
	s_cbranch_execz .LBB19_388
; %bb.379:
	v_mov_b32_e32 v14, 5
	;; [unrolled: 5-line block ×5, first 2 shown]
	s_mov_b32 s13, exec_lo
	v_cmpx_nle_f32_e64 0x3f400000, |v9|
; %bb.383:
	v_cmp_le_f32_e64 s14, 0x3e800000, |v9|
	s_delay_alu instid0(VALU_DEP_1)
	v_cndmask_b32_e64 v14, 0, 1, s14
; %bb.384:
	s_or_b32 exec_lo, exec_lo, s13
.LBB19_385:
	s_delay_alu instid0(SALU_CYCLE_1)
	s_or_b32 exec_lo, exec_lo, s12
.LBB19_386:
	s_delay_alu instid0(SALU_CYCLE_1)
	s_or_b32 exec_lo, exec_lo, s11
.LBB19_387:
	s_delay_alu instid0(SALU_CYCLE_1)
	s_or_b32 exec_lo, exec_lo, s10
.LBB19_388:
	s_delay_alu instid0(SALU_CYCLE_1)
	s_or_b32 exec_lo, exec_lo, s9
.LBB19_389:
	s_delay_alu instid0(SALU_CYCLE_1)
	s_or_b32 exec_lo, exec_lo, s6
	v_cmp_gt_f32_e32 vcc_lo, 0, v69
	v_lshlrev_b16 v7, 4, v7
	v_lshlrev_b16 v10, 4, v10
	;; [unrolled: 1-line block ×4, first 2 shown]
	v_cndmask_b32_e64 v11, 0, 1, vcc_lo
	v_cmp_gt_f32_e32 vcc_lo, 0, v67
	s_lshr_b32 s6, s4, 31
	s_load_b64 s[0:1], s[0:1], 0x10
	s_add_i32 s4, s4, s6
	v_lshlrev_b16 v11, 3, v11
	v_cndmask_b32_e64 v67, 0, 1, vcc_lo
	v_cmp_gt_f32_e32 vcc_lo, 0, v65
	s_ashr_i32 s4, s4, 1
	s_delay_alu instid0(SALU_CYCLE_1) | instskip(NEXT) | instid1(VALU_DEP_2)
	s_ashr_i32 s6, s4, 31
	v_lshlrev_b16 v67, 3, v67
	v_cndmask_b32_e64 v65, 0, 1, vcc_lo
	v_cmp_gt_f32_e32 vcc_lo, 0, v63
	v_or_b32_e32 v11, v11, v68
	v_mul_lo_u32 v1, v1, s4
	v_or_b32_e32 v66, v67, v66
	v_lshlrev_b16 v65, 3, v65
	v_cndmask_b32_e64 v63, 0, 1, vcc_lo
	v_cmp_gt_f32_e32 vcc_lo, 0, v60
	s_delay_alu instid0(VALU_DEP_3) | instskip(NEXT) | instid1(VALU_DEP_3)
	v_or_b32_e32 v64, v65, v64
	v_lshlrev_b16 v63, 3, v63
	v_cndmask_b32_e64 v60, 0, 1, vcc_lo
	v_cmp_gt_f32_e32 vcc_lo, 0, v59
	s_delay_alu instid0(VALU_DEP_3) | instskip(NEXT) | instid1(VALU_DEP_3)
	;; [unrolled: 5-line block ×11, first 2 shown]
	v_or_b32_e32 v12, v12, v13
	v_lshlrev_b16 v25, 3, v25
	v_cndmask_b32_e64 v19, 0, 1, vcc_lo
	v_cmp_gt_f32_e32 vcc_lo, 0, v6
	s_delay_alu instid0(VALU_DEP_2) | instskip(SKIP_2) | instid1(VALU_DEP_2)
	v_lshlrev_b16 v19, 3, v19
	v_cndmask_b32_e64 v6, 0, 1, vcc_lo
	v_cmp_gt_f32_e32 vcc_lo, 0, v8
	v_lshlrev_b16 v6, 3, v6
	v_cndmask_b32_e64 v8, 0, 1, vcc_lo
	v_cmp_gt_f32_e32 vcc_lo, 0, v15
	s_delay_alu instid0(VALU_DEP_3) | instskip(NEXT) | instid1(VALU_DEP_3)
	v_or_b32_e32 v5, v6, v5
	v_lshlrev_b16 v8, 7, v8
	v_cndmask_b32_e64 v13, 0, 1, vcc_lo
	v_cmp_gt_f32_e32 vcc_lo, 0, v21
	s_delay_alu instid0(VALU_DEP_3) | instskip(NEXT) | instid1(VALU_DEP_3)
	v_or_b32_e32 v6, v8, v7
	v_lshlrev_b16 v13, 7, v13
	v_cndmask_b32_e64 v15, 0, 1, vcc_lo
	v_lshlrev_b16 v8, 4, v18
	v_cmp_gt_f32_e32 vcc_lo, 0, v27
	v_or_b32_e32 v5, v6, v5
	v_or_b32_e32 v7, v13, v10
	v_lshlrev_b16 v10, 7, v15
	v_or_b32_e32 v15, v19, v17
	v_lshlrev_b16 v18, 4, v29
	v_lshlrev_b16 v19, 4, v35
	v_or_b32_e32 v6, v7, v12
	v_or_b32_e32 v7, v10, v8
	v_cndmask_b32_e64 v10, 0, 1, vcc_lo
	v_cmp_gt_f32_e32 vcc_lo, 0, v33
	v_lshlrev_b16 v8, 4, v23
	v_or_b32_e32 v13, v25, v24
	v_or_b32_e32 v7, v7, v15
	v_lshlrev_b16 v10, 7, v10
	v_cndmask_b32_e64 v12, 0, 1, vcc_lo
	v_cmp_gt_f32_e32 vcc_lo, 0, v39
	v_lshlrev_b16 v23, 4, v49
	v_lshlrev_b16 v24, 4, v42
	v_or_b32_e32 v8, v10, v8
	v_lshlrev_b16 v12, 7, v12
	v_cndmask_b32_e64 v17, 0, 1, vcc_lo
	v_cmp_gt_f32_e32 vcc_lo, 0, v43
	v_lshlrev_b16 v25, 4, v46
	v_or_b32_e32 v13, v8, v13
	v_or_b32_e32 v10, v12, v18
	v_lshlrev_b16 v17, 7, v17
	v_cndmask_b32_e64 v21, 0, 1, vcc_lo
	v_cmp_gt_f32_e32 vcc_lo, 0, v48
	v_lshlrev_b16 v6, 8, v6
	v_or_b32_e32 v10, v10, v30
	v_or_b32_e32 v12, v17, v19
	v_lshlrev_b16 v17, 4, v41
	v_lshlrev_b16 v18, 7, v21
	v_cndmask_b32_e64 v15, 0, 1, vcc_lo
	v_cmp_gt_f32_e32 vcc_lo, 0, v52
	v_or_b32_e32 v12, v12, v36
	v_lshlrev_b16 v13, 8, v13
	v_or_b32_e32 v8, v18, v17
	v_lshlrev_b16 v17, 4, v53
	v_cndmask_b32_e64 v18, 0, 1, vcc_lo
	v_cmp_gt_f32_e32 vcc_lo, 0, v47
	v_lshlrev_b16 v15, 7, v15
	v_or_b32_e32 v5, v5, v6
	v_or_b32_e32 v6, v7, v13
	v_lshlrev_b16 v18, 7, v18
	v_cndmask_b32_e64 v19, 0, 1, vcc_lo
	v_cmp_gt_f32_e32 vcc_lo, 0, v40
	v_mul_lo_u32 v13, v0, s6
	v_and_b32_e32 v5, 0xffff, v5
	v_or_b32_e32 v17, v18, v17
	v_lshlrev_b16 v19, 7, v19
	v_cndmask_b32_e64 v21, 0, 1, vcc_lo
	v_cmp_gt_f32_e32 vcc_lo, 0, v22
	s_delay_alu instid0(VALU_DEP_3) | instskip(NEXT) | instid1(VALU_DEP_3)
	v_or_b32_e32 v18, v19, v23
	v_lshlrev_b16 v21, 7, v21
	v_cndmask_b32_e64 v22, 0, 1, vcc_lo
	v_cmp_gt_f32_e32 vcc_lo, 0, v28
	v_lshlrev_b16 v23, 4, v32
	s_delay_alu instid0(VALU_DEP_4)
	v_or_b32_e32 v19, v21, v24
	v_or_b32_e32 v21, v8, v44
	v_cndmask_b32_e64 v24, 0, 1, vcc_lo
	v_cmp_gt_f32_e32 vcc_lo, 0, v9
	v_or_b32_e32 v8, v15, v25
	v_lshlrev_b16 v25, 4, v26
	v_lshlrev_b16 v22, 7, v22
	;; [unrolled: 1-line block ×3, first 2 shown]
	v_cndmask_b32_e64 v9, 0, 1, vcc_lo
	v_cmp_gt_f32_e32 vcc_lo, 0, v16
	v_or_b32_e32 v15, v17, v54
	v_or_b32_e32 v22, v22, v25
	;; [unrolled: 1-line block ×3, first 2 shown]
	v_lshlrev_b16 v9, 7, v9
	v_cndmask_b32_e64 v16, 0, 1, vcc_lo
	v_cmp_gt_f32_e32 vcc_lo, 0, v34
	v_or_b32_e32 v18, v19, v58
	v_lshlrev_b16 v19, 4, v37
	v_or_b32_e32 v9, v9, v14
	v_lshlrev_b16 v16, 7, v16
	v_cndmask_b32_e64 v14, 0, 1, vcc_lo
	v_or_b32_e32 v23, v24, v23
	s_delay_alu instid0(VALU_DEP_4) | instskip(NEXT) | instid1(VALU_DEP_4)
	v_or_b32_e32 v9, v9, v11
	v_or_b32_e32 v16, v16, v20
	;; [unrolled: 1-line block ×3, first 2 shown]
	v_lshlrev_b16 v11, 7, v14
	v_or_b32_e32 v14, v23, v62
	v_lshlrev_b16 v9, 8, v9
	v_or_b32_e32 v16, v16, v66
	;; [unrolled: 2-line block ×3, first 2 shown]
	s_delay_alu instid0(VALU_DEP_3) | instskip(NEXT) | instid1(VALU_DEP_3)
	v_or_b32_e32 v9, v16, v9
	v_or_b32_e32 v14, v14, v20
	s_delay_alu instid0(VALU_DEP_3) | instskip(SKIP_1) | instid1(VALU_DEP_4)
	v_or_b32_e32 v11, v11, v60
	v_lshlrev_b16 v16, 8, v17
	v_lshlrev_b32_e32 v9, 16, v9
	s_delay_alu instid0(VALU_DEP_4) | instskip(NEXT) | instid1(VALU_DEP_4)
	v_and_b32_e32 v14, 0xffff, v14
	v_lshlrev_b16 v11, 8, v11
	s_delay_alu instid0(VALU_DEP_4) | instskip(SKIP_1) | instid1(VALU_DEP_4)
	v_or_b32_e32 v15, v15, v16
	v_or_b32_e32 v16, v8, v50
	;; [unrolled: 1-line block ×3, first 2 shown]
	s_delay_alu instid0(VALU_DEP_4) | instskip(SKIP_1) | instid1(VALU_DEP_4)
	v_or_b32_e32 v9, v18, v11
	v_lshlrev_b16 v11, 8, v12
	v_lshlrev_b16 v12, 8, v16
	v_and_b32_e32 v14, 0xffff, v15
	v_lshlrev_b32_e32 v16, 16, v6
	v_lshlrev_b32_e32 v15, 16, v9
	v_or_b32_e32 v11, v10, v11
	s_waitcnt lgkmcnt(0)
	v_mad_u64_u32 v[9:10], null, v0, s4, s[2:3]
	v_or_b32_e32 v12, v21, v12
	v_or_b32_e32 v7, v14, v15
	v_lshlrev_b32_e32 v14, 4, v4
	v_and_b32_e32 v11, 0xffff, v11
	v_or_b32_e32 v5, v5, v16
	v_lshlrev_b32_e32 v12, 16, v12
	v_add3_u32 v1, v1, v10, v13
	v_add_co_u32 v9, vcc_lo, v9, v14
	s_and_b32 s2, s7, 1
	s_delay_alu instid0(VALU_DEP_3) | instskip(NEXT) | instid1(VALU_DEP_3)
	v_or_b32_e32 v6, v11, v12
	v_add_co_ci_u32_e32 v10, vcc_lo, 0, v1, vcc_lo
	s_cmp_eq_u32 s2, 0
	s_mov_b32 s2, 0
	global_store_b128 v[9:10], v[5:8], off
	s_cbranch_scc0 .LBB19_391
; %bb.390:
	v_ashrrev_i32_e32 v1, 31, v0
	s_delay_alu instid0(VALU_DEP_1) | instskip(NEXT) | instid1(VALU_DEP_1)
	v_lshrrev_b32_e32 v1, 27, v1
	v_add_nc_u32_e32 v1, v0, v1
	s_delay_alu instid0(VALU_DEP_1) | instskip(NEXT) | instid1(VALU_DEP_1)
	v_and_b32_e32 v5, 0xffe0, v1
	v_sub_nc_u32_e32 v5, v0, v5
	s_delay_alu instid0(VALU_DEP_1) | instskip(NEXT) | instid1(VALU_DEP_1)
	v_bfe_i32 v6, v5, 0, 8
	v_lshrrev_b16 v6, 11, v6
	s_delay_alu instid0(VALU_DEP_1) | instskip(NEXT) | instid1(VALU_DEP_1)
	v_and_b32_e32 v6, 15, v6
	v_add_nc_u16 v5, v5, v6
	s_delay_alu instid0(VALU_DEP_1) | instskip(NEXT) | instid1(VALU_DEP_1)
	v_bfe_i32 v5, v5, 0, 8
	v_ashrrev_i16 v6, 4, v5
	v_ashrrev_i32_e32 v5, 5, v1
	s_delay_alu instid0(VALU_DEP_2)
	v_bfe_i32 v1, v6, 0, 16
	s_and_not1_b32 vcc_lo, exec_lo, s2
	s_cbranch_vccz .LBB19_392
	s_branch .LBB19_393
.LBB19_391:
                                        ; implicit-def: $vgpr5
                                        ; implicit-def: $vgpr1
.LBB19_392:
	s_lshr_b32 s2, s8, 31
	v_sub_nc_u32_e32 v6, 0, v0
	s_add_i32 s2, s8, s2
	s_delay_alu instid0(SALU_CYCLE_1) | instskip(NEXT) | instid1(VALU_DEP_1)
	s_ashr_i32 s2, s2, 1
	v_max_i32_e32 v6, v0, v6
	s_abs_i32 s3, s2
	s_delay_alu instid0(SALU_CYCLE_1) | instskip(SKIP_1) | instid1(VALU_DEP_1)
	v_cvt_f32_u32_e32 v1, s3
	s_sub_i32 s4, 0, s3
	v_rcp_iflag_f32_e32 v1, v1
	s_waitcnt_depctr 0xfff
	v_mul_f32_e32 v1, 0x4f7ffffe, v1
	s_delay_alu instid0(VALU_DEP_1) | instskip(NEXT) | instid1(VALU_DEP_1)
	v_cvt_u32_f32_e32 v1, v1
	v_mul_lo_u32 v5, s4, v1
	s_delay_alu instid0(VALU_DEP_1) | instskip(NEXT) | instid1(VALU_DEP_1)
	v_mul_hi_u32 v5, v1, v5
	v_add_nc_u32_e32 v1, v1, v5
	s_delay_alu instid0(VALU_DEP_1) | instskip(NEXT) | instid1(VALU_DEP_1)
	v_mul_hi_u32 v1, v6, v1
	v_mul_lo_u32 v5, v1, s3
	s_delay_alu instid0(VALU_DEP_1) | instskip(NEXT) | instid1(VALU_DEP_1)
	v_sub_nc_u32_e32 v5, v6, v5
	v_subrev_nc_u32_e32 v7, s3, v5
	v_cmp_le_u32_e32 vcc_lo, s3, v5
	s_delay_alu instid0(VALU_DEP_2) | instskip(NEXT) | instid1(VALU_DEP_1)
	v_dual_cndmask_b32 v5, v5, v7 :: v_dual_add_nc_u32 v6, 1, v1
	v_cndmask_b32_e32 v1, v1, v6, vcc_lo
	v_xor_b32_e32 v6, s2, v0
	s_delay_alu instid0(VALU_DEP_3) | instskip(NEXT) | instid1(VALU_DEP_3)
	v_cmp_le_u32_e32 vcc_lo, s3, v5
	v_add_nc_u32_e32 v7, 1, v1
	s_delay_alu instid0(VALU_DEP_3) | instskip(NEXT) | instid1(VALU_DEP_2)
	v_ashrrev_i32_e32 v6, 31, v6
	v_cndmask_b32_e32 v1, v1, v7, vcc_lo
	s_delay_alu instid0(VALU_DEP_1) | instskip(NEXT) | instid1(VALU_DEP_1)
	v_xor_b32_e32 v1, v1, v6
	v_sub_nc_u32_e32 v1, v1, v6
	s_delay_alu instid0(VALU_DEP_1) | instskip(NEXT) | instid1(VALU_DEP_1)
	v_mul_lo_u32 v5, v1, s2
	v_sub_nc_u32_e32 v0, v0, v5
	s_delay_alu instid0(VALU_DEP_1) | instskip(NEXT) | instid1(VALU_DEP_1)
	v_ashrrev_i32_e32 v5, 31, v0
	v_lshrrev_b32_e32 v5, 28, v5
	s_delay_alu instid0(VALU_DEP_1) | instskip(NEXT) | instid1(VALU_DEP_1)
	v_add_nc_u32_e32 v5, v0, v5
	v_ashrrev_i32_e32 v5, 4, v5
.LBB19_393:
	v_ashrrev_i32_e32 v6, 31, v0
	v_lshlrev_b32_e32 v7, 6, v4
	v_lshrrev_b32_e32 v4, 1, v4
	v_and_b32_e32 v2, 0x7fffff00, v2
	s_lshl_b32 s2, s5, 5
	v_lshrrev_b32_e32 v6, 28, v6
	v_and_b32_e32 v7, 0xc0, v7
	v_and_b32_e32 v4, 2, v4
	s_and_b32 s2, s2, 0x7fffff00
	s_delay_alu instid0(VALU_DEP_3) | instskip(NEXT) | instid1(VALU_DEP_2)
	v_add_nc_u32_e32 v6, v0, v6
	v_or3_b32 v2, v7, v2, v4
	v_mul_lo_u32 v4, v5, s2
	s_delay_alu instid0(VALU_DEP_3) | instskip(NEXT) | instid1(VALU_DEP_3)
	v_and_b32_e32 v6, 0x3ffffff0, v6
	v_add_nc_u32_e32 v1, v2, v1
	v_lshrrev_b32_e32 v2, 23, v3
	s_delay_alu instid0(VALU_DEP_3) | instskip(NEXT) | instid1(VALU_DEP_1)
	v_sub_nc_u32_e32 v0, v0, v6
	v_lshlrev_b32_e32 v0, 2, v0
	s_delay_alu instid0(VALU_DEP_1) | instskip(NEXT) | instid1(VALU_DEP_1)
	v_add3_u32 v0, v1, v0, v4
	v_ashrrev_i32_e32 v1, 31, v0
	v_add_co_u32 v0, vcc_lo, s0, v0
	s_delay_alu instid0(VALU_DEP_2)
	v_add_co_ci_u32_e32 v1, vcc_lo, s1, v1, vcc_lo
	global_store_b8 v[0:1], v2, off
.LBB19_394:
	s_nop 0
	s_sendmsg sendmsg(MSG_DEALLOC_VGPRS)
	s_endpgm
	.section	.rodata,"a",@progbits
	.p2align	6, 0x0
	.amdhsa_kernel _ZN5aiter18quant_mxfp4_kernelI6__halfLNS_16MxScaleRoundModeE3ELb0ELb1ELb0EEEvPKT_PhPfliiib
		.amdhsa_group_segment_fixed_size 0
		.amdhsa_private_segment_fixed_size 0
		.amdhsa_kernarg_size 304
		.amdhsa_user_sgpr_count 15
		.amdhsa_user_sgpr_dispatch_ptr 0
		.amdhsa_user_sgpr_queue_ptr 0
		.amdhsa_user_sgpr_kernarg_segment_ptr 1
		.amdhsa_user_sgpr_dispatch_id 0
		.amdhsa_user_sgpr_private_segment_size 0
		.amdhsa_wavefront_size32 1
		.amdhsa_uses_dynamic_stack 0
		.amdhsa_enable_private_segment 0
		.amdhsa_system_sgpr_workgroup_id_x 1
		.amdhsa_system_sgpr_workgroup_id_y 0
		.amdhsa_system_sgpr_workgroup_id_z 0
		.amdhsa_system_sgpr_workgroup_info 0
		.amdhsa_system_vgpr_workitem_id 0
		.amdhsa_next_free_vgpr 70
		.amdhsa_next_free_sgpr 16
		.amdhsa_reserve_vcc 1
		.amdhsa_float_round_mode_32 0
		.amdhsa_float_round_mode_16_64 0
		.amdhsa_float_denorm_mode_32 3
		.amdhsa_float_denorm_mode_16_64 3
		.amdhsa_dx10_clamp 1
		.amdhsa_ieee_mode 1
		.amdhsa_fp16_overflow 0
		.amdhsa_workgroup_processor_mode 1
		.amdhsa_memory_ordered 1
		.amdhsa_forward_progress 0
		.amdhsa_shared_vgpr_count 0
		.amdhsa_exception_fp_ieee_invalid_op 0
		.amdhsa_exception_fp_denorm_src 0
		.amdhsa_exception_fp_ieee_div_zero 0
		.amdhsa_exception_fp_ieee_overflow 0
		.amdhsa_exception_fp_ieee_underflow 0
		.amdhsa_exception_fp_ieee_inexact 0
		.amdhsa_exception_int_div_zero 0
	.end_amdhsa_kernel
	.section	.text._ZN5aiter18quant_mxfp4_kernelI6__halfLNS_16MxScaleRoundModeE3ELb0ELb1ELb0EEEvPKT_PhPfliiib,"axG",@progbits,_ZN5aiter18quant_mxfp4_kernelI6__halfLNS_16MxScaleRoundModeE3ELb0ELb1ELb0EEEvPKT_PhPfliiib,comdat
.Lfunc_end19:
	.size	_ZN5aiter18quant_mxfp4_kernelI6__halfLNS_16MxScaleRoundModeE3ELb0ELb1ELb0EEEvPKT_PhPfliiib, .Lfunc_end19-_ZN5aiter18quant_mxfp4_kernelI6__halfLNS_16MxScaleRoundModeE3ELb0ELb1ELb0EEEvPKT_PhPfliiib
                                        ; -- End function
	.section	.AMDGPU.csdata,"",@progbits
; Kernel info:
; codeLenInByte = 10392
; NumSgprs: 18
; NumVgprs: 70
; ScratchSize: 0
; MemoryBound: 0
; FloatMode: 240
; IeeeMode: 1
; LDSByteSize: 0 bytes/workgroup (compile time only)
; SGPRBlocks: 2
; VGPRBlocks: 8
; NumSGPRsForWavesPerEU: 18
; NumVGPRsForWavesPerEU: 70
; Occupancy: 16
; WaveLimiterHint : 0
; COMPUTE_PGM_RSRC2:SCRATCH_EN: 0
; COMPUTE_PGM_RSRC2:USER_SGPR: 15
; COMPUTE_PGM_RSRC2:TRAP_HANDLER: 0
; COMPUTE_PGM_RSRC2:TGID_X_EN: 1
; COMPUTE_PGM_RSRC2:TGID_Y_EN: 0
; COMPUTE_PGM_RSRC2:TGID_Z_EN: 0
; COMPUTE_PGM_RSRC2:TIDIG_COMP_CNT: 0
	.section	.text._ZN5aiter18quant_mxfp4_kernelI6__halfLNS_16MxScaleRoundModeE3ELb0ELb0ELb0EEEvPKT_PhPfliiib,"axG",@progbits,_ZN5aiter18quant_mxfp4_kernelI6__halfLNS_16MxScaleRoundModeE3ELb0ELb0ELb0EEEvPKT_PhPfliiib,comdat
	.protected	_ZN5aiter18quant_mxfp4_kernelI6__halfLNS_16MxScaleRoundModeE3ELb0ELb0ELb0EEEvPKT_PhPfliiib ; -- Begin function _ZN5aiter18quant_mxfp4_kernelI6__halfLNS_16MxScaleRoundModeE3ELb0ELb0ELb0EEEvPKT_PhPfliiib
	.globl	_ZN5aiter18quant_mxfp4_kernelI6__halfLNS_16MxScaleRoundModeE3ELb0ELb0ELb0EEEvPKT_PhPfliiib
	.p2align	8
	.type	_ZN5aiter18quant_mxfp4_kernelI6__halfLNS_16MxScaleRoundModeE3ELb0ELb0ELb0EEEvPKT_PhPfliiib,@function
_ZN5aiter18quant_mxfp4_kernelI6__halfLNS_16MxScaleRoundModeE3ELb0ELb0ELb0EEEvPKT_PhPfliiib: ; @_ZN5aiter18quant_mxfp4_kernelI6__halfLNS_16MxScaleRoundModeE3ELb0ELb0ELb0EEEvPKT_PhPfliiib
; %bb.0:
	s_clause 0x1
	s_load_b32 s2, s[0:1], 0x3c
	s_load_b128 s[4:7], s[0:1], 0x20
	v_mov_b32_e32 v1, 0
	s_mov_b32 s3, exec_lo
	s_delay_alu instid0(VALU_DEP_1) | instskip(SKIP_2) | instid1(SALU_CYCLE_1)
	v_mov_b32_e32 v4, v1
	s_waitcnt lgkmcnt(0)
	s_and_b32 s2, s2, 0xffff
	v_mad_u64_u32 v[2:3], null, s2, s15, v[0:1]
	s_ashr_i32 s2, s6, 31
                                        ; implicit-def: $vgpr0_vgpr1
	s_delay_alu instid0(VALU_DEP_1) | instid1(SALU_CYCLE_1)
	v_or_b32_e32 v5, s2, v3
	s_delay_alu instid0(VALU_DEP_1)
	v_cmpx_ne_u64_e32 0, v[4:5]
	s_xor_b32 s3, exec_lo, s3
	s_cbranch_execz .LBB20_2
; %bb.1:
	s_add_u32 s10, s6, s2
	s_mov_b32 s8, s2
	s_mov_b32 s9, s2
	s_addc_u32 s11, s2, s2
	s_delay_alu instid0(SALU_CYCLE_1) | instskip(NEXT) | instid1(SALU_CYCLE_1)
	s_xor_b64 s[10:11], s[10:11], s[8:9]
	v_cvt_f32_u32_e32 v0, s10
	v_cvt_f32_u32_e32 v1, s11
	s_sub_u32 s2, 0, s10
	s_subb_u32 s7, 0, s11
	s_delay_alu instid0(VALU_DEP_1) | instskip(NEXT) | instid1(VALU_DEP_1)
	v_fmamk_f32 v0, v1, 0x4f800000, v0
	v_rcp_f32_e32 v0, v0
	s_waitcnt_depctr 0xfff
	v_mul_f32_e32 v0, 0x5f7ffffc, v0
	s_delay_alu instid0(VALU_DEP_1) | instskip(NEXT) | instid1(VALU_DEP_1)
	v_mul_f32_e32 v1, 0x2f800000, v0
	v_trunc_f32_e32 v1, v1
	s_delay_alu instid0(VALU_DEP_1) | instskip(SKIP_1) | instid1(VALU_DEP_2)
	v_fmamk_f32 v0, v1, 0xcf800000, v0
	v_cvt_u32_f32_e32 v1, v1
	v_cvt_u32_f32_e32 v0, v0
	s_delay_alu instid0(VALU_DEP_2) | instskip(NEXT) | instid1(VALU_DEP_2)
	v_mul_lo_u32 v4, s2, v1
	v_mul_hi_u32 v5, s2, v0
	v_mul_lo_u32 v6, s7, v0
	s_delay_alu instid0(VALU_DEP_2) | instskip(SKIP_1) | instid1(VALU_DEP_2)
	v_add_nc_u32_e32 v4, v5, v4
	v_mul_lo_u32 v5, s2, v0
	v_add_nc_u32_e32 v4, v4, v6
	s_delay_alu instid0(VALU_DEP_2) | instskip(NEXT) | instid1(VALU_DEP_2)
	v_mul_hi_u32 v6, v0, v5
	v_mul_lo_u32 v7, v0, v4
	v_mul_hi_u32 v8, v0, v4
	v_mul_hi_u32 v9, v1, v5
	v_mul_lo_u32 v5, v1, v5
	v_mul_hi_u32 v10, v1, v4
	v_mul_lo_u32 v4, v1, v4
	v_add_co_u32 v6, vcc_lo, v6, v7
	v_add_co_ci_u32_e32 v7, vcc_lo, 0, v8, vcc_lo
	s_delay_alu instid0(VALU_DEP_2) | instskip(NEXT) | instid1(VALU_DEP_2)
	v_add_co_u32 v5, vcc_lo, v6, v5
	v_add_co_ci_u32_e32 v5, vcc_lo, v7, v9, vcc_lo
	v_add_co_ci_u32_e32 v6, vcc_lo, 0, v10, vcc_lo
	v_ashrrev_i32_e32 v9, 31, v3
	s_delay_alu instid0(VALU_DEP_3) | instskip(NEXT) | instid1(VALU_DEP_3)
	v_add_co_u32 v4, vcc_lo, v5, v4
	v_add_co_ci_u32_e32 v5, vcc_lo, 0, v6, vcc_lo
	s_delay_alu instid0(VALU_DEP_2) | instskip(NEXT) | instid1(VALU_DEP_2)
	v_add_co_u32 v0, vcc_lo, v0, v4
	v_add_co_ci_u32_e32 v1, vcc_lo, v1, v5, vcc_lo
	s_delay_alu instid0(VALU_DEP_2) | instskip(SKIP_1) | instid1(VALU_DEP_3)
	v_mul_hi_u32 v4, s2, v0
	v_mul_lo_u32 v6, s7, v0
	v_mul_lo_u32 v5, s2, v1
	s_delay_alu instid0(VALU_DEP_1) | instskip(SKIP_1) | instid1(VALU_DEP_2)
	v_add_nc_u32_e32 v4, v4, v5
	v_mul_lo_u32 v5, s2, v0
	v_add_nc_u32_e32 v4, v4, v6
	s_delay_alu instid0(VALU_DEP_2) | instskip(NEXT) | instid1(VALU_DEP_2)
	v_mul_hi_u32 v6, v0, v5
	v_mul_lo_u32 v7, v0, v4
	v_mul_hi_u32 v8, v0, v4
	v_mul_hi_u32 v10, v1, v5
	v_mul_lo_u32 v5, v1, v5
	v_mul_hi_u32 v11, v1, v4
	v_mul_lo_u32 v4, v1, v4
	v_add_co_u32 v6, vcc_lo, v6, v7
	v_add_co_ci_u32_e32 v7, vcc_lo, 0, v8, vcc_lo
	s_delay_alu instid0(VALU_DEP_2) | instskip(NEXT) | instid1(VALU_DEP_2)
	v_add_co_u32 v5, vcc_lo, v6, v5
	v_add_co_ci_u32_e32 v5, vcc_lo, v7, v10, vcc_lo
	v_add_co_ci_u32_e32 v6, vcc_lo, 0, v11, vcc_lo
	v_add_co_u32 v7, vcc_lo, v2, v9
	v_add_co_ci_u32_e32 v3, vcc_lo, v3, v9, vcc_lo
	s_delay_alu instid0(VALU_DEP_4) | instskip(NEXT) | instid1(VALU_DEP_4)
	v_add_co_u32 v4, vcc_lo, v5, v4
	v_add_co_ci_u32_e32 v5, vcc_lo, 0, v6, vcc_lo
	s_delay_alu instid0(VALU_DEP_4) | instskip(NEXT) | instid1(VALU_DEP_3)
	v_xor_b32_e32 v7, v7, v9
	v_add_co_u32 v6, vcc_lo, v0, v4
	s_delay_alu instid0(VALU_DEP_3) | instskip(SKIP_1) | instid1(VALU_DEP_3)
	v_add_co_ci_u32_e32 v8, vcc_lo, v1, v5, vcc_lo
	v_xor_b32_e32 v10, v3, v9
	v_mul_hi_u32 v11, v7, v6
	s_delay_alu instid0(VALU_DEP_3) | instskip(NEXT) | instid1(VALU_DEP_3)
	v_mad_u64_u32 v[0:1], null, v7, v8, 0
	v_mad_u64_u32 v[3:4], null, v10, v6, 0
	;; [unrolled: 1-line block ×3, first 2 shown]
	s_delay_alu instid0(VALU_DEP_3) | instskip(NEXT) | instid1(VALU_DEP_4)
	v_add_co_u32 v0, vcc_lo, v11, v0
	v_add_co_ci_u32_e32 v1, vcc_lo, 0, v1, vcc_lo
	s_delay_alu instid0(VALU_DEP_2) | instskip(NEXT) | instid1(VALU_DEP_2)
	v_add_co_u32 v0, vcc_lo, v0, v3
	v_add_co_ci_u32_e32 v0, vcc_lo, v1, v4, vcc_lo
	v_add_co_ci_u32_e32 v1, vcc_lo, 0, v6, vcc_lo
	s_delay_alu instid0(VALU_DEP_2) | instskip(NEXT) | instid1(VALU_DEP_2)
	v_add_co_u32 v3, vcc_lo, v0, v5
	v_add_co_ci_u32_e32 v4, vcc_lo, 0, v1, vcc_lo
	s_delay_alu instid0(VALU_DEP_2) | instskip(SKIP_1) | instid1(VALU_DEP_3)
	v_mul_lo_u32 v5, s11, v3
	v_mad_u64_u32 v[0:1], null, s10, v3, 0
	v_mul_lo_u32 v6, s10, v4
	s_delay_alu instid0(VALU_DEP_2) | instskip(NEXT) | instid1(VALU_DEP_2)
	v_sub_co_u32 v0, vcc_lo, v7, v0
	v_add3_u32 v1, v1, v6, v5
	s_delay_alu instid0(VALU_DEP_1) | instskip(NEXT) | instid1(VALU_DEP_1)
	v_sub_nc_u32_e32 v5, v10, v1
	v_subrev_co_ci_u32_e64 v5, s2, s11, v5, vcc_lo
	v_add_co_u32 v6, s2, v3, 2
	s_delay_alu instid0(VALU_DEP_1) | instskip(SKIP_3) | instid1(VALU_DEP_3)
	v_add_co_ci_u32_e64 v7, s2, 0, v4, s2
	v_sub_co_u32 v8, s2, v0, s10
	v_sub_co_ci_u32_e32 v1, vcc_lo, v10, v1, vcc_lo
	v_subrev_co_ci_u32_e64 v5, s2, 0, v5, s2
	v_cmp_le_u32_e32 vcc_lo, s10, v8
	s_delay_alu instid0(VALU_DEP_3) | instskip(SKIP_1) | instid1(VALU_DEP_4)
	v_cmp_eq_u32_e64 s2, s11, v1
	v_cndmask_b32_e64 v8, 0, -1, vcc_lo
	v_cmp_le_u32_e32 vcc_lo, s11, v5
	v_cndmask_b32_e64 v10, 0, -1, vcc_lo
	v_cmp_le_u32_e32 vcc_lo, s10, v0
	;; [unrolled: 2-line block ×3, first 2 shown]
	v_cndmask_b32_e64 v11, 0, -1, vcc_lo
	v_cmp_eq_u32_e32 vcc_lo, s11, v5
	s_delay_alu instid0(VALU_DEP_2) | instskip(SKIP_3) | instid1(VALU_DEP_3)
	v_cndmask_b32_e64 v0, v11, v0, s2
	v_cndmask_b32_e32 v5, v10, v8, vcc_lo
	v_add_co_u32 v8, vcc_lo, v3, 1
	v_add_co_ci_u32_e32 v10, vcc_lo, 0, v4, vcc_lo
	v_cmp_ne_u32_e32 vcc_lo, 0, v5
	s_delay_alu instid0(VALU_DEP_2) | instskip(NEXT) | instid1(VALU_DEP_4)
	v_cndmask_b32_e32 v1, v10, v7, vcc_lo
	v_cndmask_b32_e32 v5, v8, v6, vcc_lo
	v_cmp_ne_u32_e32 vcc_lo, 0, v0
	v_xor_b32_e32 v0, s8, v9
	s_delay_alu instid0(VALU_DEP_3) | instskip(SKIP_2) | instid1(VALU_DEP_3)
	v_cndmask_b32_e32 v3, v3, v5, vcc_lo
	v_cndmask_b32_e32 v1, v4, v1, vcc_lo
	v_xor_b32_e32 v4, s9, v9
	v_xor_b32_e32 v3, v3, v0
	s_delay_alu instid0(VALU_DEP_2) | instskip(NEXT) | instid1(VALU_DEP_2)
	v_xor_b32_e32 v1, v1, v4
	v_sub_co_u32 v0, vcc_lo, v3, v0
	s_delay_alu instid0(VALU_DEP_2)
	v_sub_co_ci_u32_e32 v1, vcc_lo, v1, v4, vcc_lo
.LBB20_2:
	s_and_not1_saveexec_b32 s2, s3
	s_cbranch_execz .LBB20_4
; %bb.3:
	v_cvt_f32_u32_e32 v0, s6
	s_sub_i32 s3, 0, s6
	s_delay_alu instid0(VALU_DEP_1) | instskip(SKIP_2) | instid1(VALU_DEP_1)
	v_rcp_iflag_f32_e32 v0, v0
	s_waitcnt_depctr 0xfff
	v_mul_f32_e32 v0, 0x4f7ffffe, v0
	v_cvt_u32_f32_e32 v0, v0
	s_delay_alu instid0(VALU_DEP_1) | instskip(NEXT) | instid1(VALU_DEP_1)
	v_mul_lo_u32 v1, s3, v0
	v_mul_hi_u32 v1, v0, v1
	s_delay_alu instid0(VALU_DEP_1) | instskip(NEXT) | instid1(VALU_DEP_1)
	v_add_nc_u32_e32 v0, v0, v1
	v_mul_hi_u32 v0, v2, v0
	s_delay_alu instid0(VALU_DEP_1) | instskip(SKIP_1) | instid1(VALU_DEP_2)
	v_mul_lo_u32 v1, v0, s6
	v_add_nc_u32_e32 v3, 1, v0
	v_sub_nc_u32_e32 v1, v2, v1
	s_delay_alu instid0(VALU_DEP_1) | instskip(SKIP_1) | instid1(VALU_DEP_2)
	v_subrev_nc_u32_e32 v4, s6, v1
	v_cmp_le_u32_e32 vcc_lo, s6, v1
	v_dual_cndmask_b32 v1, v1, v4 :: v_dual_cndmask_b32 v0, v0, v3
	s_delay_alu instid0(VALU_DEP_1) | instskip(NEXT) | instid1(VALU_DEP_2)
	v_cmp_le_u32_e32 vcc_lo, s6, v1
	v_add_nc_u32_e32 v3, 1, v0
	s_delay_alu instid0(VALU_DEP_1)
	v_dual_mov_b32 v1, 0 :: v_dual_cndmask_b32 v0, v0, v3
.LBB20_4:
	s_or_b32 exec_lo, exec_lo, s2
	s_load_b64 s[2:3], s[0:1], 0x18
	s_delay_alu instid0(VALU_DEP_1) | instskip(NEXT) | instid1(VALU_DEP_1)
	v_mad_u64_u32 v[3:4], null, v0, s6, 0
	v_sub_co_u32 v2, null, v2, v3
	s_waitcnt lgkmcnt(0)
	v_cmp_gt_i64_e32 vcc_lo, s[2:3], v[0:1]
	s_delay_alu instid0(VALU_DEP_2) | instskip(NEXT) | instid1(VALU_DEP_1)
	v_cmp_gt_i32_e64 s2, s5, v2
	s_and_b32 s2, vcc_lo, s2
	s_delay_alu instid0(SALU_CYCLE_1)
	s_and_saveexec_b32 s3, s2
	s_cbranch_execz .LBB20_390
; %bb.5:
	s_ashr_i32 s6, s4, 31
	s_load_b64 s[2:3], s[0:1], 0x0
	v_mul_lo_u32 v5, v1, s4
	v_mad_u64_u32 v[3:4], null, v0, s4, 0
	v_mul_lo_u32 v6, v0, s6
	s_delay_alu instid0(VALU_DEP_1) | instskip(SKIP_1) | instid1(VALU_DEP_2)
	v_add3_u32 v4, v4, v6, v5
	v_dual_mov_b32 v6, 0 :: v_dual_lshlrev_b32 v5, 5, v2
	v_lshlrev_b64 v[3:4], 1, v[3:4]
	s_delay_alu instid0(VALU_DEP_2) | instskip(SKIP_1) | instid1(VALU_DEP_2)
	v_lshlrev_b64 v[5:6], 1, v[5:6]
	s_waitcnt lgkmcnt(0)
	v_add_co_u32 v3, vcc_lo, s2, v3
	s_delay_alu instid0(VALU_DEP_3) | instskip(SKIP_1) | instid1(VALU_DEP_2)
	v_add_co_ci_u32_e32 v4, vcc_lo, s3, v4, vcc_lo
	s_mov_b32 s2, exec_lo
	v_add_co_u32 v7, vcc_lo, v3, v5
	s_delay_alu instid0(VALU_DEP_2)
	v_add_co_ci_u32_e32 v8, vcc_lo, v4, v6, vcc_lo
	s_clause 0x3
	global_load_b128 v[3:6], v[7:8], off
	global_load_b128 v[10:13], v[7:8], off offset:16
	global_load_b128 v[52:55], v[7:8], off offset:32
	;; [unrolled: 1-line block ×3, first 2 shown]
	s_waitcnt vmcnt(3)
	v_lshrrev_b32_e32 v7, 16, v3
	v_cvt_f32_f16_e32 v17, v3
	v_lshrrev_b32_e32 v3, 16, v4
	v_cvt_f32_f16_e32 v9, v4
	;; [unrolled: 2-line block ×3, first 2 shown]
	v_cvt_f32_f16_e32 v16, v5
	v_cvt_f32_f16_e32 v14, v3
	v_lshrrev_b32_e32 v5, 16, v6
	v_cvt_f32_f16_e32 v20, v4
	v_max3_f32 v3, |v17|, 0, |v7|
	v_cvt_f32_f16_e32 v22, v6
	s_waitcnt vmcnt(2)
	v_lshrrev_b32_e32 v4, 16, v10
	v_cvt_f32_f16_e32 v26, v5
	v_cvt_f32_f16_e32 v28, v10
	v_max3_f32 v3, v3, |v9|, |v14|
	v_lshrrev_b32_e32 v5, 16, v11
	v_cvt_f32_f16_e32 v32, v4
	v_cvt_f32_f16_e32 v34, v11
	v_lshrrev_b32_e32 v4, 16, v12
	v_max3_f32 v3, v3, |v16|, |v20|
	v_cvt_f32_f16_e32 v38, v5
	v_cvt_f32_f16_e32 v40, v12
	v_lshrrev_b32_e32 v5, 16, v13
	v_cvt_f32_f16_e32 v42, v4
	v_max3_f32 v3, v3, |v22|, |v26|
	v_cvt_f32_f16_e32 v46, v13
	s_waitcnt vmcnt(1)
	v_lshrrev_b32_e32 v4, 16, v52
	v_cvt_f32_f16_e32 v47, v5
	v_cvt_f32_f16_e32 v51, v52
	v_max3_f32 v3, v3, |v28|, |v32|
	v_lshrrev_b32_e32 v5, 16, v53
	v_cvt_f32_f16_e32 v52, v4
	v_cvt_f32_f16_e32 v48, v53
	v_lshrrev_b32_e32 v4, 16, v54
	v_max3_f32 v3, v3, |v34|, |v38|
	v_cvt_f32_f16_e32 v45, v5
	v_cvt_f32_f16_e32 v41, v54
	v_lshrrev_b32_e32 v5, 16, v55
	v_cvt_f32_f16_e32 v39, v4
	v_max3_f32 v3, v3, |v40|, |v42|
	;; [unrolled: 16-line block ×3, first 2 shown]
	v_cvt_f32_f16_e32 v13, v59
	s_delay_alu instid0(VALU_DEP_4) | instskip(NEXT) | instid1(VALU_DEP_3)
	v_cvt_f32_f16_e32 v8, v5
	v_max3_f32 v3, v3, |v41|, |v39|
	s_delay_alu instid0(VALU_DEP_1) | instskip(NEXT) | instid1(VALU_DEP_1)
	v_max3_f32 v3, v3, |v36|, |v33|
	v_max3_f32 v3, v3, |v31|, |v27|
	s_delay_alu instid0(VALU_DEP_1) | instskip(NEXT) | instid1(VALU_DEP_1)
	v_max3_f32 v3, v3, |v25|, |v21|
	;; [unrolled: 3-line block ×3, first 2 shown]
	v_mul_f32_e32 v3, 0x3e800000, v3
	s_delay_alu instid0(VALU_DEP_1) | instskip(SKIP_1) | instid1(VALU_DEP_2)
	v_and_b32_e32 v4, 0x7fffff, v3
	v_bfe_u32 v3, v3, 23, 8
	v_cmp_ne_u32_e32 vcc_lo, 0, v4
	s_delay_alu instid0(VALU_DEP_2) | instskip(SKIP_1) | instid1(VALU_DEP_2)
	v_add_co_ci_u32_e32 v4, vcc_lo, 0, v3, vcc_lo
	v_cmp_ne_u32_e32 vcc_lo, 0xff, v3
	v_lshlrev_b32_e32 v4, 23, v4
	s_delay_alu instid0(VALU_DEP_1) | instskip(NEXT) | instid1(VALU_DEP_1)
	v_cndmask_b32_e32 v3, 0x7f800000, v4, vcc_lo
	v_div_scale_f32 v4, null, v3, v3, 1.0
	v_div_scale_f32 v10, vcc_lo, 1.0, v3, 1.0
	s_delay_alu instid0(VALU_DEP_2) | instskip(SKIP_2) | instid1(VALU_DEP_1)
	v_rcp_f32_e32 v5, v4
	s_waitcnt_depctr 0xfff
	v_fma_f32 v6, -v4, v5, 1.0
	v_fmac_f32_e32 v5, v6, v5
	s_delay_alu instid0(VALU_DEP_1) | instskip(NEXT) | instid1(VALU_DEP_1)
	v_mul_f32_e32 v6, v10, v5
	v_fma_f32 v11, -v4, v6, v10
	s_delay_alu instid0(VALU_DEP_1) | instskip(NEXT) | instid1(VALU_DEP_1)
	v_fmac_f32_e32 v6, v11, v5
	v_fma_f32 v4, -v4, v6, v10
	s_delay_alu instid0(VALU_DEP_1) | instskip(SKIP_2) | instid1(VALU_DEP_3)
	v_div_fmas_f32 v4, v4, v5, v6
	v_cmp_neq_f32_e32 vcc_lo, 0, v3
	v_mov_b32_e32 v6, 7
	v_div_fixup_f32 v4, v4, v3, 1.0
	s_delay_alu instid0(VALU_DEP_1) | instskip(NEXT) | instid1(VALU_DEP_1)
	v_cndmask_b32_e32 v10, 0, v4, vcc_lo
	v_dual_mov_b32 v4, 7 :: v_dual_mul_f32 v5, v10, v17
	s_delay_alu instid0(VALU_DEP_1)
	v_cmpx_nle_f32_e64 0x40a00000, |v5|
	s_cbranch_execz .LBB20_17
; %bb.6:
	v_mov_b32_e32 v4, 6
	s_mov_b32 s3, exec_lo
	v_cmpx_nle_f32_e64 0x40600000, |v5|
	s_cbranch_execz .LBB20_16
; %bb.7:
	v_mov_b32_e32 v4, 5
	s_mov_b32 s6, exec_lo
	;; [unrolled: 5-line block ×5, first 2 shown]
	v_cmpx_nle_f32_e64 0x3f400000, |v5|
; %bb.11:
	v_cmp_le_f32_e64 s10, 0x3e800000, |v5|
	s_delay_alu instid0(VALU_DEP_1)
	v_cndmask_b32_e64 v4, 0, 1, s10
; %bb.12:
	s_or_b32 exec_lo, exec_lo, s9
.LBB20_13:
	s_delay_alu instid0(SALU_CYCLE_1)
	s_or_b32 exec_lo, exec_lo, s8
.LBB20_14:
	s_delay_alu instid0(SALU_CYCLE_1)
	s_or_b32 exec_lo, exec_lo, s7
.LBB20_15:
	s_delay_alu instid0(SALU_CYCLE_1)
	s_or_b32 exec_lo, exec_lo, s6
.LBB20_16:
	s_delay_alu instid0(SALU_CYCLE_1)
	s_or_b32 exec_lo, exec_lo, s3
.LBB20_17:
	s_delay_alu instid0(SALU_CYCLE_1) | instskip(SKIP_2) | instid1(VALU_DEP_1)
	s_or_b32 exec_lo, exec_lo, s2
	v_mul_f32_e32 v7, v10, v7
	s_mov_b32 s2, exec_lo
	v_cmpx_nle_f32_e64 0x40a00000, |v7|
	s_cbranch_execz .LBB20_29
; %bb.18:
	v_mov_b32_e32 v6, 6
	s_mov_b32 s3, exec_lo
	v_cmpx_nle_f32_e64 0x40600000, |v7|
	s_cbranch_execz .LBB20_28
; %bb.19:
	v_mov_b32_e32 v6, 5
	;; [unrolled: 5-line block ×5, first 2 shown]
	s_mov_b32 s9, exec_lo
	v_cmpx_nle_f32_e64 0x3f400000, |v7|
; %bb.23:
	v_cmp_le_f32_e64 s10, 0x3e800000, |v7|
	s_delay_alu instid0(VALU_DEP_1)
	v_cndmask_b32_e64 v6, 0, 1, s10
; %bb.24:
	s_or_b32 exec_lo, exec_lo, s9
.LBB20_25:
	s_delay_alu instid0(SALU_CYCLE_1)
	s_or_b32 exec_lo, exec_lo, s8
.LBB20_26:
	s_delay_alu instid0(SALU_CYCLE_1)
	s_or_b32 exec_lo, exec_lo, s7
.LBB20_27:
	s_delay_alu instid0(SALU_CYCLE_1)
	s_or_b32 exec_lo, exec_lo, s6
.LBB20_28:
	s_delay_alu instid0(SALU_CYCLE_1)
	s_or_b32 exec_lo, exec_lo, s3
.LBB20_29:
	s_delay_alu instid0(SALU_CYCLE_1) | instskip(SKIP_3) | instid1(VALU_DEP_2)
	s_or_b32 exec_lo, exec_lo, s2
	v_dual_mul_f32 v11, v10, v9 :: v_dual_mov_b32 v12, 7
	v_mov_b32_e32 v9, 7
	s_mov_b32 s2, exec_lo
	v_cmpx_nle_f32_e64 0x40a00000, |v11|
	s_cbranch_execz .LBB20_41
; %bb.30:
	v_mov_b32_e32 v12, 6
	s_mov_b32 s3, exec_lo
	v_cmpx_nle_f32_e64 0x40600000, |v11|
	s_cbranch_execz .LBB20_40
; %bb.31:
	;; [unrolled: 5-line block ×5, first 2 shown]
	v_mov_b32_e32 v12, 2
	s_mov_b32 s9, exec_lo
	v_cmpx_nle_f32_e64 0x3f400000, |v11|
; %bb.35:
	v_cmp_le_f32_e64 s10, 0x3e800000, |v11|
	s_delay_alu instid0(VALU_DEP_1)
	v_cndmask_b32_e64 v12, 0, 1, s10
; %bb.36:
	s_or_b32 exec_lo, exec_lo, s9
.LBB20_37:
	s_delay_alu instid0(SALU_CYCLE_1)
	s_or_b32 exec_lo, exec_lo, s8
.LBB20_38:
	s_delay_alu instid0(SALU_CYCLE_1)
	s_or_b32 exec_lo, exec_lo, s7
.LBB20_39:
	s_delay_alu instid0(SALU_CYCLE_1)
	s_or_b32 exec_lo, exec_lo, s6
.LBB20_40:
	s_delay_alu instid0(SALU_CYCLE_1)
	s_or_b32 exec_lo, exec_lo, s3
.LBB20_41:
	s_delay_alu instid0(SALU_CYCLE_1) | instskip(SKIP_2) | instid1(VALU_DEP_1)
	s_or_b32 exec_lo, exec_lo, s2
	v_mul_f32_e32 v14, v10, v14
	s_mov_b32 s2, exec_lo
	v_cmpx_nle_f32_e64 0x40a00000, |v14|
	s_cbranch_execz .LBB20_53
; %bb.42:
	v_mov_b32_e32 v9, 6
	s_mov_b32 s3, exec_lo
	v_cmpx_nle_f32_e64 0x40600000, |v14|
	s_cbranch_execz .LBB20_52
; %bb.43:
	v_mov_b32_e32 v9, 5
	;; [unrolled: 5-line block ×5, first 2 shown]
	s_mov_b32 s9, exec_lo
	v_cmpx_nle_f32_e64 0x3f400000, |v14|
; %bb.47:
	v_cmp_le_f32_e64 s10, 0x3e800000, |v14|
	s_delay_alu instid0(VALU_DEP_1)
	v_cndmask_b32_e64 v9, 0, 1, s10
; %bb.48:
	s_or_b32 exec_lo, exec_lo, s9
.LBB20_49:
	s_delay_alu instid0(SALU_CYCLE_1)
	s_or_b32 exec_lo, exec_lo, s8
.LBB20_50:
	s_delay_alu instid0(SALU_CYCLE_1)
	s_or_b32 exec_lo, exec_lo, s7
.LBB20_51:
	s_delay_alu instid0(SALU_CYCLE_1)
	s_or_b32 exec_lo, exec_lo, s6
.LBB20_52:
	s_delay_alu instid0(SALU_CYCLE_1)
	s_or_b32 exec_lo, exec_lo, s3
.LBB20_53:
	s_delay_alu instid0(SALU_CYCLE_1) | instskip(SKIP_3) | instid1(VALU_DEP_2)
	s_or_b32 exec_lo, exec_lo, s2
	v_dual_mul_f32 v18, v10, v16 :: v_dual_mov_b32 v17, 7
	v_mov_b32_e32 v16, 7
	s_mov_b32 s2, exec_lo
	v_cmpx_nle_f32_e64 0x40a00000, |v18|
	s_cbranch_execz .LBB20_65
; %bb.54:
	v_mov_b32_e32 v16, 6
	s_mov_b32 s3, exec_lo
	v_cmpx_nle_f32_e64 0x40600000, |v18|
	s_cbranch_execz .LBB20_64
; %bb.55:
	;; [unrolled: 5-line block ×5, first 2 shown]
	v_mov_b32_e32 v16, 2
	s_mov_b32 s9, exec_lo
	v_cmpx_nle_f32_e64 0x3f400000, |v18|
; %bb.59:
	v_cmp_le_f32_e64 s10, 0x3e800000, |v18|
	s_delay_alu instid0(VALU_DEP_1)
	v_cndmask_b32_e64 v16, 0, 1, s10
; %bb.60:
	s_or_b32 exec_lo, exec_lo, s9
.LBB20_61:
	s_delay_alu instid0(SALU_CYCLE_1)
	s_or_b32 exec_lo, exec_lo, s8
.LBB20_62:
	s_delay_alu instid0(SALU_CYCLE_1)
	s_or_b32 exec_lo, exec_lo, s7
.LBB20_63:
	s_delay_alu instid0(SALU_CYCLE_1)
	s_or_b32 exec_lo, exec_lo, s6
.LBB20_64:
	s_delay_alu instid0(SALU_CYCLE_1)
	s_or_b32 exec_lo, exec_lo, s3
.LBB20_65:
	s_delay_alu instid0(SALU_CYCLE_1) | instskip(SKIP_2) | instid1(VALU_DEP_1)
	s_or_b32 exec_lo, exec_lo, s2
	v_mul_f32_e32 v20, v10, v20
	s_mov_b32 s2, exec_lo
	v_cmpx_nle_f32_e64 0x40a00000, |v20|
	s_cbranch_execz .LBB20_77
; %bb.66:
	v_mov_b32_e32 v17, 6
	s_mov_b32 s3, exec_lo
	v_cmpx_nle_f32_e64 0x40600000, |v20|
	s_cbranch_execz .LBB20_76
; %bb.67:
	v_mov_b32_e32 v17, 5
	;; [unrolled: 5-line block ×5, first 2 shown]
	s_mov_b32 s9, exec_lo
	v_cmpx_nle_f32_e64 0x3f400000, |v20|
; %bb.71:
	v_cmp_le_f32_e64 s10, 0x3e800000, |v20|
	s_delay_alu instid0(VALU_DEP_1)
	v_cndmask_b32_e64 v17, 0, 1, s10
; %bb.72:
	s_or_b32 exec_lo, exec_lo, s9
.LBB20_73:
	s_delay_alu instid0(SALU_CYCLE_1)
	s_or_b32 exec_lo, exec_lo, s8
.LBB20_74:
	s_delay_alu instid0(SALU_CYCLE_1)
	s_or_b32 exec_lo, exec_lo, s7
.LBB20_75:
	s_delay_alu instid0(SALU_CYCLE_1)
	s_or_b32 exec_lo, exec_lo, s6
.LBB20_76:
	s_delay_alu instid0(SALU_CYCLE_1)
	s_or_b32 exec_lo, exec_lo, s3
.LBB20_77:
	s_delay_alu instid0(SALU_CYCLE_1) | instskip(SKIP_3) | instid1(VALU_DEP_2)
	s_or_b32 exec_lo, exec_lo, s2
	v_dual_mul_f32 v24, v10, v22 :: v_dual_mov_b32 v23, 7
	v_mov_b32_e32 v22, 7
	s_mov_b32 s2, exec_lo
	v_cmpx_nle_f32_e64 0x40a00000, |v24|
	s_cbranch_execz .LBB20_89
; %bb.78:
	v_mov_b32_e32 v23, 6
	s_mov_b32 s3, exec_lo
	v_cmpx_nle_f32_e64 0x40600000, |v24|
	s_cbranch_execz .LBB20_88
; %bb.79:
	;; [unrolled: 5-line block ×5, first 2 shown]
	v_mov_b32_e32 v23, 2
	s_mov_b32 s9, exec_lo
	v_cmpx_nle_f32_e64 0x3f400000, |v24|
; %bb.83:
	v_cmp_le_f32_e64 s10, 0x3e800000, |v24|
	s_delay_alu instid0(VALU_DEP_1)
	v_cndmask_b32_e64 v23, 0, 1, s10
; %bb.84:
	s_or_b32 exec_lo, exec_lo, s9
.LBB20_85:
	s_delay_alu instid0(SALU_CYCLE_1)
	s_or_b32 exec_lo, exec_lo, s8
.LBB20_86:
	s_delay_alu instid0(SALU_CYCLE_1)
	s_or_b32 exec_lo, exec_lo, s7
.LBB20_87:
	s_delay_alu instid0(SALU_CYCLE_1)
	s_or_b32 exec_lo, exec_lo, s6
.LBB20_88:
	s_delay_alu instid0(SALU_CYCLE_1)
	s_or_b32 exec_lo, exec_lo, s3
.LBB20_89:
	s_delay_alu instid0(SALU_CYCLE_1) | instskip(SKIP_2) | instid1(VALU_DEP_1)
	s_or_b32 exec_lo, exec_lo, s2
	v_mul_f32_e32 v26, v10, v26
	s_mov_b32 s2, exec_lo
	v_cmpx_nle_f32_e64 0x40a00000, |v26|
	s_cbranch_execz .LBB20_101
; %bb.90:
	v_mov_b32_e32 v22, 6
	s_mov_b32 s3, exec_lo
	v_cmpx_nle_f32_e64 0x40600000, |v26|
	s_cbranch_execz .LBB20_100
; %bb.91:
	v_mov_b32_e32 v22, 5
	;; [unrolled: 5-line block ×5, first 2 shown]
	s_mov_b32 s9, exec_lo
	v_cmpx_nle_f32_e64 0x3f400000, |v26|
; %bb.95:
	v_cmp_le_f32_e64 s10, 0x3e800000, |v26|
	s_delay_alu instid0(VALU_DEP_1)
	v_cndmask_b32_e64 v22, 0, 1, s10
; %bb.96:
	s_or_b32 exec_lo, exec_lo, s9
.LBB20_97:
	s_delay_alu instid0(SALU_CYCLE_1)
	s_or_b32 exec_lo, exec_lo, s8
.LBB20_98:
	s_delay_alu instid0(SALU_CYCLE_1)
	s_or_b32 exec_lo, exec_lo, s7
.LBB20_99:
	s_delay_alu instid0(SALU_CYCLE_1)
	s_or_b32 exec_lo, exec_lo, s6
.LBB20_100:
	s_delay_alu instid0(SALU_CYCLE_1)
	s_or_b32 exec_lo, exec_lo, s3
.LBB20_101:
	s_delay_alu instid0(SALU_CYCLE_1) | instskip(SKIP_3) | instid1(VALU_DEP_2)
	s_or_b32 exec_lo, exec_lo, s2
	v_dual_mul_f32 v30, v10, v28 :: v_dual_mov_b32 v29, 7
	v_mov_b32_e32 v28, 7
	s_mov_b32 s2, exec_lo
	v_cmpx_nle_f32_e64 0x40a00000, |v30|
	s_cbranch_execz .LBB20_113
; %bb.102:
	v_mov_b32_e32 v29, 6
	s_mov_b32 s3, exec_lo
	v_cmpx_nle_f32_e64 0x40600000, |v30|
	s_cbranch_execz .LBB20_112
; %bb.103:
	;; [unrolled: 5-line block ×5, first 2 shown]
	v_mov_b32_e32 v29, 2
	s_mov_b32 s9, exec_lo
	v_cmpx_nle_f32_e64 0x3f400000, |v30|
; %bb.107:
	v_cmp_le_f32_e64 s10, 0x3e800000, |v30|
	s_delay_alu instid0(VALU_DEP_1)
	v_cndmask_b32_e64 v29, 0, 1, s10
; %bb.108:
	s_or_b32 exec_lo, exec_lo, s9
.LBB20_109:
	s_delay_alu instid0(SALU_CYCLE_1)
	s_or_b32 exec_lo, exec_lo, s8
.LBB20_110:
	s_delay_alu instid0(SALU_CYCLE_1)
	s_or_b32 exec_lo, exec_lo, s7
.LBB20_111:
	s_delay_alu instid0(SALU_CYCLE_1)
	s_or_b32 exec_lo, exec_lo, s6
.LBB20_112:
	s_delay_alu instid0(SALU_CYCLE_1)
	s_or_b32 exec_lo, exec_lo, s3
.LBB20_113:
	s_delay_alu instid0(SALU_CYCLE_1) | instskip(SKIP_2) | instid1(VALU_DEP_1)
	s_or_b32 exec_lo, exec_lo, s2
	v_mul_f32_e32 v32, v10, v32
	s_mov_b32 s2, exec_lo
	v_cmpx_nle_f32_e64 0x40a00000, |v32|
	s_cbranch_execz .LBB20_125
; %bb.114:
	v_mov_b32_e32 v28, 6
	s_mov_b32 s3, exec_lo
	v_cmpx_nle_f32_e64 0x40600000, |v32|
	s_cbranch_execz .LBB20_124
; %bb.115:
	v_mov_b32_e32 v28, 5
	;; [unrolled: 5-line block ×5, first 2 shown]
	s_mov_b32 s9, exec_lo
	v_cmpx_nle_f32_e64 0x3f400000, |v32|
; %bb.119:
	v_cmp_le_f32_e64 s10, 0x3e800000, |v32|
	s_delay_alu instid0(VALU_DEP_1)
	v_cndmask_b32_e64 v28, 0, 1, s10
; %bb.120:
	s_or_b32 exec_lo, exec_lo, s9
.LBB20_121:
	s_delay_alu instid0(SALU_CYCLE_1)
	s_or_b32 exec_lo, exec_lo, s8
.LBB20_122:
	s_delay_alu instid0(SALU_CYCLE_1)
	s_or_b32 exec_lo, exec_lo, s7
.LBB20_123:
	s_delay_alu instid0(SALU_CYCLE_1)
	s_or_b32 exec_lo, exec_lo, s6
.LBB20_124:
	s_delay_alu instid0(SALU_CYCLE_1)
	s_or_b32 exec_lo, exec_lo, s3
.LBB20_125:
	s_delay_alu instid0(SALU_CYCLE_1) | instskip(SKIP_3) | instid1(VALU_DEP_2)
	s_or_b32 exec_lo, exec_lo, s2
	v_dual_mul_f32 v37, v10, v34 :: v_dual_mov_b32 v34, 7
	v_mov_b32_e32 v35, 7
	s_mov_b32 s2, exec_lo
	v_cmpx_nle_f32_e64 0x40a00000, |v37|
	s_cbranch_execz .LBB20_137
; %bb.126:
	v_mov_b32_e32 v35, 6
	s_mov_b32 s3, exec_lo
	v_cmpx_nle_f32_e64 0x40600000, |v37|
	s_cbranch_execz .LBB20_136
; %bb.127:
	;; [unrolled: 5-line block ×5, first 2 shown]
	v_mov_b32_e32 v35, 2
	s_mov_b32 s9, exec_lo
	v_cmpx_nle_f32_e64 0x3f400000, |v37|
; %bb.131:
	v_cmp_le_f32_e64 s10, 0x3e800000, |v37|
	s_delay_alu instid0(VALU_DEP_1)
	v_cndmask_b32_e64 v35, 0, 1, s10
; %bb.132:
	s_or_b32 exec_lo, exec_lo, s9
.LBB20_133:
	s_delay_alu instid0(SALU_CYCLE_1)
	s_or_b32 exec_lo, exec_lo, s8
.LBB20_134:
	s_delay_alu instid0(SALU_CYCLE_1)
	s_or_b32 exec_lo, exec_lo, s7
.LBB20_135:
	s_delay_alu instid0(SALU_CYCLE_1)
	s_or_b32 exec_lo, exec_lo, s6
.LBB20_136:
	s_delay_alu instid0(SALU_CYCLE_1)
	s_or_b32 exec_lo, exec_lo, s3
.LBB20_137:
	s_delay_alu instid0(SALU_CYCLE_1) | instskip(SKIP_2) | instid1(VALU_DEP_1)
	s_or_b32 exec_lo, exec_lo, s2
	v_mul_f32_e32 v38, v10, v38
	s_mov_b32 s2, exec_lo
	v_cmpx_nle_f32_e64 0x40a00000, |v38|
	s_cbranch_execz .LBB20_149
; %bb.138:
	v_mov_b32_e32 v34, 6
	s_mov_b32 s3, exec_lo
	v_cmpx_nle_f32_e64 0x40600000, |v38|
	s_cbranch_execz .LBB20_148
; %bb.139:
	v_mov_b32_e32 v34, 5
	;; [unrolled: 5-line block ×5, first 2 shown]
	s_mov_b32 s9, exec_lo
	v_cmpx_nle_f32_e64 0x3f400000, |v38|
; %bb.143:
	v_cmp_le_f32_e64 s10, 0x3e800000, |v38|
	s_delay_alu instid0(VALU_DEP_1)
	v_cndmask_b32_e64 v34, 0, 1, s10
; %bb.144:
	s_or_b32 exec_lo, exec_lo, s9
.LBB20_145:
	s_delay_alu instid0(SALU_CYCLE_1)
	s_or_b32 exec_lo, exec_lo, s8
.LBB20_146:
	s_delay_alu instid0(SALU_CYCLE_1)
	s_or_b32 exec_lo, exec_lo, s7
.LBB20_147:
	s_delay_alu instid0(SALU_CYCLE_1)
	s_or_b32 exec_lo, exec_lo, s6
.LBB20_148:
	s_delay_alu instid0(SALU_CYCLE_1)
	s_or_b32 exec_lo, exec_lo, s3
.LBB20_149:
	s_delay_alu instid0(SALU_CYCLE_1) | instskip(SKIP_3) | instid1(VALU_DEP_2)
	s_or_b32 exec_lo, exec_lo, s2
	v_dual_mul_f32 v43, v10, v40 :: v_dual_mov_b32 v40, 7
	v_mov_b32_e32 v44, 7
	s_mov_b32 s2, exec_lo
	v_cmpx_nle_f32_e64 0x40a00000, |v43|
	s_cbranch_execz .LBB20_161
; %bb.150:
	v_mov_b32_e32 v44, 6
	s_mov_b32 s3, exec_lo
	v_cmpx_nle_f32_e64 0x40600000, |v43|
	s_cbranch_execz .LBB20_160
; %bb.151:
	;; [unrolled: 5-line block ×5, first 2 shown]
	v_mov_b32_e32 v44, 2
	s_mov_b32 s9, exec_lo
	v_cmpx_nle_f32_e64 0x3f400000, |v43|
; %bb.155:
	v_cmp_le_f32_e64 s10, 0x3e800000, |v43|
	s_delay_alu instid0(VALU_DEP_1)
	v_cndmask_b32_e64 v44, 0, 1, s10
; %bb.156:
	s_or_b32 exec_lo, exec_lo, s9
.LBB20_157:
	s_delay_alu instid0(SALU_CYCLE_1)
	s_or_b32 exec_lo, exec_lo, s8
.LBB20_158:
	s_delay_alu instid0(SALU_CYCLE_1)
	s_or_b32 exec_lo, exec_lo, s7
.LBB20_159:
	s_delay_alu instid0(SALU_CYCLE_1)
	s_or_b32 exec_lo, exec_lo, s6
.LBB20_160:
	s_delay_alu instid0(SALU_CYCLE_1)
	s_or_b32 exec_lo, exec_lo, s3
.LBB20_161:
	s_delay_alu instid0(SALU_CYCLE_1) | instskip(SKIP_2) | instid1(VALU_DEP_1)
	s_or_b32 exec_lo, exec_lo, s2
	v_mul_f32_e32 v42, v10, v42
	s_mov_b32 s2, exec_lo
	v_cmpx_nle_f32_e64 0x40a00000, |v42|
	s_cbranch_execz .LBB20_173
; %bb.162:
	v_mov_b32_e32 v40, 6
	s_mov_b32 s3, exec_lo
	v_cmpx_nle_f32_e64 0x40600000, |v42|
	s_cbranch_execz .LBB20_172
; %bb.163:
	v_mov_b32_e32 v40, 5
	;; [unrolled: 5-line block ×5, first 2 shown]
	s_mov_b32 s9, exec_lo
	v_cmpx_nle_f32_e64 0x3f400000, |v42|
; %bb.167:
	v_cmp_le_f32_e64 s10, 0x3e800000, |v42|
	s_delay_alu instid0(VALU_DEP_1)
	v_cndmask_b32_e64 v40, 0, 1, s10
; %bb.168:
	s_or_b32 exec_lo, exec_lo, s9
.LBB20_169:
	s_delay_alu instid0(SALU_CYCLE_1)
	s_or_b32 exec_lo, exec_lo, s8
.LBB20_170:
	s_delay_alu instid0(SALU_CYCLE_1)
	s_or_b32 exec_lo, exec_lo, s7
.LBB20_171:
	s_delay_alu instid0(SALU_CYCLE_1)
	s_or_b32 exec_lo, exec_lo, s6
.LBB20_172:
	s_delay_alu instid0(SALU_CYCLE_1)
	s_or_b32 exec_lo, exec_lo, s3
.LBB20_173:
	s_delay_alu instid0(SALU_CYCLE_1) | instskip(SKIP_3) | instid1(VALU_DEP_2)
	s_or_b32 exec_lo, exec_lo, s2
	v_dual_mul_f32 v50, v10, v46 :: v_dual_mov_b32 v49, 7
	v_mov_b32_e32 v46, 7
	s_mov_b32 s2, exec_lo
	v_cmpx_nle_f32_e64 0x40a00000, |v50|
	s_cbranch_execz .LBB20_185
; %bb.174:
	v_mov_b32_e32 v49, 6
	s_mov_b32 s3, exec_lo
	v_cmpx_nle_f32_e64 0x40600000, |v50|
	s_cbranch_execz .LBB20_184
; %bb.175:
	;; [unrolled: 5-line block ×5, first 2 shown]
	v_mov_b32_e32 v49, 2
	s_mov_b32 s9, exec_lo
	v_cmpx_nle_f32_e64 0x3f400000, |v50|
; %bb.179:
	v_cmp_le_f32_e64 s10, 0x3e800000, |v50|
	s_delay_alu instid0(VALU_DEP_1)
	v_cndmask_b32_e64 v49, 0, 1, s10
; %bb.180:
	s_or_b32 exec_lo, exec_lo, s9
.LBB20_181:
	s_delay_alu instid0(SALU_CYCLE_1)
	s_or_b32 exec_lo, exec_lo, s8
.LBB20_182:
	s_delay_alu instid0(SALU_CYCLE_1)
	s_or_b32 exec_lo, exec_lo, s7
.LBB20_183:
	s_delay_alu instid0(SALU_CYCLE_1)
	s_or_b32 exec_lo, exec_lo, s6
.LBB20_184:
	s_delay_alu instid0(SALU_CYCLE_1)
	s_or_b32 exec_lo, exec_lo, s3
.LBB20_185:
	s_delay_alu instid0(SALU_CYCLE_1) | instskip(SKIP_2) | instid1(VALU_DEP_1)
	s_or_b32 exec_lo, exec_lo, s2
	v_mul_f32_e32 v47, v10, v47
	s_mov_b32 s2, exec_lo
	v_cmpx_nle_f32_e64 0x40a00000, |v47|
	s_cbranch_execz .LBB20_197
; %bb.186:
	v_mov_b32_e32 v46, 6
	s_mov_b32 s3, exec_lo
	v_cmpx_nle_f32_e64 0x40600000, |v47|
	s_cbranch_execz .LBB20_196
; %bb.187:
	v_mov_b32_e32 v46, 5
	;; [unrolled: 5-line block ×5, first 2 shown]
	s_mov_b32 s9, exec_lo
	v_cmpx_nle_f32_e64 0x3f400000, |v47|
; %bb.191:
	v_cmp_le_f32_e64 s10, 0x3e800000, |v47|
	s_delay_alu instid0(VALU_DEP_1)
	v_cndmask_b32_e64 v46, 0, 1, s10
; %bb.192:
	s_or_b32 exec_lo, exec_lo, s9
.LBB20_193:
	s_delay_alu instid0(SALU_CYCLE_1)
	s_or_b32 exec_lo, exec_lo, s8
.LBB20_194:
	s_delay_alu instid0(SALU_CYCLE_1)
	s_or_b32 exec_lo, exec_lo, s7
.LBB20_195:
	s_delay_alu instid0(SALU_CYCLE_1)
	s_or_b32 exec_lo, exec_lo, s6
.LBB20_196:
	s_delay_alu instid0(SALU_CYCLE_1)
	s_or_b32 exec_lo, exec_lo, s3
.LBB20_197:
	s_delay_alu instid0(SALU_CYCLE_1) | instskip(SKIP_3) | instid1(VALU_DEP_2)
	s_or_b32 exec_lo, exec_lo, s2
	v_dual_mul_f32 v54, v10, v51 :: v_dual_mov_b32 v51, 7
	v_mov_b32_e32 v53, 7
	s_mov_b32 s2, exec_lo
	v_cmpx_nle_f32_e64 0x40a00000, |v54|
	s_cbranch_execz .LBB20_209
; %bb.198:
	v_mov_b32_e32 v53, 6
	s_mov_b32 s3, exec_lo
	v_cmpx_nle_f32_e64 0x40600000, |v54|
	s_cbranch_execz .LBB20_208
; %bb.199:
	;; [unrolled: 5-line block ×5, first 2 shown]
	v_mov_b32_e32 v53, 2
	s_mov_b32 s9, exec_lo
	v_cmpx_nle_f32_e64 0x3f400000, |v54|
; %bb.203:
	v_cmp_le_f32_e64 s10, 0x3e800000, |v54|
	s_delay_alu instid0(VALU_DEP_1)
	v_cndmask_b32_e64 v53, 0, 1, s10
; %bb.204:
	s_or_b32 exec_lo, exec_lo, s9
.LBB20_205:
	s_delay_alu instid0(SALU_CYCLE_1)
	s_or_b32 exec_lo, exec_lo, s8
.LBB20_206:
	s_delay_alu instid0(SALU_CYCLE_1)
	s_or_b32 exec_lo, exec_lo, s7
.LBB20_207:
	s_delay_alu instid0(SALU_CYCLE_1)
	s_or_b32 exec_lo, exec_lo, s6
.LBB20_208:
	s_delay_alu instid0(SALU_CYCLE_1)
	s_or_b32 exec_lo, exec_lo, s3
.LBB20_209:
	s_delay_alu instid0(SALU_CYCLE_1) | instskip(SKIP_2) | instid1(VALU_DEP_1)
	s_or_b32 exec_lo, exec_lo, s2
	v_mul_f32_e32 v52, v10, v52
	s_mov_b32 s2, exec_lo
	v_cmpx_nle_f32_e64 0x40a00000, |v52|
	s_cbranch_execz .LBB20_221
; %bb.210:
	v_mov_b32_e32 v51, 6
	s_mov_b32 s3, exec_lo
	v_cmpx_nle_f32_e64 0x40600000, |v52|
	s_cbranch_execz .LBB20_220
; %bb.211:
	v_mov_b32_e32 v51, 5
	;; [unrolled: 5-line block ×5, first 2 shown]
	s_mov_b32 s9, exec_lo
	v_cmpx_nle_f32_e64 0x3f400000, |v52|
; %bb.215:
	v_cmp_le_f32_e64 s10, 0x3e800000, |v52|
	s_delay_alu instid0(VALU_DEP_1)
	v_cndmask_b32_e64 v51, 0, 1, s10
; %bb.216:
	s_or_b32 exec_lo, exec_lo, s9
.LBB20_217:
	s_delay_alu instid0(SALU_CYCLE_1)
	s_or_b32 exec_lo, exec_lo, s8
.LBB20_218:
	s_delay_alu instid0(SALU_CYCLE_1)
	s_or_b32 exec_lo, exec_lo, s7
.LBB20_219:
	s_delay_alu instid0(SALU_CYCLE_1)
	s_or_b32 exec_lo, exec_lo, s6
.LBB20_220:
	s_delay_alu instid0(SALU_CYCLE_1)
	s_or_b32 exec_lo, exec_lo, s3
.LBB20_221:
	s_delay_alu instid0(SALU_CYCLE_1) | instskip(SKIP_3) | instid1(VALU_DEP_2)
	s_or_b32 exec_lo, exec_lo, s2
	v_dual_mul_f32 v56, v10, v48 :: v_dual_mov_b32 v55, 7
	v_mov_b32_e32 v48, 7
	s_mov_b32 s2, exec_lo
	v_cmpx_nle_f32_e64 0x40a00000, |v56|
	s_cbranch_execz .LBB20_233
; %bb.222:
	v_mov_b32_e32 v55, 6
	s_mov_b32 s3, exec_lo
	v_cmpx_nle_f32_e64 0x40600000, |v56|
	s_cbranch_execz .LBB20_232
; %bb.223:
	;; [unrolled: 5-line block ×5, first 2 shown]
	v_mov_b32_e32 v55, 2
	s_mov_b32 s9, exec_lo
	v_cmpx_nle_f32_e64 0x3f400000, |v56|
; %bb.227:
	v_cmp_le_f32_e64 s10, 0x3e800000, |v56|
	s_delay_alu instid0(VALU_DEP_1)
	v_cndmask_b32_e64 v55, 0, 1, s10
; %bb.228:
	s_or_b32 exec_lo, exec_lo, s9
.LBB20_229:
	s_delay_alu instid0(SALU_CYCLE_1)
	s_or_b32 exec_lo, exec_lo, s8
.LBB20_230:
	s_delay_alu instid0(SALU_CYCLE_1)
	s_or_b32 exec_lo, exec_lo, s7
.LBB20_231:
	s_delay_alu instid0(SALU_CYCLE_1)
	s_or_b32 exec_lo, exec_lo, s6
.LBB20_232:
	s_delay_alu instid0(SALU_CYCLE_1)
	s_or_b32 exec_lo, exec_lo, s3
.LBB20_233:
	s_delay_alu instid0(SALU_CYCLE_1) | instskip(SKIP_2) | instid1(VALU_DEP_1)
	s_or_b32 exec_lo, exec_lo, s2
	v_mul_f32_e32 v45, v10, v45
	s_mov_b32 s2, exec_lo
	v_cmpx_nle_f32_e64 0x40a00000, |v45|
	s_cbranch_execz .LBB20_245
; %bb.234:
	v_mov_b32_e32 v48, 6
	s_mov_b32 s3, exec_lo
	v_cmpx_nle_f32_e64 0x40600000, |v45|
	s_cbranch_execz .LBB20_244
; %bb.235:
	v_mov_b32_e32 v48, 5
	;; [unrolled: 5-line block ×5, first 2 shown]
	s_mov_b32 s9, exec_lo
	v_cmpx_nle_f32_e64 0x3f400000, |v45|
; %bb.239:
	v_cmp_le_f32_e64 s10, 0x3e800000, |v45|
	s_delay_alu instid0(VALU_DEP_1)
	v_cndmask_b32_e64 v48, 0, 1, s10
; %bb.240:
	s_or_b32 exec_lo, exec_lo, s9
.LBB20_241:
	s_delay_alu instid0(SALU_CYCLE_1)
	s_or_b32 exec_lo, exec_lo, s8
.LBB20_242:
	s_delay_alu instid0(SALU_CYCLE_1)
	s_or_b32 exec_lo, exec_lo, s7
.LBB20_243:
	s_delay_alu instid0(SALU_CYCLE_1)
	s_or_b32 exec_lo, exec_lo, s6
.LBB20_244:
	s_delay_alu instid0(SALU_CYCLE_1)
	s_or_b32 exec_lo, exec_lo, s3
.LBB20_245:
	s_delay_alu instid0(SALU_CYCLE_1) | instskip(SKIP_3) | instid1(VALU_DEP_2)
	s_or_b32 exec_lo, exec_lo, s2
	v_dual_mul_f32 v58, v10, v41 :: v_dual_mov_b32 v41, 7
	v_mov_b32_e32 v57, 7
	s_mov_b32 s2, exec_lo
	v_cmpx_nle_f32_e64 0x40a00000, |v58|
	s_cbranch_execz .LBB20_257
; %bb.246:
	v_mov_b32_e32 v57, 6
	s_mov_b32 s3, exec_lo
	v_cmpx_nle_f32_e64 0x40600000, |v58|
	s_cbranch_execz .LBB20_256
; %bb.247:
	;; [unrolled: 5-line block ×5, first 2 shown]
	v_mov_b32_e32 v57, 2
	s_mov_b32 s9, exec_lo
	v_cmpx_nle_f32_e64 0x3f400000, |v58|
; %bb.251:
	v_cmp_le_f32_e64 s10, 0x3e800000, |v58|
	s_delay_alu instid0(VALU_DEP_1)
	v_cndmask_b32_e64 v57, 0, 1, s10
; %bb.252:
	s_or_b32 exec_lo, exec_lo, s9
.LBB20_253:
	s_delay_alu instid0(SALU_CYCLE_1)
	s_or_b32 exec_lo, exec_lo, s8
.LBB20_254:
	s_delay_alu instid0(SALU_CYCLE_1)
	s_or_b32 exec_lo, exec_lo, s7
.LBB20_255:
	s_delay_alu instid0(SALU_CYCLE_1)
	s_or_b32 exec_lo, exec_lo, s6
.LBB20_256:
	s_delay_alu instid0(SALU_CYCLE_1)
	s_or_b32 exec_lo, exec_lo, s3
.LBB20_257:
	s_delay_alu instid0(SALU_CYCLE_1) | instskip(SKIP_2) | instid1(VALU_DEP_1)
	s_or_b32 exec_lo, exec_lo, s2
	v_mul_f32_e32 v39, v10, v39
	s_mov_b32 s2, exec_lo
	v_cmpx_nle_f32_e64 0x40a00000, |v39|
	s_cbranch_execz .LBB20_269
; %bb.258:
	v_mov_b32_e32 v41, 6
	s_mov_b32 s3, exec_lo
	v_cmpx_nle_f32_e64 0x40600000, |v39|
	s_cbranch_execz .LBB20_268
; %bb.259:
	v_mov_b32_e32 v41, 5
	;; [unrolled: 5-line block ×5, first 2 shown]
	s_mov_b32 s9, exec_lo
	v_cmpx_nle_f32_e64 0x3f400000, |v39|
; %bb.263:
	v_cmp_le_f32_e64 s10, 0x3e800000, |v39|
	s_delay_alu instid0(VALU_DEP_1)
	v_cndmask_b32_e64 v41, 0, 1, s10
; %bb.264:
	s_or_b32 exec_lo, exec_lo, s9
.LBB20_265:
	s_delay_alu instid0(SALU_CYCLE_1)
	s_or_b32 exec_lo, exec_lo, s8
.LBB20_266:
	s_delay_alu instid0(SALU_CYCLE_1)
	s_or_b32 exec_lo, exec_lo, s7
.LBB20_267:
	s_delay_alu instid0(SALU_CYCLE_1)
	s_or_b32 exec_lo, exec_lo, s6
.LBB20_268:
	s_delay_alu instid0(SALU_CYCLE_1)
	s_or_b32 exec_lo, exec_lo, s3
.LBB20_269:
	s_delay_alu instid0(SALU_CYCLE_1) | instskip(SKIP_3) | instid1(VALU_DEP_2)
	s_or_b32 exec_lo, exec_lo, s2
	v_dual_mul_f32 v59, v10, v36 :: v_dual_mov_b32 v36, 7
	v_mov_b32_e32 v60, 7
	s_mov_b32 s2, exec_lo
	v_cmpx_nle_f32_e64 0x40a00000, |v59|
	s_cbranch_execz .LBB20_281
; %bb.270:
	v_mov_b32_e32 v60, 6
	s_mov_b32 s3, exec_lo
	v_cmpx_nle_f32_e64 0x40600000, |v59|
	s_cbranch_execz .LBB20_280
; %bb.271:
	;; [unrolled: 5-line block ×5, first 2 shown]
	v_mov_b32_e32 v60, 2
	s_mov_b32 s9, exec_lo
	v_cmpx_nle_f32_e64 0x3f400000, |v59|
; %bb.275:
	v_cmp_le_f32_e64 s10, 0x3e800000, |v59|
	s_delay_alu instid0(VALU_DEP_1)
	v_cndmask_b32_e64 v60, 0, 1, s10
; %bb.276:
	s_or_b32 exec_lo, exec_lo, s9
.LBB20_277:
	s_delay_alu instid0(SALU_CYCLE_1)
	s_or_b32 exec_lo, exec_lo, s8
.LBB20_278:
	s_delay_alu instid0(SALU_CYCLE_1)
	s_or_b32 exec_lo, exec_lo, s7
.LBB20_279:
	s_delay_alu instid0(SALU_CYCLE_1)
	s_or_b32 exec_lo, exec_lo, s6
.LBB20_280:
	s_delay_alu instid0(SALU_CYCLE_1)
	s_or_b32 exec_lo, exec_lo, s3
.LBB20_281:
	s_delay_alu instid0(SALU_CYCLE_1) | instskip(SKIP_2) | instid1(VALU_DEP_1)
	s_or_b32 exec_lo, exec_lo, s2
	v_mul_f32_e32 v33, v10, v33
	s_mov_b32 s2, exec_lo
	v_cmpx_nle_f32_e64 0x40a00000, |v33|
	s_cbranch_execz .LBB20_293
; %bb.282:
	v_mov_b32_e32 v36, 6
	s_mov_b32 s3, exec_lo
	v_cmpx_nle_f32_e64 0x40600000, |v33|
	s_cbranch_execz .LBB20_292
; %bb.283:
	v_mov_b32_e32 v36, 5
	;; [unrolled: 5-line block ×5, first 2 shown]
	s_mov_b32 s9, exec_lo
	v_cmpx_nle_f32_e64 0x3f400000, |v33|
; %bb.287:
	v_cmp_le_f32_e64 s10, 0x3e800000, |v33|
	s_delay_alu instid0(VALU_DEP_1)
	v_cndmask_b32_e64 v36, 0, 1, s10
; %bb.288:
	s_or_b32 exec_lo, exec_lo, s9
.LBB20_289:
	s_delay_alu instid0(SALU_CYCLE_1)
	s_or_b32 exec_lo, exec_lo, s8
.LBB20_290:
	s_delay_alu instid0(SALU_CYCLE_1)
	s_or_b32 exec_lo, exec_lo, s7
.LBB20_291:
	s_delay_alu instid0(SALU_CYCLE_1)
	s_or_b32 exec_lo, exec_lo, s6
.LBB20_292:
	s_delay_alu instid0(SALU_CYCLE_1)
	s_or_b32 exec_lo, exec_lo, s3
.LBB20_293:
	s_delay_alu instid0(SALU_CYCLE_1) | instskip(SKIP_3) | instid1(VALU_DEP_2)
	s_or_b32 exec_lo, exec_lo, s2
	v_dual_mul_f32 v62, v10, v31 :: v_dual_mov_b32 v31, 7
	v_mov_b32_e32 v61, 7
	s_mov_b32 s2, exec_lo
	v_cmpx_nle_f32_e64 0x40a00000, |v62|
	s_cbranch_execz .LBB20_305
; %bb.294:
	v_mov_b32_e32 v61, 6
	s_mov_b32 s3, exec_lo
	v_cmpx_nle_f32_e64 0x40600000, |v62|
	s_cbranch_execz .LBB20_304
; %bb.295:
	;; [unrolled: 5-line block ×5, first 2 shown]
	v_mov_b32_e32 v61, 2
	s_mov_b32 s9, exec_lo
	v_cmpx_nle_f32_e64 0x3f400000, |v62|
; %bb.299:
	v_cmp_le_f32_e64 s10, 0x3e800000, |v62|
	s_delay_alu instid0(VALU_DEP_1)
	v_cndmask_b32_e64 v61, 0, 1, s10
; %bb.300:
	s_or_b32 exec_lo, exec_lo, s9
.LBB20_301:
	s_delay_alu instid0(SALU_CYCLE_1)
	s_or_b32 exec_lo, exec_lo, s8
.LBB20_302:
	s_delay_alu instid0(SALU_CYCLE_1)
	s_or_b32 exec_lo, exec_lo, s7
.LBB20_303:
	s_delay_alu instid0(SALU_CYCLE_1)
	s_or_b32 exec_lo, exec_lo, s6
.LBB20_304:
	s_delay_alu instid0(SALU_CYCLE_1)
	s_or_b32 exec_lo, exec_lo, s3
.LBB20_305:
	s_delay_alu instid0(SALU_CYCLE_1) | instskip(SKIP_2) | instid1(VALU_DEP_1)
	s_or_b32 exec_lo, exec_lo, s2
	v_mul_f32_e32 v27, v10, v27
	s_mov_b32 s2, exec_lo
	v_cmpx_nle_f32_e64 0x40a00000, |v27|
	s_cbranch_execz .LBB20_317
; %bb.306:
	v_mov_b32_e32 v31, 6
	s_mov_b32 s3, exec_lo
	v_cmpx_nle_f32_e64 0x40600000, |v27|
	s_cbranch_execz .LBB20_316
; %bb.307:
	v_mov_b32_e32 v31, 5
	;; [unrolled: 5-line block ×5, first 2 shown]
	s_mov_b32 s9, exec_lo
	v_cmpx_nle_f32_e64 0x3f400000, |v27|
; %bb.311:
	v_cmp_le_f32_e64 s10, 0x3e800000, |v27|
	s_delay_alu instid0(VALU_DEP_1)
	v_cndmask_b32_e64 v31, 0, 1, s10
; %bb.312:
	s_or_b32 exec_lo, exec_lo, s9
.LBB20_313:
	s_delay_alu instid0(SALU_CYCLE_1)
	s_or_b32 exec_lo, exec_lo, s8
.LBB20_314:
	s_delay_alu instid0(SALU_CYCLE_1)
	s_or_b32 exec_lo, exec_lo, s7
.LBB20_315:
	s_delay_alu instid0(SALU_CYCLE_1)
	s_or_b32 exec_lo, exec_lo, s6
.LBB20_316:
	s_delay_alu instid0(SALU_CYCLE_1)
	s_or_b32 exec_lo, exec_lo, s3
.LBB20_317:
	s_delay_alu instid0(SALU_CYCLE_1) | instskip(SKIP_3) | instid1(VALU_DEP_2)
	s_or_b32 exec_lo, exec_lo, s2
	v_dual_mul_f32 v64, v10, v25 :: v_dual_mov_b32 v25, 7
	v_mov_b32_e32 v63, 7
	s_mov_b32 s2, exec_lo
	v_cmpx_nle_f32_e64 0x40a00000, |v64|
	s_cbranch_execz .LBB20_329
; %bb.318:
	v_mov_b32_e32 v63, 6
	s_mov_b32 s3, exec_lo
	v_cmpx_nle_f32_e64 0x40600000, |v64|
	s_cbranch_execz .LBB20_328
; %bb.319:
	;; [unrolled: 5-line block ×5, first 2 shown]
	v_mov_b32_e32 v63, 2
	s_mov_b32 s9, exec_lo
	v_cmpx_nle_f32_e64 0x3f400000, |v64|
; %bb.323:
	v_cmp_le_f32_e64 s10, 0x3e800000, |v64|
	s_delay_alu instid0(VALU_DEP_1)
	v_cndmask_b32_e64 v63, 0, 1, s10
; %bb.324:
	s_or_b32 exec_lo, exec_lo, s9
.LBB20_325:
	s_delay_alu instid0(SALU_CYCLE_1)
	s_or_b32 exec_lo, exec_lo, s8
.LBB20_326:
	s_delay_alu instid0(SALU_CYCLE_1)
	s_or_b32 exec_lo, exec_lo, s7
.LBB20_327:
	s_delay_alu instid0(SALU_CYCLE_1)
	s_or_b32 exec_lo, exec_lo, s6
.LBB20_328:
	s_delay_alu instid0(SALU_CYCLE_1)
	s_or_b32 exec_lo, exec_lo, s3
.LBB20_329:
	s_delay_alu instid0(SALU_CYCLE_1) | instskip(SKIP_2) | instid1(VALU_DEP_1)
	s_or_b32 exec_lo, exec_lo, s2
	v_mul_f32_e32 v21, v10, v21
	s_mov_b32 s2, exec_lo
	v_cmpx_nle_f32_e64 0x40a00000, |v21|
	s_cbranch_execz .LBB20_341
; %bb.330:
	v_mov_b32_e32 v25, 6
	s_mov_b32 s3, exec_lo
	v_cmpx_nle_f32_e64 0x40600000, |v21|
	s_cbranch_execz .LBB20_340
; %bb.331:
	v_mov_b32_e32 v25, 5
	;; [unrolled: 5-line block ×5, first 2 shown]
	s_mov_b32 s9, exec_lo
	v_cmpx_nle_f32_e64 0x3f400000, |v21|
; %bb.335:
	v_cmp_le_f32_e64 s10, 0x3e800000, |v21|
	s_delay_alu instid0(VALU_DEP_1)
	v_cndmask_b32_e64 v25, 0, 1, s10
; %bb.336:
	s_or_b32 exec_lo, exec_lo, s9
.LBB20_337:
	s_delay_alu instid0(SALU_CYCLE_1)
	s_or_b32 exec_lo, exec_lo, s8
.LBB20_338:
	s_delay_alu instid0(SALU_CYCLE_1)
	s_or_b32 exec_lo, exec_lo, s7
.LBB20_339:
	s_delay_alu instid0(SALU_CYCLE_1)
	s_or_b32 exec_lo, exec_lo, s6
.LBB20_340:
	s_delay_alu instid0(SALU_CYCLE_1)
	s_or_b32 exec_lo, exec_lo, s3
.LBB20_341:
	s_delay_alu instid0(SALU_CYCLE_1) | instskip(SKIP_3) | instid1(VALU_DEP_2)
	s_or_b32 exec_lo, exec_lo, s2
	v_dual_mul_f32 v65, v10, v19 :: v_dual_mov_b32 v66, 7
	v_mov_b32_e32 v19, 7
	s_mov_b32 s2, exec_lo
	v_cmpx_nle_f32_e64 0x40a00000, |v65|
	s_cbranch_execz .LBB20_353
; %bb.342:
	v_mov_b32_e32 v66, 6
	s_mov_b32 s3, exec_lo
	v_cmpx_nle_f32_e64 0x40600000, |v65|
	s_cbranch_execz .LBB20_352
; %bb.343:
	;; [unrolled: 5-line block ×5, first 2 shown]
	v_mov_b32_e32 v66, 2
	s_mov_b32 s9, exec_lo
	v_cmpx_nle_f32_e64 0x3f400000, |v65|
; %bb.347:
	v_cmp_le_f32_e64 s10, 0x3e800000, |v65|
	s_delay_alu instid0(VALU_DEP_1)
	v_cndmask_b32_e64 v66, 0, 1, s10
; %bb.348:
	s_or_b32 exec_lo, exec_lo, s9
.LBB20_349:
	s_delay_alu instid0(SALU_CYCLE_1)
	s_or_b32 exec_lo, exec_lo, s8
.LBB20_350:
	s_delay_alu instid0(SALU_CYCLE_1)
	s_or_b32 exec_lo, exec_lo, s7
.LBB20_351:
	s_delay_alu instid0(SALU_CYCLE_1)
	s_or_b32 exec_lo, exec_lo, s6
.LBB20_352:
	s_delay_alu instid0(SALU_CYCLE_1)
	s_or_b32 exec_lo, exec_lo, s3
.LBB20_353:
	s_delay_alu instid0(SALU_CYCLE_1) | instskip(SKIP_2) | instid1(VALU_DEP_1)
	s_or_b32 exec_lo, exec_lo, s2
	v_mul_f32_e32 v15, v10, v15
	s_mov_b32 s2, exec_lo
	v_cmpx_nle_f32_e64 0x40a00000, |v15|
	s_cbranch_execz .LBB20_365
; %bb.354:
	v_mov_b32_e32 v19, 6
	s_mov_b32 s3, exec_lo
	v_cmpx_nle_f32_e64 0x40600000, |v15|
	s_cbranch_execz .LBB20_364
; %bb.355:
	v_mov_b32_e32 v19, 5
	;; [unrolled: 5-line block ×5, first 2 shown]
	s_mov_b32 s9, exec_lo
	v_cmpx_nle_f32_e64 0x3f400000, |v15|
; %bb.359:
	v_cmp_le_f32_e64 s10, 0x3e800000, |v15|
	s_delay_alu instid0(VALU_DEP_1)
	v_cndmask_b32_e64 v19, 0, 1, s10
; %bb.360:
	s_or_b32 exec_lo, exec_lo, s9
.LBB20_361:
	s_delay_alu instid0(SALU_CYCLE_1)
	s_or_b32 exec_lo, exec_lo, s8
.LBB20_362:
	s_delay_alu instid0(SALU_CYCLE_1)
	s_or_b32 exec_lo, exec_lo, s7
.LBB20_363:
	s_delay_alu instid0(SALU_CYCLE_1)
	s_or_b32 exec_lo, exec_lo, s6
.LBB20_364:
	s_delay_alu instid0(SALU_CYCLE_1)
	s_or_b32 exec_lo, exec_lo, s3
.LBB20_365:
	s_delay_alu instid0(SALU_CYCLE_1) | instskip(SKIP_4) | instid1(VALU_DEP_2)
	s_or_b32 exec_lo, exec_lo, s2
	s_load_b64 s[2:3], s[0:1], 0x10
	v_dual_mul_f32 v68, v10, v13 :: v_dual_mov_b32 v13, 7
	v_mov_b32_e32 v67, 7
	s_mov_b32 s6, exec_lo
	v_cmpx_nle_f32_e64 0x40a00000, |v68|
	s_cbranch_execz .LBB20_377
; %bb.366:
	v_mov_b32_e32 v67, 6
	s_mov_b32 s7, exec_lo
	v_cmpx_nle_f32_e64 0x40600000, |v68|
	s_cbranch_execz .LBB20_376
; %bb.367:
	;; [unrolled: 5-line block ×5, first 2 shown]
	v_mov_b32_e32 v67, 2
	s_mov_b32 s11, exec_lo
	v_cmpx_nle_f32_e64 0x3f400000, |v68|
; %bb.371:
	v_cmp_le_f32_e64 s12, 0x3e800000, |v68|
	s_delay_alu instid0(VALU_DEP_1)
	v_cndmask_b32_e64 v67, 0, 1, s12
; %bb.372:
	s_or_b32 exec_lo, exec_lo, s11
.LBB20_373:
	s_delay_alu instid0(SALU_CYCLE_1)
	s_or_b32 exec_lo, exec_lo, s10
.LBB20_374:
	s_delay_alu instid0(SALU_CYCLE_1)
	s_or_b32 exec_lo, exec_lo, s9
.LBB20_375:
	s_delay_alu instid0(SALU_CYCLE_1)
	s_or_b32 exec_lo, exec_lo, s8
.LBB20_376:
	s_delay_alu instid0(SALU_CYCLE_1)
	s_or_b32 exec_lo, exec_lo, s7
.LBB20_377:
	s_delay_alu instid0(SALU_CYCLE_1) | instskip(SKIP_3) | instid1(VALU_DEP_1)
	s_or_b32 exec_lo, exec_lo, s6
	s_load_b64 s[0:1], s[0:1], 0x8
	v_mul_f32_e32 v8, v10, v8
	s_mov_b32 s6, exec_lo
	v_cmpx_nle_f32_e64 0x40a00000, |v8|
	s_cbranch_execz .LBB20_389
; %bb.378:
	v_mov_b32_e32 v13, 6
	s_mov_b32 s7, exec_lo
	v_cmpx_nle_f32_e64 0x40600000, |v8|
	s_cbranch_execz .LBB20_388
; %bb.379:
	v_mov_b32_e32 v13, 5
	;; [unrolled: 5-line block ×5, first 2 shown]
	s_mov_b32 s11, exec_lo
	v_cmpx_nle_f32_e64 0x3f400000, |v8|
; %bb.383:
	v_cmp_le_f32_e64 s12, 0x3e800000, |v8|
	s_delay_alu instid0(VALU_DEP_1)
	v_cndmask_b32_e64 v13, 0, 1, s12
; %bb.384:
	s_or_b32 exec_lo, exec_lo, s11
.LBB20_385:
	s_delay_alu instid0(SALU_CYCLE_1)
	s_or_b32 exec_lo, exec_lo, s10
.LBB20_386:
	s_delay_alu instid0(SALU_CYCLE_1)
	s_or_b32 exec_lo, exec_lo, s9
.LBB20_387:
	s_delay_alu instid0(SALU_CYCLE_1)
	s_or_b32 exec_lo, exec_lo, s8
.LBB20_388:
	s_delay_alu instid0(SALU_CYCLE_1)
	s_or_b32 exec_lo, exec_lo, s7
.LBB20_389:
	s_delay_alu instid0(SALU_CYCLE_1)
	s_or_b32 exec_lo, exec_lo, s6
	v_cmp_gt_f32_e32 vcc_lo, 0, v68
	v_lshlrev_b16 v6, 4, v6
	v_lshlrev_b16 v9, 4, v9
	;; [unrolled: 1-line block ×4, first 2 shown]
	v_cndmask_b32_e64 v10, 0, 1, vcc_lo
	v_cmp_gt_f32_e32 vcc_lo, 0, v65
	v_lshlrev_b16 v19, 4, v19
	s_lshr_b32 s6, s4, 31
	s_delay_alu instid0(SALU_CYCLE_1) | instskip(SKIP_4) | instid1(VALU_DEP_3)
	s_add_i32 s4, s4, s6
	v_cndmask_b32_e64 v65, 0, 1, vcc_lo
	v_cmp_gt_f32_e32 vcc_lo, 0, v64
	v_lshlrev_b16 v10, 3, v10
	s_ashr_i32 s4, s4, 1
	v_lshlrev_b16 v65, 3, v65
	v_cndmask_b32_e64 v64, 0, 1, vcc_lo
	v_cmp_gt_f32_e32 vcc_lo, 0, v62
	v_or_b32_e32 v10, v10, v67
	s_ashr_i32 s6, s4, 31
	v_or_b32_e32 v65, v65, v66
	v_lshlrev_b16 v64, 3, v64
	v_cndmask_b32_e64 v62, 0, 1, vcc_lo
	v_cmp_gt_f32_e32 vcc_lo, 0, v59
	v_mul_lo_u32 v1, v1, s4
	s_delay_alu instid0(VALU_DEP_4) | instskip(NEXT) | instid1(VALU_DEP_4)
	v_or_b32_e32 v63, v64, v63
	v_lshlrev_b16 v62, 3, v62
	v_cndmask_b32_e64 v59, 0, 1, vcc_lo
	v_cmp_gt_f32_e32 vcc_lo, 0, v58
	s_delay_alu instid0(VALU_DEP_3) | instskip(NEXT) | instid1(VALU_DEP_3)
	v_or_b32_e32 v61, v62, v61
	v_lshlrev_b16 v59, 3, v59
	v_cndmask_b32_e64 v58, 0, 1, vcc_lo
	v_cmp_gt_f32_e32 vcc_lo, 0, v56
	s_delay_alu instid0(VALU_DEP_3) | instskip(NEXT) | instid1(VALU_DEP_3)
	;; [unrolled: 5-line block ×10, first 2 shown]
	v_or_b32_e32 v11, v11, v12
	v_lshlrev_b16 v24, 3, v24
	v_cndmask_b32_e64 v18, 0, 1, vcc_lo
	v_cmp_gt_f32_e32 vcc_lo, 0, v5
	s_delay_alu instid0(VALU_DEP_2) | instskip(SKIP_2) | instid1(VALU_DEP_2)
	v_lshlrev_b16 v18, 3, v18
	v_cndmask_b32_e64 v5, 0, 1, vcc_lo
	v_cmp_gt_f32_e32 vcc_lo, 0, v7
	v_lshlrev_b16 v5, 3, v5
	v_cndmask_b32_e64 v7, 0, 1, vcc_lo
	v_cmp_gt_f32_e32 vcc_lo, 0, v14
	s_delay_alu instid0(VALU_DEP_3) | instskip(NEXT) | instid1(VALU_DEP_3)
	v_or_b32_e32 v4, v5, v4
	v_lshlrev_b16 v7, 7, v7
	v_cndmask_b32_e64 v12, 0, 1, vcc_lo
	v_cmp_gt_f32_e32 vcc_lo, 0, v20
	s_delay_alu instid0(VALU_DEP_3) | instskip(NEXT) | instid1(VALU_DEP_3)
	v_or_b32_e32 v5, v7, v6
	v_lshlrev_b16 v12, 7, v12
	v_cndmask_b32_e64 v14, 0, 1, vcc_lo
	v_lshlrev_b16 v7, 4, v17
	v_cmp_gt_f32_e32 vcc_lo, 0, v26
	v_or_b32_e32 v4, v5, v4
	v_or_b32_e32 v6, v12, v9
	v_lshlrev_b16 v9, 7, v14
	v_or_b32_e32 v14, v18, v16
	v_lshlrev_b16 v17, 4, v28
	v_lshlrev_b16 v18, 4, v34
	v_or_b32_e32 v5, v6, v11
	v_or_b32_e32 v6, v9, v7
	v_cndmask_b32_e64 v9, 0, 1, vcc_lo
	v_cmp_gt_f32_e32 vcc_lo, 0, v32
	v_lshlrev_b16 v7, 4, v22
	v_or_b32_e32 v12, v24, v23
	v_or_b32_e32 v6, v6, v14
	v_lshlrev_b16 v9, 7, v9
	v_cndmask_b32_e64 v11, 0, 1, vcc_lo
	v_cmp_gt_f32_e32 vcc_lo, 0, v38
	v_lshlrev_b16 v14, 4, v46
	v_lshlrev_b16 v22, 4, v48
	v_or_b32_e32 v7, v9, v7
	v_lshlrev_b16 v11, 7, v11
	v_cndmask_b32_e64 v16, 0, 1, vcc_lo
	v_cmp_gt_f32_e32 vcc_lo, 0, v42
	v_lshlrev_b16 v5, 8, v5
	v_or_b32_e32 v7, v7, v12
	v_or_b32_e32 v9, v11, v17
	v_lshlrev_b16 v16, 7, v16
	v_cndmask_b32_e64 v20, 0, 1, vcc_lo
	v_cmp_gt_f32_e32 vcc_lo, 0, v47
	v_or_b32_e32 v4, v4, v5
	v_or_b32_e32 v9, v9, v29
	;; [unrolled: 1-line block ×3, first 2 shown]
	v_lshlrev_b16 v16, 4, v40
	v_lshlrev_b16 v17, 7, v20
	;; [unrolled: 1-line block ×4, first 2 shown]
	v_or_b32_e32 v11, v11, v35
	s_delay_alu instid0(VALU_DEP_4) | instskip(SKIP_2) | instid1(VALU_DEP_4)
	v_or_b32_e32 v12, v17, v16
	v_cndmask_b32_e64 v16, 0, 1, vcc_lo
	v_cmp_gt_f32_e32 vcc_lo, 0, v52
	v_lshlrev_b16 v11, 8, v11
	s_delay_alu instid0(VALU_DEP_4) | instskip(NEXT) | instid1(VALU_DEP_4)
	v_or_b32_e32 v12, v12, v43
	v_lshlrev_b16 v16, 7, v16
	v_cndmask_b32_e64 v17, 0, 1, vcc_lo
	v_cmp_gt_f32_e32 vcc_lo, 0, v45
	v_or_b32_e32 v9, v9, v11
	s_delay_alu instid0(VALU_DEP_4) | instskip(NEXT) | instid1(VALU_DEP_4)
	v_or_b32_e32 v14, v16, v14
	v_lshlrev_b16 v17, 7, v17
	v_cndmask_b32_e64 v18, 0, 1, vcc_lo
	v_cmp_gt_f32_e32 vcc_lo, 0, v39
	s_delay_alu instid0(VALU_DEP_4) | instskip(NEXT) | instid1(VALU_DEP_4)
	v_or_b32_e32 v14, v14, v49
	v_or_b32_e32 v16, v17, v20
	s_delay_alu instid0(VALU_DEP_4)
	v_lshlrev_b16 v18, 7, v18
	v_cndmask_b32_e64 v23, 0, 1, vcc_lo
	v_cmp_gt_f32_e32 vcc_lo, 0, v33
	v_lshlrev_b16 v11, 8, v14
	v_or_b32_e32 v16, v16, v53
	v_or_b32_e32 v17, v18, v22
	v_lshlrev_b16 v18, 4, v41
	v_cndmask_b32_e64 v22, 0, 1, vcc_lo
	v_cmp_gt_f32_e32 vcc_lo, 0, v21
	v_lshlrev_b16 v20, 7, v23
	v_lshlrev_b16 v23, 4, v31
	v_or_b32_e32 v17, v17, v55
	v_and_b32_e32 v14, 0xffff, v9
	v_cndmask_b32_e64 v21, 0, 1, vcc_lo
	v_cmp_gt_f32_e32 vcc_lo, 0, v27
	v_or_b32_e32 v18, v20, v18
	v_lshlrev_b16 v20, 4, v36
	s_delay_alu instid0(VALU_DEP_4) | instskip(SKIP_3) | instid1(VALU_DEP_4)
	v_lshlrev_b16 v21, 7, v21
	v_cndmask_b32_e64 v24, 0, 1, vcc_lo
	v_cmp_gt_f32_e32 vcc_lo, 0, v8
	v_or_b32_e32 v18, v18, v57
	v_or_b32_e32 v21, v21, v25
	s_delay_alu instid0(VALU_DEP_4) | instskip(SKIP_2) | instid1(VALU_DEP_2)
	v_lshlrev_b16 v24, 7, v24
	v_cndmask_b32_e64 v8, 0, 1, vcc_lo
	v_cmp_gt_f32_e32 vcc_lo, 0, v15
	v_lshlrev_b16 v8, 7, v8
	v_cndmask_b32_e64 v15, 0, 1, vcc_lo
	s_delay_alu instid0(VALU_DEP_2) | instskip(NEXT) | instid1(VALU_DEP_2)
	v_or_b32_e32 v8, v8, v13
	v_lshlrev_b16 v15, 7, v15
	v_lshlrev_b16 v13, 7, v22
	v_or_b32_e32 v22, v24, v23
	s_delay_alu instid0(VALU_DEP_4) | instskip(NEXT) | instid1(VALU_DEP_4)
	v_or_b32_e32 v8, v8, v10
	v_or_b32_e32 v15, v15, v19
	;; [unrolled: 1-line block ×5, first 2 shown]
	v_lshlrev_b16 v8, 8, v8
	v_or_b32_e32 v15, v15, v65
	v_lshlrev_b16 v19, 8, v19
	v_lshrrev_b32_e32 v20, 23, v3
	v_or_b32_e32 v10, v10, v59
	s_delay_alu instid0(VALU_DEP_4) | instskip(NEXT) | instid1(VALU_DEP_4)
	v_or_b32_e32 v8, v15, v8
	v_or_b32_e32 v3, v13, v19
	v_lshlrev_b16 v13, 8, v17
	s_delay_alu instid0(VALU_DEP_4) | instskip(NEXT) | instid1(VALU_DEP_4)
	v_lshlrev_b16 v10, 8, v10
	v_lshlrev_b32_e32 v15, 16, v8
	s_delay_alu instid0(VALU_DEP_4) | instskip(NEXT) | instid1(VALU_DEP_4)
	v_and_b32_e32 v3, 0xffff, v3
	v_or_b32_e32 v8, v16, v13
	v_mul_lo_u32 v16, v0, s6
	v_or_b32_e32 v10, v18, v10
	s_delay_alu instid0(VALU_DEP_3)
	v_and_b32_e32 v13, 0xffff, v8
	v_or_b32_e32 v8, v12, v11
	v_and_b32_e32 v12, 0xffff, v4
	v_or_b32_e32 v4, v6, v5
	s_waitcnt lgkmcnt(0)
	v_mad_u64_u32 v[6:7], null, v0, s4, s[0:1]
	v_lshlrev_b32_e32 v11, 16, v8
	v_mad_u64_u32 v[8:9], null, v0, s5, v[2:3]
	v_lshlrev_b32_e32 v0, 16, v4
	v_lshlrev_b32_e32 v9, 4, v2
	v_lshlrev_b32_e32 v10, 16, v10
	v_add3_u32 v1, v1, v7, v16
	v_or_b32_e32 v5, v3, v15
	v_or_b32_e32 v2, v12, v0
	v_ashrrev_i32_e32 v7, 31, v8
	v_add_co_u32 v0, vcc_lo, v6, v9
	v_add_co_ci_u32_e32 v1, vcc_lo, 0, v1, vcc_lo
	v_add_co_u32 v6, vcc_lo, s2, v8
	v_or_b32_e32 v4, v13, v10
	v_or_b32_e32 v3, v14, v11
	v_add_co_ci_u32_e32 v7, vcc_lo, s3, v7, vcc_lo
	global_store_b128 v[0:1], v[2:5], off
	global_store_b8 v[6:7], v20, off
.LBB20_390:
	s_nop 0
	s_sendmsg sendmsg(MSG_DEALLOC_VGPRS)
	s_endpgm
	.section	.rodata,"a",@progbits
	.p2align	6, 0x0
	.amdhsa_kernel _ZN5aiter18quant_mxfp4_kernelI6__halfLNS_16MxScaleRoundModeE3ELb0ELb0ELb0EEEvPKT_PhPfliiib
		.amdhsa_group_segment_fixed_size 0
		.amdhsa_private_segment_fixed_size 0
		.amdhsa_kernarg_size 304
		.amdhsa_user_sgpr_count 15
		.amdhsa_user_sgpr_dispatch_ptr 0
		.amdhsa_user_sgpr_queue_ptr 0
		.amdhsa_user_sgpr_kernarg_segment_ptr 1
		.amdhsa_user_sgpr_dispatch_id 0
		.amdhsa_user_sgpr_private_segment_size 0
		.amdhsa_wavefront_size32 1
		.amdhsa_uses_dynamic_stack 0
		.amdhsa_enable_private_segment 0
		.amdhsa_system_sgpr_workgroup_id_x 1
		.amdhsa_system_sgpr_workgroup_id_y 0
		.amdhsa_system_sgpr_workgroup_id_z 0
		.amdhsa_system_sgpr_workgroup_info 0
		.amdhsa_system_vgpr_workitem_id 0
		.amdhsa_next_free_vgpr 69
		.amdhsa_next_free_sgpr 16
		.amdhsa_reserve_vcc 1
		.amdhsa_float_round_mode_32 0
		.amdhsa_float_round_mode_16_64 0
		.amdhsa_float_denorm_mode_32 3
		.amdhsa_float_denorm_mode_16_64 3
		.amdhsa_dx10_clamp 1
		.amdhsa_ieee_mode 1
		.amdhsa_fp16_overflow 0
		.amdhsa_workgroup_processor_mode 1
		.amdhsa_memory_ordered 1
		.amdhsa_forward_progress 0
		.amdhsa_shared_vgpr_count 0
		.amdhsa_exception_fp_ieee_invalid_op 0
		.amdhsa_exception_fp_denorm_src 0
		.amdhsa_exception_fp_ieee_div_zero 0
		.amdhsa_exception_fp_ieee_overflow 0
		.amdhsa_exception_fp_ieee_underflow 0
		.amdhsa_exception_fp_ieee_inexact 0
		.amdhsa_exception_int_div_zero 0
	.end_amdhsa_kernel
	.section	.text._ZN5aiter18quant_mxfp4_kernelI6__halfLNS_16MxScaleRoundModeE3ELb0ELb0ELb0EEEvPKT_PhPfliiib,"axG",@progbits,_ZN5aiter18quant_mxfp4_kernelI6__halfLNS_16MxScaleRoundModeE3ELb0ELb0ELb0EEEvPKT_PhPfliiib,comdat
.Lfunc_end20:
	.size	_ZN5aiter18quant_mxfp4_kernelI6__halfLNS_16MxScaleRoundModeE3ELb0ELb0ELb0EEEvPKT_PhPfliiib, .Lfunc_end20-_ZN5aiter18quant_mxfp4_kernelI6__halfLNS_16MxScaleRoundModeE3ELb0ELb0ELb0EEEvPKT_PhPfliiib
                                        ; -- End function
	.section	.AMDGPU.csdata,"",@progbits
; Kernel info:
; codeLenInByte = 9948
; NumSgprs: 18
; NumVgprs: 69
; ScratchSize: 0
; MemoryBound: 0
; FloatMode: 240
; IeeeMode: 1
; LDSByteSize: 0 bytes/workgroup (compile time only)
; SGPRBlocks: 2
; VGPRBlocks: 8
; NumSGPRsForWavesPerEU: 18
; NumVGPRsForWavesPerEU: 69
; Occupancy: 16
; WaveLimiterHint : 0
; COMPUTE_PGM_RSRC2:SCRATCH_EN: 0
; COMPUTE_PGM_RSRC2:USER_SGPR: 15
; COMPUTE_PGM_RSRC2:TRAP_HANDLER: 0
; COMPUTE_PGM_RSRC2:TGID_X_EN: 1
; COMPUTE_PGM_RSRC2:TGID_Y_EN: 0
; COMPUTE_PGM_RSRC2:TGID_Z_EN: 0
; COMPUTE_PGM_RSRC2:TIDIG_COMP_CNT: 0
	.section	.text._ZN5aiter18quant_mxfp4_kernelI12hip_bfloat16LNS_16MxScaleRoundModeE0ELb1ELb0ELb1EEEvPKT_PhPfliiib,"axG",@progbits,_ZN5aiter18quant_mxfp4_kernelI12hip_bfloat16LNS_16MxScaleRoundModeE0ELb1ELb0ELb1EEEvPKT_PhPfliiib,comdat
	.protected	_ZN5aiter18quant_mxfp4_kernelI12hip_bfloat16LNS_16MxScaleRoundModeE0ELb1ELb0ELb1EEEvPKT_PhPfliiib ; -- Begin function _ZN5aiter18quant_mxfp4_kernelI12hip_bfloat16LNS_16MxScaleRoundModeE0ELb1ELb0ELb1EEEvPKT_PhPfliiib
	.globl	_ZN5aiter18quant_mxfp4_kernelI12hip_bfloat16LNS_16MxScaleRoundModeE0ELb1ELb0ELb1EEEvPKT_PhPfliiib
	.p2align	8
	.type	_ZN5aiter18quant_mxfp4_kernelI12hip_bfloat16LNS_16MxScaleRoundModeE0ELb1ELb0ELb1EEEvPKT_PhPfliiib,@function
_ZN5aiter18quant_mxfp4_kernelI12hip_bfloat16LNS_16MxScaleRoundModeE0ELb1ELb0ELb1EEEvPKT_PhPfliiib: ; @_ZN5aiter18quant_mxfp4_kernelI12hip_bfloat16LNS_16MxScaleRoundModeE0ELb1ELb0ELb1EEEvPKT_PhPfliiib
; %bb.0:
	s_clause 0x1
	s_load_b32 s2, s[0:1], 0x3c
	s_load_b128 s[4:7], s[0:1], 0x20
	v_mov_b32_e32 v1, 0
	s_mov_b32 s3, exec_lo
	s_delay_alu instid0(VALU_DEP_1) | instskip(SKIP_2) | instid1(SALU_CYCLE_1)
	v_mov_b32_e32 v4, v1
	s_waitcnt lgkmcnt(0)
	s_and_b32 s2, s2, 0xffff
	v_mad_u64_u32 v[2:3], null, s2, s15, v[0:1]
	s_ashr_i32 s2, s6, 31
                                        ; implicit-def: $vgpr0_vgpr1
	s_delay_alu instid0(VALU_DEP_1) | instid1(SALU_CYCLE_1)
	v_or_b32_e32 v5, s2, v3
	s_delay_alu instid0(VALU_DEP_1)
	v_cmpx_ne_u64_e32 0, v[4:5]
	s_xor_b32 s3, exec_lo, s3
	s_cbranch_execz .LBB21_2
; %bb.1:
	s_add_u32 s10, s6, s2
	s_mov_b32 s8, s2
	s_mov_b32 s9, s2
	s_addc_u32 s11, s2, s2
	s_delay_alu instid0(SALU_CYCLE_1) | instskip(NEXT) | instid1(SALU_CYCLE_1)
	s_xor_b64 s[10:11], s[10:11], s[8:9]
	v_cvt_f32_u32_e32 v0, s10
	v_cvt_f32_u32_e32 v1, s11
	s_sub_u32 s2, 0, s10
	s_subb_u32 s7, 0, s11
	s_delay_alu instid0(VALU_DEP_1) | instskip(NEXT) | instid1(VALU_DEP_1)
	v_fmamk_f32 v0, v1, 0x4f800000, v0
	v_rcp_f32_e32 v0, v0
	s_waitcnt_depctr 0xfff
	v_mul_f32_e32 v0, 0x5f7ffffc, v0
	s_delay_alu instid0(VALU_DEP_1) | instskip(NEXT) | instid1(VALU_DEP_1)
	v_mul_f32_e32 v1, 0x2f800000, v0
	v_trunc_f32_e32 v1, v1
	s_delay_alu instid0(VALU_DEP_1) | instskip(SKIP_1) | instid1(VALU_DEP_2)
	v_fmamk_f32 v0, v1, 0xcf800000, v0
	v_cvt_u32_f32_e32 v1, v1
	v_cvt_u32_f32_e32 v0, v0
	s_delay_alu instid0(VALU_DEP_2) | instskip(NEXT) | instid1(VALU_DEP_2)
	v_mul_lo_u32 v4, s2, v1
	v_mul_hi_u32 v5, s2, v0
	v_mul_lo_u32 v6, s7, v0
	s_delay_alu instid0(VALU_DEP_2) | instskip(SKIP_1) | instid1(VALU_DEP_2)
	v_add_nc_u32_e32 v4, v5, v4
	v_mul_lo_u32 v5, s2, v0
	v_add_nc_u32_e32 v4, v4, v6
	s_delay_alu instid0(VALU_DEP_2) | instskip(NEXT) | instid1(VALU_DEP_2)
	v_mul_hi_u32 v6, v0, v5
	v_mul_lo_u32 v7, v0, v4
	v_mul_hi_u32 v8, v0, v4
	v_mul_hi_u32 v9, v1, v5
	v_mul_lo_u32 v5, v1, v5
	v_mul_hi_u32 v10, v1, v4
	v_mul_lo_u32 v4, v1, v4
	v_add_co_u32 v6, vcc_lo, v6, v7
	v_add_co_ci_u32_e32 v7, vcc_lo, 0, v8, vcc_lo
	s_delay_alu instid0(VALU_DEP_2) | instskip(NEXT) | instid1(VALU_DEP_2)
	v_add_co_u32 v5, vcc_lo, v6, v5
	v_add_co_ci_u32_e32 v5, vcc_lo, v7, v9, vcc_lo
	v_add_co_ci_u32_e32 v6, vcc_lo, 0, v10, vcc_lo
	v_ashrrev_i32_e32 v9, 31, v3
	s_delay_alu instid0(VALU_DEP_3) | instskip(NEXT) | instid1(VALU_DEP_3)
	v_add_co_u32 v4, vcc_lo, v5, v4
	v_add_co_ci_u32_e32 v5, vcc_lo, 0, v6, vcc_lo
	s_delay_alu instid0(VALU_DEP_2) | instskip(NEXT) | instid1(VALU_DEP_2)
	v_add_co_u32 v0, vcc_lo, v0, v4
	v_add_co_ci_u32_e32 v1, vcc_lo, v1, v5, vcc_lo
	s_delay_alu instid0(VALU_DEP_2) | instskip(SKIP_1) | instid1(VALU_DEP_3)
	v_mul_hi_u32 v4, s2, v0
	v_mul_lo_u32 v6, s7, v0
	v_mul_lo_u32 v5, s2, v1
	s_delay_alu instid0(VALU_DEP_1) | instskip(SKIP_1) | instid1(VALU_DEP_2)
	v_add_nc_u32_e32 v4, v4, v5
	v_mul_lo_u32 v5, s2, v0
	v_add_nc_u32_e32 v4, v4, v6
	s_delay_alu instid0(VALU_DEP_2) | instskip(NEXT) | instid1(VALU_DEP_2)
	v_mul_hi_u32 v6, v0, v5
	v_mul_lo_u32 v7, v0, v4
	v_mul_hi_u32 v8, v0, v4
	v_mul_hi_u32 v10, v1, v5
	v_mul_lo_u32 v5, v1, v5
	v_mul_hi_u32 v11, v1, v4
	v_mul_lo_u32 v4, v1, v4
	v_add_co_u32 v6, vcc_lo, v6, v7
	v_add_co_ci_u32_e32 v7, vcc_lo, 0, v8, vcc_lo
	s_delay_alu instid0(VALU_DEP_2) | instskip(NEXT) | instid1(VALU_DEP_2)
	v_add_co_u32 v5, vcc_lo, v6, v5
	v_add_co_ci_u32_e32 v5, vcc_lo, v7, v10, vcc_lo
	v_add_co_ci_u32_e32 v6, vcc_lo, 0, v11, vcc_lo
	v_add_co_u32 v7, vcc_lo, v2, v9
	v_add_co_ci_u32_e32 v3, vcc_lo, v3, v9, vcc_lo
	s_delay_alu instid0(VALU_DEP_4) | instskip(NEXT) | instid1(VALU_DEP_4)
	v_add_co_u32 v4, vcc_lo, v5, v4
	v_add_co_ci_u32_e32 v5, vcc_lo, 0, v6, vcc_lo
	s_delay_alu instid0(VALU_DEP_4) | instskip(NEXT) | instid1(VALU_DEP_3)
	v_xor_b32_e32 v7, v7, v9
	v_add_co_u32 v6, vcc_lo, v0, v4
	s_delay_alu instid0(VALU_DEP_3) | instskip(SKIP_1) | instid1(VALU_DEP_3)
	v_add_co_ci_u32_e32 v8, vcc_lo, v1, v5, vcc_lo
	v_xor_b32_e32 v10, v3, v9
	v_mul_hi_u32 v11, v7, v6
	s_delay_alu instid0(VALU_DEP_3) | instskip(NEXT) | instid1(VALU_DEP_3)
	v_mad_u64_u32 v[0:1], null, v7, v8, 0
	v_mad_u64_u32 v[3:4], null, v10, v6, 0
	;; [unrolled: 1-line block ×3, first 2 shown]
	s_delay_alu instid0(VALU_DEP_3) | instskip(NEXT) | instid1(VALU_DEP_4)
	v_add_co_u32 v0, vcc_lo, v11, v0
	v_add_co_ci_u32_e32 v1, vcc_lo, 0, v1, vcc_lo
	s_delay_alu instid0(VALU_DEP_2) | instskip(NEXT) | instid1(VALU_DEP_2)
	v_add_co_u32 v0, vcc_lo, v0, v3
	v_add_co_ci_u32_e32 v0, vcc_lo, v1, v4, vcc_lo
	v_add_co_ci_u32_e32 v1, vcc_lo, 0, v6, vcc_lo
	s_delay_alu instid0(VALU_DEP_2) | instskip(NEXT) | instid1(VALU_DEP_2)
	v_add_co_u32 v3, vcc_lo, v0, v5
	v_add_co_ci_u32_e32 v4, vcc_lo, 0, v1, vcc_lo
	s_delay_alu instid0(VALU_DEP_2) | instskip(SKIP_1) | instid1(VALU_DEP_3)
	v_mul_lo_u32 v5, s11, v3
	v_mad_u64_u32 v[0:1], null, s10, v3, 0
	v_mul_lo_u32 v6, s10, v4
	s_delay_alu instid0(VALU_DEP_2) | instskip(NEXT) | instid1(VALU_DEP_2)
	v_sub_co_u32 v0, vcc_lo, v7, v0
	v_add3_u32 v1, v1, v6, v5
	s_delay_alu instid0(VALU_DEP_1) | instskip(NEXT) | instid1(VALU_DEP_1)
	v_sub_nc_u32_e32 v5, v10, v1
	v_subrev_co_ci_u32_e64 v5, s2, s11, v5, vcc_lo
	v_add_co_u32 v6, s2, v3, 2
	s_delay_alu instid0(VALU_DEP_1) | instskip(SKIP_3) | instid1(VALU_DEP_3)
	v_add_co_ci_u32_e64 v7, s2, 0, v4, s2
	v_sub_co_u32 v8, s2, v0, s10
	v_sub_co_ci_u32_e32 v1, vcc_lo, v10, v1, vcc_lo
	v_subrev_co_ci_u32_e64 v5, s2, 0, v5, s2
	v_cmp_le_u32_e32 vcc_lo, s10, v8
	s_delay_alu instid0(VALU_DEP_3) | instskip(SKIP_1) | instid1(VALU_DEP_4)
	v_cmp_eq_u32_e64 s2, s11, v1
	v_cndmask_b32_e64 v8, 0, -1, vcc_lo
	v_cmp_le_u32_e32 vcc_lo, s11, v5
	v_cndmask_b32_e64 v10, 0, -1, vcc_lo
	v_cmp_le_u32_e32 vcc_lo, s10, v0
	;; [unrolled: 2-line block ×3, first 2 shown]
	v_cndmask_b32_e64 v11, 0, -1, vcc_lo
	v_cmp_eq_u32_e32 vcc_lo, s11, v5
	s_delay_alu instid0(VALU_DEP_2) | instskip(SKIP_3) | instid1(VALU_DEP_3)
	v_cndmask_b32_e64 v0, v11, v0, s2
	v_cndmask_b32_e32 v5, v10, v8, vcc_lo
	v_add_co_u32 v8, vcc_lo, v3, 1
	v_add_co_ci_u32_e32 v10, vcc_lo, 0, v4, vcc_lo
	v_cmp_ne_u32_e32 vcc_lo, 0, v5
	s_delay_alu instid0(VALU_DEP_2) | instskip(NEXT) | instid1(VALU_DEP_4)
	v_cndmask_b32_e32 v1, v10, v7, vcc_lo
	v_cndmask_b32_e32 v5, v8, v6, vcc_lo
	v_cmp_ne_u32_e32 vcc_lo, 0, v0
	v_xor_b32_e32 v0, s8, v9
	s_delay_alu instid0(VALU_DEP_3) | instskip(SKIP_2) | instid1(VALU_DEP_3)
	v_cndmask_b32_e32 v3, v3, v5, vcc_lo
	v_cndmask_b32_e32 v1, v4, v1, vcc_lo
	v_xor_b32_e32 v4, s9, v9
	v_xor_b32_e32 v3, v3, v0
	s_delay_alu instid0(VALU_DEP_2) | instskip(NEXT) | instid1(VALU_DEP_2)
	v_xor_b32_e32 v1, v1, v4
	v_sub_co_u32 v0, vcc_lo, v3, v0
	s_delay_alu instid0(VALU_DEP_2)
	v_sub_co_ci_u32_e32 v1, vcc_lo, v1, v4, vcc_lo
.LBB21_2:
	s_and_not1_saveexec_b32 s2, s3
	s_cbranch_execz .LBB21_4
; %bb.3:
	v_cvt_f32_u32_e32 v0, s6
	s_sub_i32 s3, 0, s6
	s_delay_alu instid0(VALU_DEP_1) | instskip(SKIP_2) | instid1(VALU_DEP_1)
	v_rcp_iflag_f32_e32 v0, v0
	s_waitcnt_depctr 0xfff
	v_mul_f32_e32 v0, 0x4f7ffffe, v0
	v_cvt_u32_f32_e32 v0, v0
	s_delay_alu instid0(VALU_DEP_1) | instskip(NEXT) | instid1(VALU_DEP_1)
	v_mul_lo_u32 v1, s3, v0
	v_mul_hi_u32 v1, v0, v1
	s_delay_alu instid0(VALU_DEP_1) | instskip(NEXT) | instid1(VALU_DEP_1)
	v_add_nc_u32_e32 v0, v0, v1
	v_mul_hi_u32 v0, v2, v0
	s_delay_alu instid0(VALU_DEP_1) | instskip(SKIP_1) | instid1(VALU_DEP_2)
	v_mul_lo_u32 v1, v0, s6
	v_add_nc_u32_e32 v3, 1, v0
	v_sub_nc_u32_e32 v1, v2, v1
	s_delay_alu instid0(VALU_DEP_1) | instskip(SKIP_1) | instid1(VALU_DEP_2)
	v_subrev_nc_u32_e32 v4, s6, v1
	v_cmp_le_u32_e32 vcc_lo, s6, v1
	v_dual_cndmask_b32 v1, v1, v4 :: v_dual_cndmask_b32 v0, v0, v3
	s_delay_alu instid0(VALU_DEP_1) | instskip(NEXT) | instid1(VALU_DEP_2)
	v_cmp_le_u32_e32 vcc_lo, s6, v1
	v_add_nc_u32_e32 v3, 1, v0
	s_delay_alu instid0(VALU_DEP_1)
	v_dual_mov_b32 v1, 0 :: v_dual_cndmask_b32 v0, v0, v3
.LBB21_4:
	s_or_b32 exec_lo, exec_lo, s2
	s_load_b64 s[2:3], s[0:1], 0x18
	s_delay_alu instid0(VALU_DEP_1) | instskip(NEXT) | instid1(VALU_DEP_1)
	v_mad_u64_u32 v[3:4], null, v0, s6, 0
	v_sub_co_u32 v2, null, v2, v3
	s_waitcnt lgkmcnt(0)
	v_cmp_gt_i64_e32 vcc_lo, s[2:3], v[0:1]
	s_delay_alu instid0(VALU_DEP_2) | instskip(NEXT) | instid1(VALU_DEP_1)
	v_cmp_gt_i32_e64 s2, s5, v2
	s_and_b32 s2, vcc_lo, s2
	s_delay_alu instid0(SALU_CYCLE_1)
	s_and_saveexec_b32 s3, s2
	s_cbranch_execz .LBB21_390
; %bb.5:
	s_ashr_i32 s5, s4, 31
	s_load_b64 s[2:3], s[0:1], 0x0
	v_mul_lo_u32 v5, v1, s4
	v_mad_u64_u32 v[3:4], null, v0, s4, 0
	v_mul_lo_u32 v6, v0, s5
	s_delay_alu instid0(VALU_DEP_1) | instskip(SKIP_1) | instid1(VALU_DEP_2)
	v_add3_u32 v4, v4, v6, v5
	v_dual_mov_b32 v6, 0 :: v_dual_lshlrev_b32 v5, 5, v2
	v_lshlrev_b64 v[3:4], 1, v[3:4]
	s_delay_alu instid0(VALU_DEP_2) | instskip(SKIP_1) | instid1(VALU_DEP_2)
	v_lshlrev_b64 v[5:6], 1, v[5:6]
	s_waitcnt lgkmcnt(0)
	v_add_co_u32 v3, vcc_lo, s2, v3
	s_delay_alu instid0(VALU_DEP_3) | instskip(SKIP_1) | instid1(VALU_DEP_2)
	v_add_co_ci_u32_e32 v4, vcc_lo, s3, v4, vcc_lo
	s_mov_b32 s2, exec_lo
	v_add_co_u32 v7, vcc_lo, v3, v5
	s_delay_alu instid0(VALU_DEP_2)
	v_add_co_ci_u32_e32 v8, vcc_lo, v4, v6, vcc_lo
	s_clause 0x3
	global_load_b128 v[3:6], v[7:8], off
	global_load_b128 v[10:13], v[7:8], off offset:16
	global_load_b128 v[52:55], v[7:8], off offset:32
	;; [unrolled: 1-line block ×3, first 2 shown]
	s_waitcnt vmcnt(3)
	v_lshlrev_b32_e32 v17, 16, v3
	v_and_b32_e32 v7, 0xffff0000, v3
	v_lshlrev_b32_e32 v9, 16, v4
	v_and_b32_e32 v14, 0xffff0000, v4
	;; [unrolled: 2-line block ×3, first 2 shown]
	v_max3_f32 v3, |v17|, 0, |v7|
	v_lshlrev_b32_e32 v22, 16, v6
	v_and_b32_e32 v25, 0xffff0000, v6
	s_waitcnt vmcnt(2)
	v_lshlrev_b32_e32 v28, 16, v10
	v_and_b32_e32 v31, 0xffff0000, v10
	v_max3_f32 v3, v3, |v9|, |v14|
	v_lshlrev_b32_e32 v33, 16, v11
	v_and_b32_e32 v37, 0xffff0000, v11
	v_lshlrev_b32_e32 v39, 16, v12
	v_and_b32_e32 v41, 0xffff0000, v12
	v_max3_f32 v3, v3, |v16|, |v20|
	v_lshlrev_b32_e32 v45, 16, v13
	v_and_b32_e32 v47, 0xffff0000, v13
	s_waitcnt vmcnt(1)
	v_lshlrev_b32_e32 v51, 16, v52
	v_and_b32_e32 v52, 0xffff0000, v52
	v_max3_f32 v3, v3, |v22|, |v25|
	v_lshlrev_b32_e32 v48, 16, v53
	v_and_b32_e32 v46, 0xffff0000, v53
	v_lshlrev_b32_e32 v44, 16, v54
	v_and_b32_e32 v40, 0xffff0000, v54
	v_max3_f32 v3, v3, |v28|, |v31|
	;; [unrolled: 11-line block ×3, first 2 shown]
	v_lshlrev_b32_e32 v13, 16, v59
	v_and_b32_e32 v8, 0xffff0000, v59
	s_delay_alu instid0(VALU_DEP_3) | instskip(NEXT) | instid1(VALU_DEP_1)
	v_max3_f32 v3, v3, |v45|, |v47|
	v_max3_f32 v3, v3, |v51|, |v52|
	s_delay_alu instid0(VALU_DEP_1) | instskip(NEXT) | instid1(VALU_DEP_1)
	v_max3_f32 v3, v3, |v48|, |v46|
	v_max3_f32 v3, v3, |v44|, |v40|
	s_delay_alu instid0(VALU_DEP_1) | instskip(NEXT) | instid1(VALU_DEP_1)
	;; [unrolled: 3-line block ×4, first 2 shown]
	v_max3_f32 v3, v3, |v13|, |v8|
	v_mul_f32_e32 v3, 0x3e800000, v3
	s_delay_alu instid0(VALU_DEP_1) | instskip(NEXT) | instid1(VALU_DEP_1)
	v_and_b32_e32 v4, 0x7f800000, v3
	v_div_scale_f32 v5, null, v4, v4, 1.0
	v_div_scale_f32 v11, vcc_lo, 1.0, v4, 1.0
	s_delay_alu instid0(VALU_DEP_2) | instskip(SKIP_2) | instid1(VALU_DEP_1)
	v_rcp_f32_e32 v6, v5
	s_waitcnt_depctr 0xfff
	v_fma_f32 v10, -v5, v6, 1.0
	v_fmac_f32_e32 v6, v10, v6
	s_delay_alu instid0(VALU_DEP_1) | instskip(NEXT) | instid1(VALU_DEP_1)
	v_mul_f32_e32 v10, v11, v6
	v_fma_f32 v12, -v5, v10, v11
	s_delay_alu instid0(VALU_DEP_1) | instskip(NEXT) | instid1(VALU_DEP_1)
	v_fmac_f32_e32 v10, v12, v6
	v_fma_f32 v5, -v5, v10, v11
	s_delay_alu instid0(VALU_DEP_1) | instskip(SKIP_2) | instid1(VALU_DEP_3)
	v_div_fmas_f32 v5, v5, v6, v10
	v_cmp_neq_f32_e32 vcc_lo, 0, v4
	v_mov_b32_e32 v6, 7
	v_div_fixup_f32 v5, v5, v4, 1.0
	v_mov_b32_e32 v4, 7
	s_delay_alu instid0(VALU_DEP_2) | instskip(NEXT) | instid1(VALU_DEP_1)
	v_cndmask_b32_e32 v12, 0, v5, vcc_lo
	v_mul_f32_e32 v5, v12, v17
	s_delay_alu instid0(VALU_DEP_1)
	v_cmpx_nle_f32_e64 0x40a00000, |v5|
	s_cbranch_execz .LBB21_17
; %bb.6:
	v_mov_b32_e32 v4, 6
	s_mov_b32 s3, exec_lo
	v_cmpx_nle_f32_e64 0x40600000, |v5|
	s_cbranch_execz .LBB21_16
; %bb.7:
	v_mov_b32_e32 v4, 5
	s_mov_b32 s5, exec_lo
	;; [unrolled: 5-line block ×5, first 2 shown]
	v_cmpx_nle_f32_e64 0x3f400000, |v5|
; %bb.11:
	v_cmp_le_f32_e64 s10, 0x3e800000, |v5|
	s_delay_alu instid0(VALU_DEP_1)
	v_cndmask_b32_e64 v4, 0, 1, s10
; %bb.12:
	s_or_b32 exec_lo, exec_lo, s9
.LBB21_13:
	s_delay_alu instid0(SALU_CYCLE_1)
	s_or_b32 exec_lo, exec_lo, s8
.LBB21_14:
	s_delay_alu instid0(SALU_CYCLE_1)
	s_or_b32 exec_lo, exec_lo, s7
.LBB21_15:
	s_delay_alu instid0(SALU_CYCLE_1)
	s_or_b32 exec_lo, exec_lo, s5
.LBB21_16:
	s_delay_alu instid0(SALU_CYCLE_1)
	s_or_b32 exec_lo, exec_lo, s3
.LBB21_17:
	s_delay_alu instid0(SALU_CYCLE_1) | instskip(SKIP_2) | instid1(VALU_DEP_1)
	s_or_b32 exec_lo, exec_lo, s2
	v_mul_f32_e32 v7, v12, v7
	s_mov_b32 s2, exec_lo
	v_cmpx_nle_f32_e64 0x40a00000, |v7|
	s_cbranch_execz .LBB21_29
; %bb.18:
	v_mov_b32_e32 v6, 6
	s_mov_b32 s3, exec_lo
	v_cmpx_nle_f32_e64 0x40600000, |v7|
	s_cbranch_execz .LBB21_28
; %bb.19:
	v_mov_b32_e32 v6, 5
	;; [unrolled: 5-line block ×5, first 2 shown]
	s_mov_b32 s9, exec_lo
	v_cmpx_nle_f32_e64 0x3f400000, |v7|
; %bb.23:
	v_cmp_le_f32_e64 s10, 0x3e800000, |v7|
	s_delay_alu instid0(VALU_DEP_1)
	v_cndmask_b32_e64 v6, 0, 1, s10
; %bb.24:
	s_or_b32 exec_lo, exec_lo, s9
.LBB21_25:
	s_delay_alu instid0(SALU_CYCLE_1)
	s_or_b32 exec_lo, exec_lo, s8
.LBB21_26:
	s_delay_alu instid0(SALU_CYCLE_1)
	s_or_b32 exec_lo, exec_lo, s7
.LBB21_27:
	s_delay_alu instid0(SALU_CYCLE_1)
	s_or_b32 exec_lo, exec_lo, s5
.LBB21_28:
	s_delay_alu instid0(SALU_CYCLE_1)
	s_or_b32 exec_lo, exec_lo, s3
.LBB21_29:
	s_delay_alu instid0(SALU_CYCLE_1) | instskip(SKIP_3) | instid1(VALU_DEP_2)
	s_or_b32 exec_lo, exec_lo, s2
	v_dual_mul_f32 v10, v12, v9 :: v_dual_mov_b32 v11, 7
	v_mov_b32_e32 v9, 7
	s_mov_b32 s2, exec_lo
	v_cmpx_nle_f32_e64 0x40a00000, |v10|
	s_cbranch_execz .LBB21_41
; %bb.30:
	v_mov_b32_e32 v9, 6
	s_mov_b32 s3, exec_lo
	v_cmpx_nle_f32_e64 0x40600000, |v10|
	s_cbranch_execz .LBB21_40
; %bb.31:
	;; [unrolled: 5-line block ×5, first 2 shown]
	v_mov_b32_e32 v9, 2
	s_mov_b32 s9, exec_lo
	v_cmpx_nle_f32_e64 0x3f400000, |v10|
; %bb.35:
	v_cmp_le_f32_e64 s10, 0x3e800000, |v10|
	s_delay_alu instid0(VALU_DEP_1)
	v_cndmask_b32_e64 v9, 0, 1, s10
; %bb.36:
	s_or_b32 exec_lo, exec_lo, s9
.LBB21_37:
	s_delay_alu instid0(SALU_CYCLE_1)
	s_or_b32 exec_lo, exec_lo, s8
.LBB21_38:
	s_delay_alu instid0(SALU_CYCLE_1)
	s_or_b32 exec_lo, exec_lo, s7
.LBB21_39:
	s_delay_alu instid0(SALU_CYCLE_1)
	s_or_b32 exec_lo, exec_lo, s5
.LBB21_40:
	s_delay_alu instid0(SALU_CYCLE_1)
	s_or_b32 exec_lo, exec_lo, s3
.LBB21_41:
	s_delay_alu instid0(SALU_CYCLE_1) | instskip(SKIP_2) | instid1(VALU_DEP_1)
	s_or_b32 exec_lo, exec_lo, s2
	v_mul_f32_e32 v14, v12, v14
	s_mov_b32 s2, exec_lo
	v_cmpx_nle_f32_e64 0x40a00000, |v14|
	s_cbranch_execz .LBB21_53
; %bb.42:
	v_mov_b32_e32 v11, 6
	s_mov_b32 s3, exec_lo
	v_cmpx_nle_f32_e64 0x40600000, |v14|
	s_cbranch_execz .LBB21_52
; %bb.43:
	v_mov_b32_e32 v11, 5
	s_mov_b32 s5, exec_lo
	v_cmpx_nle_f32_e64 0x40200000, |v14|
	s_cbranch_execz .LBB21_51
; %bb.44:
	v_mov_b32_e32 v11, 4
	s_mov_b32 s7, exec_lo
	v_cmpx_nle_f32_e64 0x3fe00000, |v14|
	s_cbranch_execz .LBB21_50
; %bb.45:
	v_mov_b32_e32 v11, 3
	s_mov_b32 s8, exec_lo
	v_cmpx_nle_f32_e64 0x3fa00000, |v14|
	s_cbranch_execz .LBB21_49
; %bb.46:
	v_mov_b32_e32 v11, 2
	s_mov_b32 s9, exec_lo
	v_cmpx_nle_f32_e64 0x3f400000, |v14|
; %bb.47:
	v_cmp_le_f32_e64 s10, 0x3e800000, |v14|
	s_delay_alu instid0(VALU_DEP_1)
	v_cndmask_b32_e64 v11, 0, 1, s10
; %bb.48:
	s_or_b32 exec_lo, exec_lo, s9
.LBB21_49:
	s_delay_alu instid0(SALU_CYCLE_1)
	s_or_b32 exec_lo, exec_lo, s8
.LBB21_50:
	s_delay_alu instid0(SALU_CYCLE_1)
	s_or_b32 exec_lo, exec_lo, s7
.LBB21_51:
	s_delay_alu instid0(SALU_CYCLE_1)
	s_or_b32 exec_lo, exec_lo, s5
.LBB21_52:
	s_delay_alu instid0(SALU_CYCLE_1)
	s_or_b32 exec_lo, exec_lo, s3
.LBB21_53:
	s_delay_alu instid0(SALU_CYCLE_1) | instskip(SKIP_3) | instid1(VALU_DEP_2)
	s_or_b32 exec_lo, exec_lo, s2
	v_dual_mul_f32 v18, v12, v16 :: v_dual_mov_b32 v17, 7
	v_mov_b32_e32 v16, 7
	s_mov_b32 s2, exec_lo
	v_cmpx_nle_f32_e64 0x40a00000, |v18|
	s_cbranch_execz .LBB21_65
; %bb.54:
	v_mov_b32_e32 v17, 6
	s_mov_b32 s3, exec_lo
	v_cmpx_nle_f32_e64 0x40600000, |v18|
	s_cbranch_execz .LBB21_64
; %bb.55:
	;; [unrolled: 5-line block ×5, first 2 shown]
	v_mov_b32_e32 v17, 2
	s_mov_b32 s9, exec_lo
	v_cmpx_nle_f32_e64 0x3f400000, |v18|
; %bb.59:
	v_cmp_le_f32_e64 s10, 0x3e800000, |v18|
	s_delay_alu instid0(VALU_DEP_1)
	v_cndmask_b32_e64 v17, 0, 1, s10
; %bb.60:
	s_or_b32 exec_lo, exec_lo, s9
.LBB21_61:
	s_delay_alu instid0(SALU_CYCLE_1)
	s_or_b32 exec_lo, exec_lo, s8
.LBB21_62:
	s_delay_alu instid0(SALU_CYCLE_1)
	s_or_b32 exec_lo, exec_lo, s7
.LBB21_63:
	s_delay_alu instid0(SALU_CYCLE_1)
	s_or_b32 exec_lo, exec_lo, s5
.LBB21_64:
	s_delay_alu instid0(SALU_CYCLE_1)
	s_or_b32 exec_lo, exec_lo, s3
.LBB21_65:
	s_delay_alu instid0(SALU_CYCLE_1) | instskip(SKIP_2) | instid1(VALU_DEP_1)
	s_or_b32 exec_lo, exec_lo, s2
	v_mul_f32_e32 v20, v12, v20
	s_mov_b32 s2, exec_lo
	v_cmpx_nle_f32_e64 0x40a00000, |v20|
	s_cbranch_execz .LBB21_77
; %bb.66:
	v_mov_b32_e32 v16, 6
	s_mov_b32 s3, exec_lo
	v_cmpx_nle_f32_e64 0x40600000, |v20|
	s_cbranch_execz .LBB21_76
; %bb.67:
	v_mov_b32_e32 v16, 5
	;; [unrolled: 5-line block ×5, first 2 shown]
	s_mov_b32 s9, exec_lo
	v_cmpx_nle_f32_e64 0x3f400000, |v20|
; %bb.71:
	v_cmp_le_f32_e64 s10, 0x3e800000, |v20|
	s_delay_alu instid0(VALU_DEP_1)
	v_cndmask_b32_e64 v16, 0, 1, s10
; %bb.72:
	s_or_b32 exec_lo, exec_lo, s9
.LBB21_73:
	s_delay_alu instid0(SALU_CYCLE_1)
	s_or_b32 exec_lo, exec_lo, s8
.LBB21_74:
	s_delay_alu instid0(SALU_CYCLE_1)
	s_or_b32 exec_lo, exec_lo, s7
.LBB21_75:
	s_delay_alu instid0(SALU_CYCLE_1)
	s_or_b32 exec_lo, exec_lo, s5
.LBB21_76:
	s_delay_alu instid0(SALU_CYCLE_1)
	s_or_b32 exec_lo, exec_lo, s3
.LBB21_77:
	s_delay_alu instid0(SALU_CYCLE_1) | instskip(SKIP_3) | instid1(VALU_DEP_2)
	s_or_b32 exec_lo, exec_lo, s2
	v_dual_mul_f32 v24, v12, v22 :: v_dual_mov_b32 v23, 7
	v_mov_b32_e32 v22, 7
	s_mov_b32 s2, exec_lo
	v_cmpx_nle_f32_e64 0x40a00000, |v24|
	s_cbranch_execz .LBB21_89
; %bb.78:
	v_mov_b32_e32 v23, 6
	s_mov_b32 s3, exec_lo
	v_cmpx_nle_f32_e64 0x40600000, |v24|
	s_cbranch_execz .LBB21_88
; %bb.79:
	;; [unrolled: 5-line block ×5, first 2 shown]
	v_mov_b32_e32 v23, 2
	s_mov_b32 s9, exec_lo
	v_cmpx_nle_f32_e64 0x3f400000, |v24|
; %bb.83:
	v_cmp_le_f32_e64 s10, 0x3e800000, |v24|
	s_delay_alu instid0(VALU_DEP_1)
	v_cndmask_b32_e64 v23, 0, 1, s10
; %bb.84:
	s_or_b32 exec_lo, exec_lo, s9
.LBB21_85:
	s_delay_alu instid0(SALU_CYCLE_1)
	s_or_b32 exec_lo, exec_lo, s8
.LBB21_86:
	s_delay_alu instid0(SALU_CYCLE_1)
	s_or_b32 exec_lo, exec_lo, s7
.LBB21_87:
	s_delay_alu instid0(SALU_CYCLE_1)
	s_or_b32 exec_lo, exec_lo, s5
.LBB21_88:
	s_delay_alu instid0(SALU_CYCLE_1)
	s_or_b32 exec_lo, exec_lo, s3
.LBB21_89:
	s_delay_alu instid0(SALU_CYCLE_1) | instskip(SKIP_2) | instid1(VALU_DEP_1)
	s_or_b32 exec_lo, exec_lo, s2
	v_mul_f32_e32 v25, v12, v25
	s_mov_b32 s2, exec_lo
	v_cmpx_nle_f32_e64 0x40a00000, |v25|
	s_cbranch_execz .LBB21_101
; %bb.90:
	v_mov_b32_e32 v22, 6
	s_mov_b32 s3, exec_lo
	v_cmpx_nle_f32_e64 0x40600000, |v25|
	s_cbranch_execz .LBB21_100
; %bb.91:
	v_mov_b32_e32 v22, 5
	;; [unrolled: 5-line block ×5, first 2 shown]
	s_mov_b32 s9, exec_lo
	v_cmpx_nle_f32_e64 0x3f400000, |v25|
; %bb.95:
	v_cmp_le_f32_e64 s10, 0x3e800000, |v25|
	s_delay_alu instid0(VALU_DEP_1)
	v_cndmask_b32_e64 v22, 0, 1, s10
; %bb.96:
	s_or_b32 exec_lo, exec_lo, s9
.LBB21_97:
	s_delay_alu instid0(SALU_CYCLE_1)
	s_or_b32 exec_lo, exec_lo, s8
.LBB21_98:
	s_delay_alu instid0(SALU_CYCLE_1)
	s_or_b32 exec_lo, exec_lo, s7
.LBB21_99:
	s_delay_alu instid0(SALU_CYCLE_1)
	s_or_b32 exec_lo, exec_lo, s5
.LBB21_100:
	s_delay_alu instid0(SALU_CYCLE_1)
	s_or_b32 exec_lo, exec_lo, s3
.LBB21_101:
	s_delay_alu instid0(SALU_CYCLE_1) | instskip(SKIP_3) | instid1(VALU_DEP_2)
	s_or_b32 exec_lo, exec_lo, s2
	v_dual_mul_f32 v29, v12, v28 :: v_dual_mov_b32 v28, 7
	v_mov_b32_e32 v30, 7
	s_mov_b32 s2, exec_lo
	v_cmpx_nle_f32_e64 0x40a00000, |v29|
	s_cbranch_execz .LBB21_113
; %bb.102:
	v_mov_b32_e32 v30, 6
	s_mov_b32 s3, exec_lo
	v_cmpx_nle_f32_e64 0x40600000, |v29|
	s_cbranch_execz .LBB21_112
; %bb.103:
	v_mov_b32_e32 v30, 5
	s_mov_b32 s5, exec_lo
	v_cmpx_nle_f32_e64 0x40200000, |v29|
	s_cbranch_execz .LBB21_111
; %bb.104:
	v_mov_b32_e32 v30, 4
	s_mov_b32 s7, exec_lo
	v_cmpx_nle_f32_e64 0x3fe00000, |v29|
	s_cbranch_execz .LBB21_110
; %bb.105:
	v_mov_b32_e32 v30, 3
	s_mov_b32 s8, exec_lo
	v_cmpx_nle_f32_e64 0x3fa00000, |v29|
	s_cbranch_execz .LBB21_109
; %bb.106:
	v_mov_b32_e32 v30, 2
	s_mov_b32 s9, exec_lo
	v_cmpx_nle_f32_e64 0x3f400000, |v29|
; %bb.107:
	v_cmp_le_f32_e64 s10, 0x3e800000, |v29|
	s_delay_alu instid0(VALU_DEP_1)
	v_cndmask_b32_e64 v30, 0, 1, s10
; %bb.108:
	s_or_b32 exec_lo, exec_lo, s9
.LBB21_109:
	s_delay_alu instid0(SALU_CYCLE_1)
	s_or_b32 exec_lo, exec_lo, s8
.LBB21_110:
	s_delay_alu instid0(SALU_CYCLE_1)
	s_or_b32 exec_lo, exec_lo, s7
.LBB21_111:
	s_delay_alu instid0(SALU_CYCLE_1)
	s_or_b32 exec_lo, exec_lo, s5
.LBB21_112:
	s_delay_alu instid0(SALU_CYCLE_1)
	s_or_b32 exec_lo, exec_lo, s3
.LBB21_113:
	s_delay_alu instid0(SALU_CYCLE_1) | instskip(SKIP_2) | instid1(VALU_DEP_1)
	s_or_b32 exec_lo, exec_lo, s2
	v_mul_f32_e32 v31, v12, v31
	s_mov_b32 s2, exec_lo
	v_cmpx_nle_f32_e64 0x40a00000, |v31|
	s_cbranch_execz .LBB21_125
; %bb.114:
	v_mov_b32_e32 v28, 6
	s_mov_b32 s3, exec_lo
	v_cmpx_nle_f32_e64 0x40600000, |v31|
	s_cbranch_execz .LBB21_124
; %bb.115:
	v_mov_b32_e32 v28, 5
	;; [unrolled: 5-line block ×5, first 2 shown]
	s_mov_b32 s9, exec_lo
	v_cmpx_nle_f32_e64 0x3f400000, |v31|
; %bb.119:
	v_cmp_le_f32_e64 s10, 0x3e800000, |v31|
	s_delay_alu instid0(VALU_DEP_1)
	v_cndmask_b32_e64 v28, 0, 1, s10
; %bb.120:
	s_or_b32 exec_lo, exec_lo, s9
.LBB21_121:
	s_delay_alu instid0(SALU_CYCLE_1)
	s_or_b32 exec_lo, exec_lo, s8
.LBB21_122:
	s_delay_alu instid0(SALU_CYCLE_1)
	s_or_b32 exec_lo, exec_lo, s7
.LBB21_123:
	s_delay_alu instid0(SALU_CYCLE_1)
	s_or_b32 exec_lo, exec_lo, s5
.LBB21_124:
	s_delay_alu instid0(SALU_CYCLE_1)
	s_or_b32 exec_lo, exec_lo, s3
.LBB21_125:
	s_delay_alu instid0(SALU_CYCLE_1) | instskip(SKIP_3) | instid1(VALU_DEP_2)
	s_or_b32 exec_lo, exec_lo, s2
	v_dual_mul_f32 v36, v12, v33 :: v_dual_mov_b32 v33, 7
	v_mov_b32_e32 v35, 7
	s_mov_b32 s2, exec_lo
	v_cmpx_nle_f32_e64 0x40a00000, |v36|
	s_cbranch_execz .LBB21_137
; %bb.126:
	v_mov_b32_e32 v35, 6
	s_mov_b32 s3, exec_lo
	v_cmpx_nle_f32_e64 0x40600000, |v36|
	s_cbranch_execz .LBB21_136
; %bb.127:
	;; [unrolled: 5-line block ×5, first 2 shown]
	v_mov_b32_e32 v35, 2
	s_mov_b32 s9, exec_lo
	v_cmpx_nle_f32_e64 0x3f400000, |v36|
; %bb.131:
	v_cmp_le_f32_e64 s10, 0x3e800000, |v36|
	s_delay_alu instid0(VALU_DEP_1)
	v_cndmask_b32_e64 v35, 0, 1, s10
; %bb.132:
	s_or_b32 exec_lo, exec_lo, s9
.LBB21_133:
	s_delay_alu instid0(SALU_CYCLE_1)
	s_or_b32 exec_lo, exec_lo, s8
.LBB21_134:
	s_delay_alu instid0(SALU_CYCLE_1)
	s_or_b32 exec_lo, exec_lo, s7
.LBB21_135:
	s_delay_alu instid0(SALU_CYCLE_1)
	s_or_b32 exec_lo, exec_lo, s5
.LBB21_136:
	s_delay_alu instid0(SALU_CYCLE_1)
	s_or_b32 exec_lo, exec_lo, s3
.LBB21_137:
	s_delay_alu instid0(SALU_CYCLE_1) | instskip(SKIP_2) | instid1(VALU_DEP_1)
	s_or_b32 exec_lo, exec_lo, s2
	v_mul_f32_e32 v37, v12, v37
	s_mov_b32 s2, exec_lo
	v_cmpx_nle_f32_e64 0x40a00000, |v37|
	s_cbranch_execz .LBB21_149
; %bb.138:
	v_mov_b32_e32 v33, 6
	s_mov_b32 s3, exec_lo
	v_cmpx_nle_f32_e64 0x40600000, |v37|
	s_cbranch_execz .LBB21_148
; %bb.139:
	v_mov_b32_e32 v33, 5
	;; [unrolled: 5-line block ×5, first 2 shown]
	s_mov_b32 s9, exec_lo
	v_cmpx_nle_f32_e64 0x3f400000, |v37|
; %bb.143:
	v_cmp_le_f32_e64 s10, 0x3e800000, |v37|
	s_delay_alu instid0(VALU_DEP_1)
	v_cndmask_b32_e64 v33, 0, 1, s10
; %bb.144:
	s_or_b32 exec_lo, exec_lo, s9
.LBB21_145:
	s_delay_alu instid0(SALU_CYCLE_1)
	s_or_b32 exec_lo, exec_lo, s8
.LBB21_146:
	s_delay_alu instid0(SALU_CYCLE_1)
	s_or_b32 exec_lo, exec_lo, s7
.LBB21_147:
	s_delay_alu instid0(SALU_CYCLE_1)
	s_or_b32 exec_lo, exec_lo, s5
.LBB21_148:
	s_delay_alu instid0(SALU_CYCLE_1)
	s_or_b32 exec_lo, exec_lo, s3
.LBB21_149:
	s_delay_alu instid0(SALU_CYCLE_1) | instskip(SKIP_3) | instid1(VALU_DEP_2)
	s_or_b32 exec_lo, exec_lo, s2
	v_dual_mul_f32 v43, v12, v39 :: v_dual_mov_b32 v42, 7
	v_mov_b32_e32 v39, 7
	s_mov_b32 s2, exec_lo
	v_cmpx_nle_f32_e64 0x40a00000, |v43|
	s_cbranch_execz .LBB21_161
; %bb.150:
	v_mov_b32_e32 v42, 6
	s_mov_b32 s3, exec_lo
	v_cmpx_nle_f32_e64 0x40600000, |v43|
	s_cbranch_execz .LBB21_160
; %bb.151:
	;; [unrolled: 5-line block ×5, first 2 shown]
	v_mov_b32_e32 v42, 2
	s_mov_b32 s9, exec_lo
	v_cmpx_nle_f32_e64 0x3f400000, |v43|
; %bb.155:
	v_cmp_le_f32_e64 s10, 0x3e800000, |v43|
	s_delay_alu instid0(VALU_DEP_1)
	v_cndmask_b32_e64 v42, 0, 1, s10
; %bb.156:
	s_or_b32 exec_lo, exec_lo, s9
.LBB21_157:
	s_delay_alu instid0(SALU_CYCLE_1)
	s_or_b32 exec_lo, exec_lo, s8
.LBB21_158:
	s_delay_alu instid0(SALU_CYCLE_1)
	s_or_b32 exec_lo, exec_lo, s7
.LBB21_159:
	s_delay_alu instid0(SALU_CYCLE_1)
	s_or_b32 exec_lo, exec_lo, s5
.LBB21_160:
	s_delay_alu instid0(SALU_CYCLE_1)
	s_or_b32 exec_lo, exec_lo, s3
.LBB21_161:
	s_delay_alu instid0(SALU_CYCLE_1) | instskip(SKIP_2) | instid1(VALU_DEP_1)
	s_or_b32 exec_lo, exec_lo, s2
	v_mul_f32_e32 v41, v12, v41
	s_mov_b32 s2, exec_lo
	v_cmpx_nle_f32_e64 0x40a00000, |v41|
	s_cbranch_execz .LBB21_173
; %bb.162:
	v_mov_b32_e32 v39, 6
	s_mov_b32 s3, exec_lo
	v_cmpx_nle_f32_e64 0x40600000, |v41|
	s_cbranch_execz .LBB21_172
; %bb.163:
	v_mov_b32_e32 v39, 5
	;; [unrolled: 5-line block ×5, first 2 shown]
	s_mov_b32 s9, exec_lo
	v_cmpx_nle_f32_e64 0x3f400000, |v41|
; %bb.167:
	v_cmp_le_f32_e64 s10, 0x3e800000, |v41|
	s_delay_alu instid0(VALU_DEP_1)
	v_cndmask_b32_e64 v39, 0, 1, s10
; %bb.168:
	s_or_b32 exec_lo, exec_lo, s9
.LBB21_169:
	s_delay_alu instid0(SALU_CYCLE_1)
	s_or_b32 exec_lo, exec_lo, s8
.LBB21_170:
	s_delay_alu instid0(SALU_CYCLE_1)
	s_or_b32 exec_lo, exec_lo, s7
.LBB21_171:
	s_delay_alu instid0(SALU_CYCLE_1)
	s_or_b32 exec_lo, exec_lo, s5
.LBB21_172:
	s_delay_alu instid0(SALU_CYCLE_1)
	s_or_b32 exec_lo, exec_lo, s3
.LBB21_173:
	s_delay_alu instid0(SALU_CYCLE_1) | instskip(SKIP_3) | instid1(VALU_DEP_2)
	s_or_b32 exec_lo, exec_lo, s2
	v_dual_mul_f32 v50, v12, v45 :: v_dual_mov_b32 v45, 7
	v_mov_b32_e32 v49, 7
	s_mov_b32 s2, exec_lo
	v_cmpx_nle_f32_e64 0x40a00000, |v50|
	s_cbranch_execz .LBB21_185
; %bb.174:
	v_mov_b32_e32 v49, 6
	s_mov_b32 s3, exec_lo
	v_cmpx_nle_f32_e64 0x40600000, |v50|
	s_cbranch_execz .LBB21_184
; %bb.175:
	;; [unrolled: 5-line block ×5, first 2 shown]
	v_mov_b32_e32 v49, 2
	s_mov_b32 s9, exec_lo
	v_cmpx_nle_f32_e64 0x3f400000, |v50|
; %bb.179:
	v_cmp_le_f32_e64 s10, 0x3e800000, |v50|
	s_delay_alu instid0(VALU_DEP_1)
	v_cndmask_b32_e64 v49, 0, 1, s10
; %bb.180:
	s_or_b32 exec_lo, exec_lo, s9
.LBB21_181:
	s_delay_alu instid0(SALU_CYCLE_1)
	s_or_b32 exec_lo, exec_lo, s8
.LBB21_182:
	s_delay_alu instid0(SALU_CYCLE_1)
	s_or_b32 exec_lo, exec_lo, s7
.LBB21_183:
	s_delay_alu instid0(SALU_CYCLE_1)
	s_or_b32 exec_lo, exec_lo, s5
.LBB21_184:
	s_delay_alu instid0(SALU_CYCLE_1)
	s_or_b32 exec_lo, exec_lo, s3
.LBB21_185:
	s_delay_alu instid0(SALU_CYCLE_1) | instskip(SKIP_2) | instid1(VALU_DEP_1)
	s_or_b32 exec_lo, exec_lo, s2
	v_mul_f32_e32 v47, v12, v47
	s_mov_b32 s2, exec_lo
	v_cmpx_nle_f32_e64 0x40a00000, |v47|
	s_cbranch_execz .LBB21_197
; %bb.186:
	v_mov_b32_e32 v45, 6
	s_mov_b32 s3, exec_lo
	v_cmpx_nle_f32_e64 0x40600000, |v47|
	s_cbranch_execz .LBB21_196
; %bb.187:
	v_mov_b32_e32 v45, 5
	;; [unrolled: 5-line block ×5, first 2 shown]
	s_mov_b32 s9, exec_lo
	v_cmpx_nle_f32_e64 0x3f400000, |v47|
; %bb.191:
	v_cmp_le_f32_e64 s10, 0x3e800000, |v47|
	s_delay_alu instid0(VALU_DEP_1)
	v_cndmask_b32_e64 v45, 0, 1, s10
; %bb.192:
	s_or_b32 exec_lo, exec_lo, s9
.LBB21_193:
	s_delay_alu instid0(SALU_CYCLE_1)
	s_or_b32 exec_lo, exec_lo, s8
.LBB21_194:
	s_delay_alu instid0(SALU_CYCLE_1)
	s_or_b32 exec_lo, exec_lo, s7
.LBB21_195:
	s_delay_alu instid0(SALU_CYCLE_1)
	s_or_b32 exec_lo, exec_lo, s5
.LBB21_196:
	s_delay_alu instid0(SALU_CYCLE_1)
	s_or_b32 exec_lo, exec_lo, s3
.LBB21_197:
	s_delay_alu instid0(SALU_CYCLE_1) | instskip(SKIP_3) | instid1(VALU_DEP_2)
	s_or_b32 exec_lo, exec_lo, s2
	v_dual_mul_f32 v54, v12, v51 :: v_dual_mov_b32 v51, 7
	v_mov_b32_e32 v53, 7
	s_mov_b32 s2, exec_lo
	v_cmpx_nle_f32_e64 0x40a00000, |v54|
	s_cbranch_execz .LBB21_209
; %bb.198:
	v_mov_b32_e32 v53, 6
	s_mov_b32 s3, exec_lo
	v_cmpx_nle_f32_e64 0x40600000, |v54|
	s_cbranch_execz .LBB21_208
; %bb.199:
	;; [unrolled: 5-line block ×5, first 2 shown]
	v_mov_b32_e32 v53, 2
	s_mov_b32 s9, exec_lo
	v_cmpx_nle_f32_e64 0x3f400000, |v54|
; %bb.203:
	v_cmp_le_f32_e64 s10, 0x3e800000, |v54|
	s_delay_alu instid0(VALU_DEP_1)
	v_cndmask_b32_e64 v53, 0, 1, s10
; %bb.204:
	s_or_b32 exec_lo, exec_lo, s9
.LBB21_205:
	s_delay_alu instid0(SALU_CYCLE_1)
	s_or_b32 exec_lo, exec_lo, s8
.LBB21_206:
	s_delay_alu instid0(SALU_CYCLE_1)
	s_or_b32 exec_lo, exec_lo, s7
.LBB21_207:
	s_delay_alu instid0(SALU_CYCLE_1)
	s_or_b32 exec_lo, exec_lo, s5
.LBB21_208:
	s_delay_alu instid0(SALU_CYCLE_1)
	s_or_b32 exec_lo, exec_lo, s3
.LBB21_209:
	s_delay_alu instid0(SALU_CYCLE_1) | instskip(SKIP_2) | instid1(VALU_DEP_1)
	s_or_b32 exec_lo, exec_lo, s2
	v_mul_f32_e32 v52, v12, v52
	s_mov_b32 s2, exec_lo
	v_cmpx_nle_f32_e64 0x40a00000, |v52|
	s_cbranch_execz .LBB21_221
; %bb.210:
	v_mov_b32_e32 v51, 6
	s_mov_b32 s3, exec_lo
	v_cmpx_nle_f32_e64 0x40600000, |v52|
	s_cbranch_execz .LBB21_220
; %bb.211:
	v_mov_b32_e32 v51, 5
	;; [unrolled: 5-line block ×5, first 2 shown]
	s_mov_b32 s9, exec_lo
	v_cmpx_nle_f32_e64 0x3f400000, |v52|
; %bb.215:
	v_cmp_le_f32_e64 s10, 0x3e800000, |v52|
	s_delay_alu instid0(VALU_DEP_1)
	v_cndmask_b32_e64 v51, 0, 1, s10
; %bb.216:
	s_or_b32 exec_lo, exec_lo, s9
.LBB21_217:
	s_delay_alu instid0(SALU_CYCLE_1)
	s_or_b32 exec_lo, exec_lo, s8
.LBB21_218:
	s_delay_alu instid0(SALU_CYCLE_1)
	s_or_b32 exec_lo, exec_lo, s7
.LBB21_219:
	s_delay_alu instid0(SALU_CYCLE_1)
	s_or_b32 exec_lo, exec_lo, s5
.LBB21_220:
	s_delay_alu instid0(SALU_CYCLE_1)
	s_or_b32 exec_lo, exec_lo, s3
.LBB21_221:
	s_delay_alu instid0(SALU_CYCLE_1) | instskip(SKIP_3) | instid1(VALU_DEP_2)
	s_or_b32 exec_lo, exec_lo, s2
	v_dual_mul_f32 v55, v12, v48 :: v_dual_mov_b32 v48, 7
	v_mov_b32_e32 v56, 7
	s_mov_b32 s2, exec_lo
	v_cmpx_nle_f32_e64 0x40a00000, |v55|
	s_cbranch_execz .LBB21_233
; %bb.222:
	v_mov_b32_e32 v56, 6
	s_mov_b32 s3, exec_lo
	v_cmpx_nle_f32_e64 0x40600000, |v55|
	s_cbranch_execz .LBB21_232
; %bb.223:
	v_mov_b32_e32 v56, 5
	s_mov_b32 s5, exec_lo
	v_cmpx_nle_f32_e64 0x40200000, |v55|
	s_cbranch_execz .LBB21_231
; %bb.224:
	v_mov_b32_e32 v56, 4
	s_mov_b32 s7, exec_lo
	v_cmpx_nle_f32_e64 0x3fe00000, |v55|
	s_cbranch_execz .LBB21_230
; %bb.225:
	v_mov_b32_e32 v56, 3
	s_mov_b32 s8, exec_lo
	v_cmpx_nle_f32_e64 0x3fa00000, |v55|
	s_cbranch_execz .LBB21_229
; %bb.226:
	v_mov_b32_e32 v56, 2
	s_mov_b32 s9, exec_lo
	v_cmpx_nle_f32_e64 0x3f400000, |v55|
; %bb.227:
	v_cmp_le_f32_e64 s10, 0x3e800000, |v55|
	s_delay_alu instid0(VALU_DEP_1)
	v_cndmask_b32_e64 v56, 0, 1, s10
; %bb.228:
	s_or_b32 exec_lo, exec_lo, s9
.LBB21_229:
	s_delay_alu instid0(SALU_CYCLE_1)
	s_or_b32 exec_lo, exec_lo, s8
.LBB21_230:
	s_delay_alu instid0(SALU_CYCLE_1)
	s_or_b32 exec_lo, exec_lo, s7
.LBB21_231:
	s_delay_alu instid0(SALU_CYCLE_1)
	s_or_b32 exec_lo, exec_lo, s5
.LBB21_232:
	s_delay_alu instid0(SALU_CYCLE_1)
	s_or_b32 exec_lo, exec_lo, s3
.LBB21_233:
	s_delay_alu instid0(SALU_CYCLE_1) | instskip(SKIP_2) | instid1(VALU_DEP_1)
	s_or_b32 exec_lo, exec_lo, s2
	v_mul_f32_e32 v46, v12, v46
	s_mov_b32 s2, exec_lo
	v_cmpx_nle_f32_e64 0x40a00000, |v46|
	s_cbranch_execz .LBB21_245
; %bb.234:
	v_mov_b32_e32 v48, 6
	s_mov_b32 s3, exec_lo
	v_cmpx_nle_f32_e64 0x40600000, |v46|
	s_cbranch_execz .LBB21_244
; %bb.235:
	v_mov_b32_e32 v48, 5
	;; [unrolled: 5-line block ×5, first 2 shown]
	s_mov_b32 s9, exec_lo
	v_cmpx_nle_f32_e64 0x3f400000, |v46|
; %bb.239:
	v_cmp_le_f32_e64 s10, 0x3e800000, |v46|
	s_delay_alu instid0(VALU_DEP_1)
	v_cndmask_b32_e64 v48, 0, 1, s10
; %bb.240:
	s_or_b32 exec_lo, exec_lo, s9
.LBB21_241:
	s_delay_alu instid0(SALU_CYCLE_1)
	s_or_b32 exec_lo, exec_lo, s8
.LBB21_242:
	s_delay_alu instid0(SALU_CYCLE_1)
	s_or_b32 exec_lo, exec_lo, s7
.LBB21_243:
	s_delay_alu instid0(SALU_CYCLE_1)
	s_or_b32 exec_lo, exec_lo, s5
.LBB21_244:
	s_delay_alu instid0(SALU_CYCLE_1)
	s_or_b32 exec_lo, exec_lo, s3
.LBB21_245:
	s_delay_alu instid0(SALU_CYCLE_1) | instskip(SKIP_3) | instid1(VALU_DEP_2)
	s_or_b32 exec_lo, exec_lo, s2
	v_dual_mul_f32 v58, v12, v44 :: v_dual_mov_b32 v57, 7
	v_mov_b32_e32 v44, 7
	s_mov_b32 s2, exec_lo
	v_cmpx_nle_f32_e64 0x40a00000, |v58|
	s_cbranch_execz .LBB21_257
; %bb.246:
	v_mov_b32_e32 v57, 6
	s_mov_b32 s3, exec_lo
	v_cmpx_nle_f32_e64 0x40600000, |v58|
	s_cbranch_execz .LBB21_256
; %bb.247:
	;; [unrolled: 5-line block ×5, first 2 shown]
	v_mov_b32_e32 v57, 2
	s_mov_b32 s9, exec_lo
	v_cmpx_nle_f32_e64 0x3f400000, |v58|
; %bb.251:
	v_cmp_le_f32_e64 s10, 0x3e800000, |v58|
	s_delay_alu instid0(VALU_DEP_1)
	v_cndmask_b32_e64 v57, 0, 1, s10
; %bb.252:
	s_or_b32 exec_lo, exec_lo, s9
.LBB21_253:
	s_delay_alu instid0(SALU_CYCLE_1)
	s_or_b32 exec_lo, exec_lo, s8
.LBB21_254:
	s_delay_alu instid0(SALU_CYCLE_1)
	s_or_b32 exec_lo, exec_lo, s7
.LBB21_255:
	s_delay_alu instid0(SALU_CYCLE_1)
	s_or_b32 exec_lo, exec_lo, s5
.LBB21_256:
	s_delay_alu instid0(SALU_CYCLE_1)
	s_or_b32 exec_lo, exec_lo, s3
.LBB21_257:
	s_delay_alu instid0(SALU_CYCLE_1) | instskip(SKIP_2) | instid1(VALU_DEP_1)
	s_or_b32 exec_lo, exec_lo, s2
	v_mul_f32_e32 v40, v12, v40
	s_mov_b32 s2, exec_lo
	v_cmpx_nle_f32_e64 0x40a00000, |v40|
	s_cbranch_execz .LBB21_269
; %bb.258:
	v_mov_b32_e32 v44, 6
	s_mov_b32 s3, exec_lo
	v_cmpx_nle_f32_e64 0x40600000, |v40|
	s_cbranch_execz .LBB21_268
; %bb.259:
	v_mov_b32_e32 v44, 5
	;; [unrolled: 5-line block ×5, first 2 shown]
	s_mov_b32 s9, exec_lo
	v_cmpx_nle_f32_e64 0x3f400000, |v40|
; %bb.263:
	v_cmp_le_f32_e64 s10, 0x3e800000, |v40|
	s_delay_alu instid0(VALU_DEP_1)
	v_cndmask_b32_e64 v44, 0, 1, s10
; %bb.264:
	s_or_b32 exec_lo, exec_lo, s9
.LBB21_265:
	s_delay_alu instid0(SALU_CYCLE_1)
	s_or_b32 exec_lo, exec_lo, s8
.LBB21_266:
	s_delay_alu instid0(SALU_CYCLE_1)
	s_or_b32 exec_lo, exec_lo, s7
.LBB21_267:
	s_delay_alu instid0(SALU_CYCLE_1)
	s_or_b32 exec_lo, exec_lo, s5
.LBB21_268:
	s_delay_alu instid0(SALU_CYCLE_1)
	s_or_b32 exec_lo, exec_lo, s3
.LBB21_269:
	s_delay_alu instid0(SALU_CYCLE_1) | instskip(SKIP_3) | instid1(VALU_DEP_2)
	s_or_b32 exec_lo, exec_lo, s2
	v_dual_mul_f32 v60, v12, v38 :: v_dual_mov_b32 v59, 7
	v_mov_b32_e32 v38, 7
	s_mov_b32 s2, exec_lo
	v_cmpx_nle_f32_e64 0x40a00000, |v60|
	s_cbranch_execz .LBB21_281
; %bb.270:
	v_mov_b32_e32 v59, 6
	s_mov_b32 s3, exec_lo
	v_cmpx_nle_f32_e64 0x40600000, |v60|
	s_cbranch_execz .LBB21_280
; %bb.271:
	;; [unrolled: 5-line block ×5, first 2 shown]
	v_mov_b32_e32 v59, 2
	s_mov_b32 s9, exec_lo
	v_cmpx_nle_f32_e64 0x3f400000, |v60|
; %bb.275:
	v_cmp_le_f32_e64 s10, 0x3e800000, |v60|
	s_delay_alu instid0(VALU_DEP_1)
	v_cndmask_b32_e64 v59, 0, 1, s10
; %bb.276:
	s_or_b32 exec_lo, exec_lo, s9
.LBB21_277:
	s_delay_alu instid0(SALU_CYCLE_1)
	s_or_b32 exec_lo, exec_lo, s8
.LBB21_278:
	s_delay_alu instid0(SALU_CYCLE_1)
	s_or_b32 exec_lo, exec_lo, s7
.LBB21_279:
	s_delay_alu instid0(SALU_CYCLE_1)
	s_or_b32 exec_lo, exec_lo, s5
.LBB21_280:
	s_delay_alu instid0(SALU_CYCLE_1)
	s_or_b32 exec_lo, exec_lo, s3
.LBB21_281:
	s_delay_alu instid0(SALU_CYCLE_1) | instskip(SKIP_2) | instid1(VALU_DEP_1)
	s_or_b32 exec_lo, exec_lo, s2
	v_mul_f32_e32 v34, v12, v34
	s_mov_b32 s2, exec_lo
	v_cmpx_nle_f32_e64 0x40a00000, |v34|
	s_cbranch_execz .LBB21_293
; %bb.282:
	v_mov_b32_e32 v38, 6
	s_mov_b32 s3, exec_lo
	v_cmpx_nle_f32_e64 0x40600000, |v34|
	s_cbranch_execz .LBB21_292
; %bb.283:
	v_mov_b32_e32 v38, 5
	s_mov_b32 s5, exec_lo
	v_cmpx_nle_f32_e64 0x40200000, |v34|
	s_cbranch_execz .LBB21_291
; %bb.284:
	v_mov_b32_e32 v38, 4
	s_mov_b32 s7, exec_lo
	v_cmpx_nle_f32_e64 0x3fe00000, |v34|
	s_cbranch_execz .LBB21_290
; %bb.285:
	v_mov_b32_e32 v38, 3
	s_mov_b32 s8, exec_lo
	v_cmpx_nle_f32_e64 0x3fa00000, |v34|
	s_cbranch_execz .LBB21_289
; %bb.286:
	v_mov_b32_e32 v38, 2
	s_mov_b32 s9, exec_lo
	v_cmpx_nle_f32_e64 0x3f400000, |v34|
; %bb.287:
	v_cmp_le_f32_e64 s10, 0x3e800000, |v34|
	s_delay_alu instid0(VALU_DEP_1)
	v_cndmask_b32_e64 v38, 0, 1, s10
; %bb.288:
	s_or_b32 exec_lo, exec_lo, s9
.LBB21_289:
	s_delay_alu instid0(SALU_CYCLE_1)
	s_or_b32 exec_lo, exec_lo, s8
.LBB21_290:
	s_delay_alu instid0(SALU_CYCLE_1)
	s_or_b32 exec_lo, exec_lo, s7
.LBB21_291:
	s_delay_alu instid0(SALU_CYCLE_1)
	s_or_b32 exec_lo, exec_lo, s5
.LBB21_292:
	s_delay_alu instid0(SALU_CYCLE_1)
	s_or_b32 exec_lo, exec_lo, s3
.LBB21_293:
	s_delay_alu instid0(SALU_CYCLE_1) | instskip(SKIP_3) | instid1(VALU_DEP_2)
	s_or_b32 exec_lo, exec_lo, s2
	v_dual_mul_f32 v62, v12, v32 :: v_dual_mov_b32 v61, 7
	v_mov_b32_e32 v32, 7
	s_mov_b32 s2, exec_lo
	v_cmpx_nle_f32_e64 0x40a00000, |v62|
	s_cbranch_execz .LBB21_305
; %bb.294:
	v_mov_b32_e32 v61, 6
	s_mov_b32 s3, exec_lo
	v_cmpx_nle_f32_e64 0x40600000, |v62|
	s_cbranch_execz .LBB21_304
; %bb.295:
	;; [unrolled: 5-line block ×5, first 2 shown]
	v_mov_b32_e32 v61, 2
	s_mov_b32 s9, exec_lo
	v_cmpx_nle_f32_e64 0x3f400000, |v62|
; %bb.299:
	v_cmp_le_f32_e64 s10, 0x3e800000, |v62|
	s_delay_alu instid0(VALU_DEP_1)
	v_cndmask_b32_e64 v61, 0, 1, s10
; %bb.300:
	s_or_b32 exec_lo, exec_lo, s9
.LBB21_301:
	s_delay_alu instid0(SALU_CYCLE_1)
	s_or_b32 exec_lo, exec_lo, s8
.LBB21_302:
	s_delay_alu instid0(SALU_CYCLE_1)
	s_or_b32 exec_lo, exec_lo, s7
.LBB21_303:
	s_delay_alu instid0(SALU_CYCLE_1)
	s_or_b32 exec_lo, exec_lo, s5
.LBB21_304:
	s_delay_alu instid0(SALU_CYCLE_1)
	s_or_b32 exec_lo, exec_lo, s3
.LBB21_305:
	s_delay_alu instid0(SALU_CYCLE_1) | instskip(SKIP_2) | instid1(VALU_DEP_1)
	s_or_b32 exec_lo, exec_lo, s2
	v_mul_f32_e32 v27, v12, v27
	s_mov_b32 s2, exec_lo
	v_cmpx_nle_f32_e64 0x40a00000, |v27|
	s_cbranch_execz .LBB21_317
; %bb.306:
	v_mov_b32_e32 v32, 6
	s_mov_b32 s3, exec_lo
	v_cmpx_nle_f32_e64 0x40600000, |v27|
	s_cbranch_execz .LBB21_316
; %bb.307:
	v_mov_b32_e32 v32, 5
	;; [unrolled: 5-line block ×5, first 2 shown]
	s_mov_b32 s9, exec_lo
	v_cmpx_nle_f32_e64 0x3f400000, |v27|
; %bb.311:
	v_cmp_le_f32_e64 s10, 0x3e800000, |v27|
	s_delay_alu instid0(VALU_DEP_1)
	v_cndmask_b32_e64 v32, 0, 1, s10
; %bb.312:
	s_or_b32 exec_lo, exec_lo, s9
.LBB21_313:
	s_delay_alu instid0(SALU_CYCLE_1)
	s_or_b32 exec_lo, exec_lo, s8
.LBB21_314:
	s_delay_alu instid0(SALU_CYCLE_1)
	s_or_b32 exec_lo, exec_lo, s7
.LBB21_315:
	s_delay_alu instid0(SALU_CYCLE_1)
	s_or_b32 exec_lo, exec_lo, s5
.LBB21_316:
	s_delay_alu instid0(SALU_CYCLE_1)
	s_or_b32 exec_lo, exec_lo, s3
.LBB21_317:
	s_delay_alu instid0(SALU_CYCLE_1) | instskip(SKIP_3) | instid1(VALU_DEP_2)
	s_or_b32 exec_lo, exec_lo, s2
	v_dual_mul_f32 v64, v12, v26 :: v_dual_mov_b32 v63, 7
	v_mov_b32_e32 v26, 7
	s_mov_b32 s2, exec_lo
	v_cmpx_nle_f32_e64 0x40a00000, |v64|
	s_cbranch_execz .LBB21_329
; %bb.318:
	v_mov_b32_e32 v63, 6
	s_mov_b32 s3, exec_lo
	v_cmpx_nle_f32_e64 0x40600000, |v64|
	s_cbranch_execz .LBB21_328
; %bb.319:
	;; [unrolled: 5-line block ×5, first 2 shown]
	v_mov_b32_e32 v63, 2
	s_mov_b32 s9, exec_lo
	v_cmpx_nle_f32_e64 0x3f400000, |v64|
; %bb.323:
	v_cmp_le_f32_e64 s10, 0x3e800000, |v64|
	s_delay_alu instid0(VALU_DEP_1)
	v_cndmask_b32_e64 v63, 0, 1, s10
; %bb.324:
	s_or_b32 exec_lo, exec_lo, s9
.LBB21_325:
	s_delay_alu instid0(SALU_CYCLE_1)
	s_or_b32 exec_lo, exec_lo, s8
.LBB21_326:
	s_delay_alu instid0(SALU_CYCLE_1)
	s_or_b32 exec_lo, exec_lo, s7
.LBB21_327:
	s_delay_alu instid0(SALU_CYCLE_1)
	s_or_b32 exec_lo, exec_lo, s5
.LBB21_328:
	s_delay_alu instid0(SALU_CYCLE_1)
	s_or_b32 exec_lo, exec_lo, s3
.LBB21_329:
	s_delay_alu instid0(SALU_CYCLE_1) | instskip(SKIP_2) | instid1(VALU_DEP_1)
	s_or_b32 exec_lo, exec_lo, s2
	v_mul_f32_e32 v21, v12, v21
	s_mov_b32 s2, exec_lo
	v_cmpx_nle_f32_e64 0x40a00000, |v21|
	s_cbranch_execz .LBB21_341
; %bb.330:
	v_mov_b32_e32 v26, 6
	s_mov_b32 s3, exec_lo
	v_cmpx_nle_f32_e64 0x40600000, |v21|
	s_cbranch_execz .LBB21_340
; %bb.331:
	v_mov_b32_e32 v26, 5
	;; [unrolled: 5-line block ×5, first 2 shown]
	s_mov_b32 s9, exec_lo
	v_cmpx_nle_f32_e64 0x3f400000, |v21|
; %bb.335:
	v_cmp_le_f32_e64 s10, 0x3e800000, |v21|
	s_delay_alu instid0(VALU_DEP_1)
	v_cndmask_b32_e64 v26, 0, 1, s10
; %bb.336:
	s_or_b32 exec_lo, exec_lo, s9
.LBB21_337:
	s_delay_alu instid0(SALU_CYCLE_1)
	s_or_b32 exec_lo, exec_lo, s8
.LBB21_338:
	s_delay_alu instid0(SALU_CYCLE_1)
	s_or_b32 exec_lo, exec_lo, s7
.LBB21_339:
	s_delay_alu instid0(SALU_CYCLE_1)
	s_or_b32 exec_lo, exec_lo, s5
.LBB21_340:
	s_delay_alu instid0(SALU_CYCLE_1)
	s_or_b32 exec_lo, exec_lo, s3
.LBB21_341:
	s_delay_alu instid0(SALU_CYCLE_1) | instskip(SKIP_3) | instid1(VALU_DEP_2)
	s_or_b32 exec_lo, exec_lo, s2
	v_dual_mul_f32 v65, v12, v19 :: v_dual_mov_b32 v66, 7
	v_mov_b32_e32 v19, 7
	s_mov_b32 s2, exec_lo
	v_cmpx_nle_f32_e64 0x40a00000, |v65|
	s_cbranch_execz .LBB21_353
; %bb.342:
	v_mov_b32_e32 v66, 6
	s_mov_b32 s3, exec_lo
	v_cmpx_nle_f32_e64 0x40600000, |v65|
	s_cbranch_execz .LBB21_352
; %bb.343:
	;; [unrolled: 5-line block ×5, first 2 shown]
	v_mov_b32_e32 v66, 2
	s_mov_b32 s9, exec_lo
	v_cmpx_nle_f32_e64 0x3f400000, |v65|
; %bb.347:
	v_cmp_le_f32_e64 s10, 0x3e800000, |v65|
	s_delay_alu instid0(VALU_DEP_1)
	v_cndmask_b32_e64 v66, 0, 1, s10
; %bb.348:
	s_or_b32 exec_lo, exec_lo, s9
.LBB21_349:
	s_delay_alu instid0(SALU_CYCLE_1)
	s_or_b32 exec_lo, exec_lo, s8
.LBB21_350:
	s_delay_alu instid0(SALU_CYCLE_1)
	s_or_b32 exec_lo, exec_lo, s7
.LBB21_351:
	s_delay_alu instid0(SALU_CYCLE_1)
	s_or_b32 exec_lo, exec_lo, s5
.LBB21_352:
	s_delay_alu instid0(SALU_CYCLE_1)
	s_or_b32 exec_lo, exec_lo, s3
.LBB21_353:
	s_delay_alu instid0(SALU_CYCLE_1) | instskip(SKIP_2) | instid1(VALU_DEP_1)
	s_or_b32 exec_lo, exec_lo, s2
	v_mul_f32_e32 v15, v12, v15
	s_mov_b32 s2, exec_lo
	v_cmpx_nle_f32_e64 0x40a00000, |v15|
	s_cbranch_execz .LBB21_365
; %bb.354:
	v_mov_b32_e32 v19, 6
	s_mov_b32 s3, exec_lo
	v_cmpx_nle_f32_e64 0x40600000, |v15|
	s_cbranch_execz .LBB21_364
; %bb.355:
	v_mov_b32_e32 v19, 5
	;; [unrolled: 5-line block ×5, first 2 shown]
	s_mov_b32 s9, exec_lo
	v_cmpx_nle_f32_e64 0x3f400000, |v15|
; %bb.359:
	v_cmp_le_f32_e64 s10, 0x3e800000, |v15|
	s_delay_alu instid0(VALU_DEP_1)
	v_cndmask_b32_e64 v19, 0, 1, s10
; %bb.360:
	s_or_b32 exec_lo, exec_lo, s9
.LBB21_361:
	s_delay_alu instid0(SALU_CYCLE_1)
	s_or_b32 exec_lo, exec_lo, s8
.LBB21_362:
	s_delay_alu instid0(SALU_CYCLE_1)
	s_or_b32 exec_lo, exec_lo, s7
.LBB21_363:
	s_delay_alu instid0(SALU_CYCLE_1)
	s_or_b32 exec_lo, exec_lo, s5
.LBB21_364:
	s_delay_alu instid0(SALU_CYCLE_1)
	s_or_b32 exec_lo, exec_lo, s3
.LBB21_365:
	s_delay_alu instid0(SALU_CYCLE_1) | instskip(SKIP_4) | instid1(VALU_DEP_2)
	s_or_b32 exec_lo, exec_lo, s2
	s_load_b64 s[2:3], s[0:1], 0x10
	v_dual_mul_f32 v67, v12, v13 :: v_dual_mov_b32 v68, 7
	v_mov_b32_e32 v13, 7
	s_mov_b32 s5, exec_lo
	v_cmpx_nle_f32_e64 0x40a00000, |v67|
	s_cbranch_execz .LBB21_377
; %bb.366:
	v_mov_b32_e32 v68, 6
	s_mov_b32 s7, exec_lo
	v_cmpx_nle_f32_e64 0x40600000, |v67|
	s_cbranch_execz .LBB21_376
; %bb.367:
	;; [unrolled: 5-line block ×5, first 2 shown]
	v_mov_b32_e32 v68, 2
	s_mov_b32 s11, exec_lo
	v_cmpx_nle_f32_e64 0x3f400000, |v67|
; %bb.371:
	v_cmp_le_f32_e64 s12, 0x3e800000, |v67|
	s_delay_alu instid0(VALU_DEP_1)
	v_cndmask_b32_e64 v68, 0, 1, s12
; %bb.372:
	s_or_b32 exec_lo, exec_lo, s11
.LBB21_373:
	s_delay_alu instid0(SALU_CYCLE_1)
	s_or_b32 exec_lo, exec_lo, s10
.LBB21_374:
	s_delay_alu instid0(SALU_CYCLE_1)
	s_or_b32 exec_lo, exec_lo, s9
.LBB21_375:
	s_delay_alu instid0(SALU_CYCLE_1)
	s_or_b32 exec_lo, exec_lo, s8
.LBB21_376:
	s_delay_alu instid0(SALU_CYCLE_1)
	s_or_b32 exec_lo, exec_lo, s7
.LBB21_377:
	s_delay_alu instid0(SALU_CYCLE_1) | instskip(SKIP_3) | instid1(VALU_DEP_1)
	s_or_b32 exec_lo, exec_lo, s5
	s_load_b64 s[0:1], s[0:1], 0x8
	v_mul_f32_e32 v8, v12, v8
	s_mov_b32 s5, exec_lo
	v_cmpx_nle_f32_e64 0x40a00000, |v8|
	s_cbranch_execz .LBB21_389
; %bb.378:
	v_mov_b32_e32 v13, 6
	s_mov_b32 s7, exec_lo
	v_cmpx_nle_f32_e64 0x40600000, |v8|
	s_cbranch_execz .LBB21_388
; %bb.379:
	v_mov_b32_e32 v13, 5
	;; [unrolled: 5-line block ×5, first 2 shown]
	s_mov_b32 s11, exec_lo
	v_cmpx_nle_f32_e64 0x3f400000, |v8|
; %bb.383:
	v_cmp_le_f32_e64 s12, 0x3e800000, |v8|
	s_delay_alu instid0(VALU_DEP_1)
	v_cndmask_b32_e64 v13, 0, 1, s12
; %bb.384:
	s_or_b32 exec_lo, exec_lo, s11
.LBB21_385:
	s_delay_alu instid0(SALU_CYCLE_1)
	s_or_b32 exec_lo, exec_lo, s10
.LBB21_386:
	s_delay_alu instid0(SALU_CYCLE_1)
	s_or_b32 exec_lo, exec_lo, s9
.LBB21_387:
	s_delay_alu instid0(SALU_CYCLE_1)
	s_or_b32 exec_lo, exec_lo, s8
.LBB21_388:
	s_delay_alu instid0(SALU_CYCLE_1)
	s_or_b32 exec_lo, exec_lo, s7
.LBB21_389:
	s_delay_alu instid0(SALU_CYCLE_1)
	s_or_b32 exec_lo, exec_lo, s5
	v_cmp_gt_f32_e32 vcc_lo, 0, v67
	v_lshlrev_b16 v6, 4, v6
	v_lshlrev_b16 v26, 4, v26
	;; [unrolled: 1-line block ×4, first 2 shown]
	v_cndmask_b32_e64 v12, 0, 1, vcc_lo
	v_cmp_gt_f32_e32 vcc_lo, 0, v65
	s_lshr_b32 s5, s4, 31
	s_delay_alu instid0(SALU_CYCLE_1) | instskip(NEXT) | instid1(VALU_DEP_2)
	s_add_i32 s4, s4, s5
	v_lshlrev_b16 v12, 3, v12
	v_cndmask_b32_e64 v65, 0, 1, vcc_lo
	v_cmp_gt_f32_e32 vcc_lo, 0, v64
	s_ashr_i32 s4, s4, 1
	s_delay_alu instid0(SALU_CYCLE_1) | instskip(NEXT) | instid1(VALU_DEP_2)
	s_ashr_i32 s5, s4, 31
	v_lshlrev_b16 v65, 3, v65
	v_cndmask_b32_e64 v64, 0, 1, vcc_lo
	v_cmp_gt_f32_e32 vcc_lo, 0, v62
	v_or_b32_e32 v12, v12, v68
	v_mul_lo_u32 v1, v1, s4
	v_or_b32_e32 v65, v65, v66
	v_lshlrev_b16 v64, 3, v64
	v_cndmask_b32_e64 v62, 0, 1, vcc_lo
	v_cmp_gt_f32_e32 vcc_lo, 0, v60
	s_delay_alu instid0(VALU_DEP_3) | instskip(NEXT) | instid1(VALU_DEP_3)
	v_or_b32_e32 v63, v64, v63
	v_lshlrev_b16 v62, 3, v62
	v_cndmask_b32_e64 v60, 0, 1, vcc_lo
	v_cmp_gt_f32_e32 vcc_lo, 0, v58
	s_delay_alu instid0(VALU_DEP_3) | instskip(NEXT) | instid1(VALU_DEP_3)
	v_or_b32_e32 v61, v62, v61
	v_lshlrev_b16 v60, 3, v60
	v_cndmask_b32_e64 v58, 0, 1, vcc_lo
	v_cmp_gt_f32_e32 vcc_lo, 0, v55
	s_delay_alu instid0(VALU_DEP_3) | instskip(NEXT) | instid1(VALU_DEP_3)
	v_or_b32_e32 v59, v60, v59
	v_lshlrev_b16 v58, 3, v58
	v_cndmask_b32_e64 v55, 0, 1, vcc_lo
	v_cmp_gt_f32_e32 vcc_lo, 0, v54
	s_delay_alu instid0(VALU_DEP_3) | instskip(NEXT) | instid1(VALU_DEP_3)
	v_or_b32_e32 v57, v58, v57
	v_lshlrev_b16 v55, 3, v55
	v_cndmask_b32_e64 v54, 0, 1, vcc_lo
	v_cmp_gt_f32_e32 vcc_lo, 0, v50
	s_delay_alu instid0(VALU_DEP_3) | instskip(NEXT) | instid1(VALU_DEP_3)
	v_or_b32_e32 v55, v55, v56
	v_lshlrev_b16 v54, 3, v54
	v_cndmask_b32_e64 v50, 0, 1, vcc_lo
	v_cmp_gt_f32_e32 vcc_lo, 0, v43
	s_delay_alu instid0(VALU_DEP_3) | instskip(NEXT) | instid1(VALU_DEP_3)
	v_or_b32_e32 v53, v54, v53
	v_lshlrev_b16 v50, 3, v50
	v_cndmask_b32_e64 v43, 0, 1, vcc_lo
	v_cmp_gt_f32_e32 vcc_lo, 0, v36
	s_delay_alu instid0(VALU_DEP_3) | instskip(NEXT) | instid1(VALU_DEP_3)
	v_or_b32_e32 v49, v50, v49
	v_lshlrev_b16 v43, 3, v43
	v_cndmask_b32_e64 v36, 0, 1, vcc_lo
	v_cmp_gt_f32_e32 vcc_lo, 0, v29
	s_delay_alu instid0(VALU_DEP_3) | instskip(NEXT) | instid1(VALU_DEP_3)
	v_or_b32_e32 v42, v43, v42
	v_lshlrev_b16 v36, 3, v36
	v_cndmask_b32_e64 v29, 0, 1, vcc_lo
	v_cmp_gt_f32_e32 vcc_lo, 0, v24
	s_delay_alu instid0(VALU_DEP_3) | instskip(NEXT) | instid1(VALU_DEP_3)
	v_or_b32_e32 v35, v36, v35
	v_lshlrev_b16 v29, 3, v29
	v_cndmask_b32_e64 v24, 0, 1, vcc_lo
	v_cmp_gt_f32_e32 vcc_lo, 0, v18
	s_delay_alu instid0(VALU_DEP_3) | instskip(NEXT) | instid1(VALU_DEP_3)
	v_or_b32_e32 v29, v29, v30
	v_lshlrev_b16 v24, 3, v24
	v_cndmask_b32_e64 v18, 0, 1, vcc_lo
	v_cmp_gt_f32_e32 vcc_lo, 0, v5
	s_delay_alu instid0(VALU_DEP_2) | instskip(SKIP_2) | instid1(VALU_DEP_2)
	v_lshlrev_b16 v18, 3, v18
	v_cndmask_b32_e64 v5, 0, 1, vcc_lo
	v_cmp_gt_f32_e32 vcc_lo, 0, v7
	v_lshlrev_b16 v5, 3, v5
	v_cndmask_b32_e64 v7, 0, 1, vcc_lo
	v_cmp_gt_f32_e32 vcc_lo, 0, v10
	s_delay_alu instid0(VALU_DEP_3) | instskip(NEXT) | instid1(VALU_DEP_3)
	v_or_b32_e32 v4, v5, v4
	v_lshlrev_b16 v7, 7, v7
	v_cndmask_b32_e64 v10, 0, 1, vcc_lo
	v_cmp_gt_f32_e32 vcc_lo, 0, v14
	s_delay_alu instid0(VALU_DEP_3)
	v_or_b32_e32 v5, v7, v6
	v_lshlrev_b16 v6, 4, v11
	v_cndmask_b32_e64 v14, 0, 1, vcc_lo
	v_cmp_gt_f32_e32 vcc_lo, 0, v20
	v_lshlrev_b16 v10, 3, v10
	v_or_b32_e32 v4, v5, v4
	v_or_b32_e32 v11, v24, v23
	v_lshlrev_b16 v7, 7, v14
	v_or_b32_e32 v14, v18, v17
	v_or_b32_e32 v9, v10, v9
	v_lshlrev_b16 v10, 4, v22
	v_lshlrev_b16 v22, 4, v33
	v_or_b32_e32 v5, v7, v6
	v_cndmask_b32_e64 v6, 0, 1, vcc_lo
	v_cmp_gt_f32_e32 vcc_lo, 0, v25
	v_lshlrev_b16 v23, 4, v39
	s_delay_alu instid0(VALU_DEP_4)
	v_or_b32_e32 v9, v5, v9
	v_lshlrev_b16 v5, 4, v16
	v_cndmask_b32_e64 v7, 0, 1, vcc_lo
	v_cmp_gt_f32_e32 vcc_lo, 0, v31
	v_lshlrev_b16 v6, 7, v6
	v_lshlrev_b16 v16, 4, v28
	;; [unrolled: 1-line block ×4, first 2 shown]
	v_cndmask_b32_e64 v17, 0, 1, vcc_lo
	v_cmp_gt_f32_e32 vcc_lo, 0, v37
	v_or_b32_e32 v5, v6, v5
	v_or_b32_e32 v4, v4, v9
	;; [unrolled: 1-line block ×3, first 2 shown]
	v_lshlrev_b16 v17, 7, v17
	v_cndmask_b32_e64 v18, 0, 1, vcc_lo
	v_cmp_gt_f32_e32 vcc_lo, 0, v41
	v_or_b32_e32 v14, v5, v14
	v_or_b32_e32 v11, v6, v11
	;; [unrolled: 1-line block ×3, first 2 shown]
	v_lshlrev_b16 v18, 7, v18
	v_cndmask_b32_e64 v20, 0, 1, vcc_lo
	v_cmp_gt_f32_e32 vcc_lo, 0, v52
	v_lshlrev_b16 v6, 4, v51
	v_lshlrev_b16 v5, 4, v45
	v_or_b32_e32 v10, v18, v22
	v_lshlrev_b16 v20, 7, v20
	v_cndmask_b32_e64 v17, 0, 1, vcc_lo
	v_cmp_gt_f32_e32 vcc_lo, 0, v46
	v_lshlrev_b16 v22, 4, v48
	v_or_b32_e32 v10, v10, v35
	v_or_b32_e32 v16, v20, v23
	v_lshlrev_b16 v17, 7, v17
	v_cndmask_b32_e64 v18, 0, 1, vcc_lo
	v_cmp_gt_f32_e32 vcc_lo, 0, v40
	v_lshlrev_b16 v23, 4, v44
	v_or_b32_e32 v7, v7, v29
	v_or_b32_e32 v6, v17, v6
	v_lshlrev_b16 v18, 7, v18
	v_cndmask_b32_e64 v20, 0, 1, vcc_lo
	v_cmp_gt_f32_e32 vcc_lo, 0, v47
	v_or_b32_e32 v16, v16, v42
	v_or_b32_e32 v6, v6, v53
	;; [unrolled: 1-line block ×3, first 2 shown]
	v_lshlrev_b16 v20, 7, v20
	v_cndmask_b32_e64 v24, 0, 1, vcc_lo
	v_cmp_gt_f32_e32 vcc_lo, 0, v34
	v_lshlrev_b16 v22, 4, v38
	v_or_b32_e32 v17, v17, v55
	v_or_b32_e32 v18, v20, v23
	v_lshlrev_b16 v23, 4, v32
	v_cndmask_b32_e64 v20, 0, 1, vcc_lo
	v_cmp_gt_f32_e32 vcc_lo, 0, v21
	v_lshlrev_b16 v17, 8, v17
	v_or_b32_e32 v18, v18, v57
	v_lshlrev_b16 v11, 8, v11
	v_lshlrev_b16 v20, 7, v20
	v_cndmask_b32_e64 v21, 0, 1, vcc_lo
	v_cmp_gt_f32_e32 vcc_lo, 0, v27
	v_or_b32_e32 v6, v6, v17
	s_delay_alu instid0(VALU_DEP_3) | instskip(SKIP_2) | instid1(VALU_DEP_3)
	v_lshlrev_b16 v21, 7, v21
	v_cndmask_b32_e64 v25, 0, 1, vcc_lo
	v_cmp_gt_f32_e32 vcc_lo, 0, v8
	v_or_b32_e32 v21, v21, v26
	s_delay_alu instid0(VALU_DEP_3) | instskip(SKIP_2) | instid1(VALU_DEP_2)
	v_lshlrev_b16 v25, 7, v25
	v_cndmask_b32_e64 v8, 0, 1, vcc_lo
	v_cmp_gt_f32_e32 vcc_lo, 0, v15
	v_lshlrev_b16 v8, 7, v8
	v_cndmask_b32_e64 v15, 0, 1, vcc_lo
	s_delay_alu instid0(VALU_DEP_2) | instskip(NEXT) | instid1(VALU_DEP_2)
	v_or_b32_e32 v8, v8, v13
	v_lshlrev_b16 v15, 7, v15
	v_or_b32_e32 v13, v20, v22
	v_or_b32_e32 v20, v25, v23
	s_delay_alu instid0(VALU_DEP_4) | instskip(NEXT) | instid1(VALU_DEP_4)
	v_or_b32_e32 v8, v8, v12
	v_or_b32_e32 v15, v15, v19
	;; [unrolled: 1-line block ×5, first 2 shown]
	v_lshlrev_b16 v8, 8, v8
	v_or_b32_e32 v15, v15, v65
	v_lshlrev_b16 v19, 8, v19
	v_lshlrev_b16 v12, 8, v12
	;; [unrolled: 1-line block ×3, first 2 shown]
	s_delay_alu instid0(VALU_DEP_4) | instskip(NEXT) | instid1(VALU_DEP_4)
	v_or_b32_e32 v8, v15, v8
	v_or_b32_e32 v13, v13, v19
	s_delay_alu instid0(VALU_DEP_4) | instskip(NEXT) | instid1(VALU_DEP_4)
	v_or_b32_e32 v12, v18, v12
	v_or_b32_e32 v5, v20, v5
	v_ashrrev_i32_e32 v18, 31, v0
	v_lshlrev_b32_e32 v8, 16, v8
	v_and_b32_e32 v13, 0xffff, v13
	v_and_b32_e32 v15, 0xffff, v6
	v_lshlrev_b32_e32 v12, 16, v12
	v_or_b32_e32 v17, v5, v49
	v_lshrrev_b32_e32 v19, 23, v3
	v_or_b32_e32 v6, v13, v8
	v_lshrrev_b32_e32 v8, 27, v18
	v_or_b32_e32 v5, v15, v12
	v_lshlrev_b16 v3, 8, v10
	v_lshlrev_b16 v10, 8, v17
	s_delay_alu instid0(VALU_DEP_4) | instskip(SKIP_1) | instid1(VALU_DEP_4)
	v_add_nc_u32_e32 v12, v0, v8
	v_or_b32_e32 v8, v14, v11
	v_or_b32_e32 v3, v7, v3
	s_delay_alu instid0(VALU_DEP_4)
	v_or_b32_e32 v7, v16, v10
	v_and_b32_e32 v10, 0xffff, v4
	v_and_b32_e32 v9, 0xffe0, v12
	v_lshlrev_b32_e32 v8, 16, v8
	v_and_b32_e32 v3, 0xffff, v3
	v_lshlrev_b32_e32 v7, 16, v7
	v_lshrrev_b32_e32 v11, 28, v18
	v_sub_nc_u32_e32 v9, v0, v9
	v_lshlrev_b32_e32 v14, 8, v2
	s_delay_alu instid0(VALU_DEP_4) | instskip(SKIP_1) | instid1(VALU_DEP_4)
	v_or_b32_e32 v4, v3, v7
	v_or_b32_e32 v3, v10, v8
	v_bfe_i32 v7, v9, 0, 8
	v_lshlrev_b32_e32 v8, 4, v0
	v_and_b32_e32 v10, -16, v0
	v_add_nc_u32_e32 v11, v0, v11
	s_delay_alu instid0(VALU_DEP_4) | instskip(NEXT) | instid1(VALU_DEP_4)
	v_lshrrev_b16 v7, 11, v7
	v_and_b32_e32 v13, 0xf0, v8
	s_delay_alu instid0(VALU_DEP_4) | instskip(NEXT) | instid1(VALU_DEP_4)
	v_mul_lo_u32 v15, v10, s5
	v_and_b32_e32 v11, 0x3ffffff0, v11
	s_delay_alu instid0(VALU_DEP_4)
	v_and_b32_e32 v16, 15, v7
	s_waitcnt lgkmcnt(0)
	v_mad_u64_u32 v[7:8], null, v10, s4, s[0:1]
	v_lshrrev_b32_e32 v10, 5, v12
	v_lshlrev_b32_e32 v12, 6, v2
	v_add_nc_u16 v9, v9, v16
	v_sub_nc_u32_e32 v0, v0, v11
	v_and_b32_e32 v16, 0x3fffff8, v2
	v_mul_lo_u32 v10, v10, s6
	v_and_b32_e32 v12, 0xc0, v12
	v_bfe_i32 v9, v9, 0, 8
	v_lshrrev_b32_e32 v2, 1, v2
	v_add3_u32 v1, v1, v8, v15
	v_and_b32_e32 v11, 0x7ffffe00, v14
	v_lshl_add_u32 v0, v0, 2, v12
	v_ashrrev_i16 v9, 4, v9
	v_add_lshl_u32 v8, v10, v16, 5
	v_and_b32_e32 v12, 0x100, v14
	s_delay_alu instid0(VALU_DEP_4) | instskip(NEXT) | instid1(VALU_DEP_4)
	v_and_or_b32 v0, v2, 2, v0
	v_bfe_i32 v9, v9, 0, 16
	v_add_co_u32 v2, vcc_lo, v7, v13
	v_add_co_ci_u32_e32 v1, vcc_lo, 0, v1, vcc_lo
	s_delay_alu instid0(VALU_DEP_3) | instskip(NEXT) | instid1(VALU_DEP_3)
	v_add3_u32 v7, v0, v8, v9
	v_add_co_u32 v0, vcc_lo, v2, v11
	s_delay_alu instid0(VALU_DEP_3) | instskip(NEXT) | instid1(VALU_DEP_3)
	v_add_co_ci_u32_e32 v1, vcc_lo, 0, v1, vcc_lo
	v_ashrrev_i32_e32 v2, 31, v7
	s_delay_alu instid0(VALU_DEP_3) | instskip(NEXT) | instid1(VALU_DEP_3)
	v_add_co_u32 v0, vcc_lo, v0, v12
	v_add_co_ci_u32_e32 v1, vcc_lo, 0, v1, vcc_lo
	v_add_co_u32 v7, vcc_lo, s2, v7
	s_delay_alu instid0(VALU_DEP_4)
	v_add_co_ci_u32_e32 v8, vcc_lo, s3, v2, vcc_lo
	global_store_b128 v[0:1], v[3:6], off
	global_store_b8 v[7:8], v19, off
.LBB21_390:
	s_nop 0
	s_sendmsg sendmsg(MSG_DEALLOC_VGPRS)
	s_endpgm
	.section	.rodata,"a",@progbits
	.p2align	6, 0x0
	.amdhsa_kernel _ZN5aiter18quant_mxfp4_kernelI12hip_bfloat16LNS_16MxScaleRoundModeE0ELb1ELb0ELb1EEEvPKT_PhPfliiib
		.amdhsa_group_segment_fixed_size 0
		.amdhsa_private_segment_fixed_size 0
		.amdhsa_kernarg_size 304
		.amdhsa_user_sgpr_count 15
		.amdhsa_user_sgpr_dispatch_ptr 0
		.amdhsa_user_sgpr_queue_ptr 0
		.amdhsa_user_sgpr_kernarg_segment_ptr 1
		.amdhsa_user_sgpr_dispatch_id 0
		.amdhsa_user_sgpr_private_segment_size 0
		.amdhsa_wavefront_size32 1
		.amdhsa_uses_dynamic_stack 0
		.amdhsa_enable_private_segment 0
		.amdhsa_system_sgpr_workgroup_id_x 1
		.amdhsa_system_sgpr_workgroup_id_y 0
		.amdhsa_system_sgpr_workgroup_id_z 0
		.amdhsa_system_sgpr_workgroup_info 0
		.amdhsa_system_vgpr_workitem_id 0
		.amdhsa_next_free_vgpr 69
		.amdhsa_next_free_sgpr 16
		.amdhsa_reserve_vcc 1
		.amdhsa_float_round_mode_32 0
		.amdhsa_float_round_mode_16_64 0
		.amdhsa_float_denorm_mode_32 3
		.amdhsa_float_denorm_mode_16_64 3
		.amdhsa_dx10_clamp 1
		.amdhsa_ieee_mode 1
		.amdhsa_fp16_overflow 0
		.amdhsa_workgroup_processor_mode 1
		.amdhsa_memory_ordered 1
		.amdhsa_forward_progress 0
		.amdhsa_shared_vgpr_count 0
		.amdhsa_exception_fp_ieee_invalid_op 0
		.amdhsa_exception_fp_denorm_src 0
		.amdhsa_exception_fp_ieee_div_zero 0
		.amdhsa_exception_fp_ieee_overflow 0
		.amdhsa_exception_fp_ieee_underflow 0
		.amdhsa_exception_fp_ieee_inexact 0
		.amdhsa_exception_int_div_zero 0
	.end_amdhsa_kernel
	.section	.text._ZN5aiter18quant_mxfp4_kernelI12hip_bfloat16LNS_16MxScaleRoundModeE0ELb1ELb0ELb1EEEvPKT_PhPfliiib,"axG",@progbits,_ZN5aiter18quant_mxfp4_kernelI12hip_bfloat16LNS_16MxScaleRoundModeE0ELb1ELb0ELb1EEEvPKT_PhPfliiib,comdat
.Lfunc_end21:
	.size	_ZN5aiter18quant_mxfp4_kernelI12hip_bfloat16LNS_16MxScaleRoundModeE0ELb1ELb0ELb1EEEvPKT_PhPfliiib, .Lfunc_end21-_ZN5aiter18quant_mxfp4_kernelI12hip_bfloat16LNS_16MxScaleRoundModeE0ELb1ELb0ELb1EEEvPKT_PhPfliiib
                                        ; -- End function
	.section	.AMDGPU.csdata,"",@progbits
; Kernel info:
; codeLenInByte = 10140
; NumSgprs: 18
; NumVgprs: 69
; ScratchSize: 0
; MemoryBound: 0
; FloatMode: 240
; IeeeMode: 1
; LDSByteSize: 0 bytes/workgroup (compile time only)
; SGPRBlocks: 2
; VGPRBlocks: 8
; NumSGPRsForWavesPerEU: 18
; NumVGPRsForWavesPerEU: 69
; Occupancy: 16
; WaveLimiterHint : 0
; COMPUTE_PGM_RSRC2:SCRATCH_EN: 0
; COMPUTE_PGM_RSRC2:USER_SGPR: 15
; COMPUTE_PGM_RSRC2:TRAP_HANDLER: 0
; COMPUTE_PGM_RSRC2:TGID_X_EN: 1
; COMPUTE_PGM_RSRC2:TGID_Y_EN: 0
; COMPUTE_PGM_RSRC2:TGID_Z_EN: 0
; COMPUTE_PGM_RSRC2:TIDIG_COMP_CNT: 0
	.section	.text._ZN5aiter18quant_mxfp4_kernelI12hip_bfloat16LNS_16MxScaleRoundModeE0ELb1ELb0ELb0EEEvPKT_PhPfliiib,"axG",@progbits,_ZN5aiter18quant_mxfp4_kernelI12hip_bfloat16LNS_16MxScaleRoundModeE0ELb1ELb0ELb0EEEvPKT_PhPfliiib,comdat
	.protected	_ZN5aiter18quant_mxfp4_kernelI12hip_bfloat16LNS_16MxScaleRoundModeE0ELb1ELb0ELb0EEEvPKT_PhPfliiib ; -- Begin function _ZN5aiter18quant_mxfp4_kernelI12hip_bfloat16LNS_16MxScaleRoundModeE0ELb1ELb0ELb0EEEvPKT_PhPfliiib
	.globl	_ZN5aiter18quant_mxfp4_kernelI12hip_bfloat16LNS_16MxScaleRoundModeE0ELb1ELb0ELb0EEEvPKT_PhPfliiib
	.p2align	8
	.type	_ZN5aiter18quant_mxfp4_kernelI12hip_bfloat16LNS_16MxScaleRoundModeE0ELb1ELb0ELb0EEEvPKT_PhPfliiib,@function
_ZN5aiter18quant_mxfp4_kernelI12hip_bfloat16LNS_16MxScaleRoundModeE0ELb1ELb0ELb0EEEvPKT_PhPfliiib: ; @_ZN5aiter18quant_mxfp4_kernelI12hip_bfloat16LNS_16MxScaleRoundModeE0ELb1ELb0ELb0EEEvPKT_PhPfliiib
; %bb.0:
	s_clause 0x1
	s_load_b32 s2, s[0:1], 0x3c
	s_load_b128 s[4:7], s[0:1], 0x20
	v_mov_b32_e32 v1, 0
	s_mov_b32 s3, exec_lo
	s_delay_alu instid0(VALU_DEP_1) | instskip(SKIP_2) | instid1(SALU_CYCLE_1)
	v_mov_b32_e32 v4, v1
	s_waitcnt lgkmcnt(0)
	s_and_b32 s2, s2, 0xffff
	v_mad_u64_u32 v[2:3], null, s2, s15, v[0:1]
	s_ashr_i32 s2, s6, 31
                                        ; implicit-def: $vgpr0_vgpr1
	s_delay_alu instid0(VALU_DEP_1) | instid1(SALU_CYCLE_1)
	v_or_b32_e32 v5, s2, v3
	s_delay_alu instid0(VALU_DEP_1)
	v_cmpx_ne_u64_e32 0, v[4:5]
	s_xor_b32 s3, exec_lo, s3
	s_cbranch_execz .LBB22_2
; %bb.1:
	s_add_u32 s10, s6, s2
	s_mov_b32 s8, s2
	s_mov_b32 s9, s2
	s_addc_u32 s11, s2, s2
	s_delay_alu instid0(SALU_CYCLE_1) | instskip(NEXT) | instid1(SALU_CYCLE_1)
	s_xor_b64 s[10:11], s[10:11], s[8:9]
	v_cvt_f32_u32_e32 v0, s10
	v_cvt_f32_u32_e32 v1, s11
	s_sub_u32 s2, 0, s10
	s_subb_u32 s7, 0, s11
	s_delay_alu instid0(VALU_DEP_1) | instskip(NEXT) | instid1(VALU_DEP_1)
	v_fmamk_f32 v0, v1, 0x4f800000, v0
	v_rcp_f32_e32 v0, v0
	s_waitcnt_depctr 0xfff
	v_mul_f32_e32 v0, 0x5f7ffffc, v0
	s_delay_alu instid0(VALU_DEP_1) | instskip(NEXT) | instid1(VALU_DEP_1)
	v_mul_f32_e32 v1, 0x2f800000, v0
	v_trunc_f32_e32 v1, v1
	s_delay_alu instid0(VALU_DEP_1) | instskip(SKIP_1) | instid1(VALU_DEP_2)
	v_fmamk_f32 v0, v1, 0xcf800000, v0
	v_cvt_u32_f32_e32 v1, v1
	v_cvt_u32_f32_e32 v0, v0
	s_delay_alu instid0(VALU_DEP_2) | instskip(NEXT) | instid1(VALU_DEP_2)
	v_mul_lo_u32 v4, s2, v1
	v_mul_hi_u32 v5, s2, v0
	v_mul_lo_u32 v6, s7, v0
	s_delay_alu instid0(VALU_DEP_2) | instskip(SKIP_1) | instid1(VALU_DEP_2)
	v_add_nc_u32_e32 v4, v5, v4
	v_mul_lo_u32 v5, s2, v0
	v_add_nc_u32_e32 v4, v4, v6
	s_delay_alu instid0(VALU_DEP_2) | instskip(NEXT) | instid1(VALU_DEP_2)
	v_mul_hi_u32 v6, v0, v5
	v_mul_lo_u32 v7, v0, v4
	v_mul_hi_u32 v8, v0, v4
	v_mul_hi_u32 v9, v1, v5
	v_mul_lo_u32 v5, v1, v5
	v_mul_hi_u32 v10, v1, v4
	v_mul_lo_u32 v4, v1, v4
	v_add_co_u32 v6, vcc_lo, v6, v7
	v_add_co_ci_u32_e32 v7, vcc_lo, 0, v8, vcc_lo
	s_delay_alu instid0(VALU_DEP_2) | instskip(NEXT) | instid1(VALU_DEP_2)
	v_add_co_u32 v5, vcc_lo, v6, v5
	v_add_co_ci_u32_e32 v5, vcc_lo, v7, v9, vcc_lo
	v_add_co_ci_u32_e32 v6, vcc_lo, 0, v10, vcc_lo
	v_ashrrev_i32_e32 v9, 31, v3
	s_delay_alu instid0(VALU_DEP_3) | instskip(NEXT) | instid1(VALU_DEP_3)
	v_add_co_u32 v4, vcc_lo, v5, v4
	v_add_co_ci_u32_e32 v5, vcc_lo, 0, v6, vcc_lo
	s_delay_alu instid0(VALU_DEP_2) | instskip(NEXT) | instid1(VALU_DEP_2)
	v_add_co_u32 v0, vcc_lo, v0, v4
	v_add_co_ci_u32_e32 v1, vcc_lo, v1, v5, vcc_lo
	s_delay_alu instid0(VALU_DEP_2) | instskip(SKIP_1) | instid1(VALU_DEP_3)
	v_mul_hi_u32 v4, s2, v0
	v_mul_lo_u32 v6, s7, v0
	v_mul_lo_u32 v5, s2, v1
	s_delay_alu instid0(VALU_DEP_1) | instskip(SKIP_1) | instid1(VALU_DEP_2)
	v_add_nc_u32_e32 v4, v4, v5
	v_mul_lo_u32 v5, s2, v0
	v_add_nc_u32_e32 v4, v4, v6
	s_delay_alu instid0(VALU_DEP_2) | instskip(NEXT) | instid1(VALU_DEP_2)
	v_mul_hi_u32 v6, v0, v5
	v_mul_lo_u32 v7, v0, v4
	v_mul_hi_u32 v8, v0, v4
	v_mul_hi_u32 v10, v1, v5
	v_mul_lo_u32 v5, v1, v5
	v_mul_hi_u32 v11, v1, v4
	v_mul_lo_u32 v4, v1, v4
	v_add_co_u32 v6, vcc_lo, v6, v7
	v_add_co_ci_u32_e32 v7, vcc_lo, 0, v8, vcc_lo
	s_delay_alu instid0(VALU_DEP_2) | instskip(NEXT) | instid1(VALU_DEP_2)
	v_add_co_u32 v5, vcc_lo, v6, v5
	v_add_co_ci_u32_e32 v5, vcc_lo, v7, v10, vcc_lo
	v_add_co_ci_u32_e32 v6, vcc_lo, 0, v11, vcc_lo
	v_add_co_u32 v7, vcc_lo, v2, v9
	v_add_co_ci_u32_e32 v3, vcc_lo, v3, v9, vcc_lo
	s_delay_alu instid0(VALU_DEP_4) | instskip(NEXT) | instid1(VALU_DEP_4)
	v_add_co_u32 v4, vcc_lo, v5, v4
	v_add_co_ci_u32_e32 v5, vcc_lo, 0, v6, vcc_lo
	s_delay_alu instid0(VALU_DEP_4) | instskip(NEXT) | instid1(VALU_DEP_3)
	v_xor_b32_e32 v7, v7, v9
	v_add_co_u32 v6, vcc_lo, v0, v4
	s_delay_alu instid0(VALU_DEP_3) | instskip(SKIP_1) | instid1(VALU_DEP_3)
	v_add_co_ci_u32_e32 v8, vcc_lo, v1, v5, vcc_lo
	v_xor_b32_e32 v10, v3, v9
	v_mul_hi_u32 v11, v7, v6
	s_delay_alu instid0(VALU_DEP_3) | instskip(NEXT) | instid1(VALU_DEP_3)
	v_mad_u64_u32 v[0:1], null, v7, v8, 0
	v_mad_u64_u32 v[3:4], null, v10, v6, 0
	;; [unrolled: 1-line block ×3, first 2 shown]
	s_delay_alu instid0(VALU_DEP_3) | instskip(NEXT) | instid1(VALU_DEP_4)
	v_add_co_u32 v0, vcc_lo, v11, v0
	v_add_co_ci_u32_e32 v1, vcc_lo, 0, v1, vcc_lo
	s_delay_alu instid0(VALU_DEP_2) | instskip(NEXT) | instid1(VALU_DEP_2)
	v_add_co_u32 v0, vcc_lo, v0, v3
	v_add_co_ci_u32_e32 v0, vcc_lo, v1, v4, vcc_lo
	v_add_co_ci_u32_e32 v1, vcc_lo, 0, v6, vcc_lo
	s_delay_alu instid0(VALU_DEP_2) | instskip(NEXT) | instid1(VALU_DEP_2)
	v_add_co_u32 v3, vcc_lo, v0, v5
	v_add_co_ci_u32_e32 v4, vcc_lo, 0, v1, vcc_lo
	s_delay_alu instid0(VALU_DEP_2) | instskip(SKIP_1) | instid1(VALU_DEP_3)
	v_mul_lo_u32 v5, s11, v3
	v_mad_u64_u32 v[0:1], null, s10, v3, 0
	v_mul_lo_u32 v6, s10, v4
	s_delay_alu instid0(VALU_DEP_2) | instskip(NEXT) | instid1(VALU_DEP_2)
	v_sub_co_u32 v0, vcc_lo, v7, v0
	v_add3_u32 v1, v1, v6, v5
	s_delay_alu instid0(VALU_DEP_1) | instskip(NEXT) | instid1(VALU_DEP_1)
	v_sub_nc_u32_e32 v5, v10, v1
	v_subrev_co_ci_u32_e64 v5, s2, s11, v5, vcc_lo
	v_add_co_u32 v6, s2, v3, 2
	s_delay_alu instid0(VALU_DEP_1) | instskip(SKIP_3) | instid1(VALU_DEP_3)
	v_add_co_ci_u32_e64 v7, s2, 0, v4, s2
	v_sub_co_u32 v8, s2, v0, s10
	v_sub_co_ci_u32_e32 v1, vcc_lo, v10, v1, vcc_lo
	v_subrev_co_ci_u32_e64 v5, s2, 0, v5, s2
	v_cmp_le_u32_e32 vcc_lo, s10, v8
	s_delay_alu instid0(VALU_DEP_3) | instskip(SKIP_1) | instid1(VALU_DEP_4)
	v_cmp_eq_u32_e64 s2, s11, v1
	v_cndmask_b32_e64 v8, 0, -1, vcc_lo
	v_cmp_le_u32_e32 vcc_lo, s11, v5
	v_cndmask_b32_e64 v10, 0, -1, vcc_lo
	v_cmp_le_u32_e32 vcc_lo, s10, v0
	;; [unrolled: 2-line block ×3, first 2 shown]
	v_cndmask_b32_e64 v11, 0, -1, vcc_lo
	v_cmp_eq_u32_e32 vcc_lo, s11, v5
	s_delay_alu instid0(VALU_DEP_2) | instskip(SKIP_3) | instid1(VALU_DEP_3)
	v_cndmask_b32_e64 v0, v11, v0, s2
	v_cndmask_b32_e32 v5, v10, v8, vcc_lo
	v_add_co_u32 v8, vcc_lo, v3, 1
	v_add_co_ci_u32_e32 v10, vcc_lo, 0, v4, vcc_lo
	v_cmp_ne_u32_e32 vcc_lo, 0, v5
	s_delay_alu instid0(VALU_DEP_2) | instskip(NEXT) | instid1(VALU_DEP_4)
	v_cndmask_b32_e32 v1, v10, v7, vcc_lo
	v_cndmask_b32_e32 v5, v8, v6, vcc_lo
	v_cmp_ne_u32_e32 vcc_lo, 0, v0
	v_xor_b32_e32 v0, s8, v9
	s_delay_alu instid0(VALU_DEP_3) | instskip(SKIP_2) | instid1(VALU_DEP_3)
	v_cndmask_b32_e32 v3, v3, v5, vcc_lo
	v_cndmask_b32_e32 v1, v4, v1, vcc_lo
	v_xor_b32_e32 v4, s9, v9
	v_xor_b32_e32 v3, v3, v0
	s_delay_alu instid0(VALU_DEP_2) | instskip(NEXT) | instid1(VALU_DEP_2)
	v_xor_b32_e32 v1, v1, v4
	v_sub_co_u32 v0, vcc_lo, v3, v0
	s_delay_alu instid0(VALU_DEP_2)
	v_sub_co_ci_u32_e32 v1, vcc_lo, v1, v4, vcc_lo
.LBB22_2:
	s_and_not1_saveexec_b32 s2, s3
	s_cbranch_execz .LBB22_4
; %bb.3:
	v_cvt_f32_u32_e32 v0, s6
	s_sub_i32 s3, 0, s6
	s_delay_alu instid0(VALU_DEP_1) | instskip(SKIP_2) | instid1(VALU_DEP_1)
	v_rcp_iflag_f32_e32 v0, v0
	s_waitcnt_depctr 0xfff
	v_mul_f32_e32 v0, 0x4f7ffffe, v0
	v_cvt_u32_f32_e32 v0, v0
	s_delay_alu instid0(VALU_DEP_1) | instskip(NEXT) | instid1(VALU_DEP_1)
	v_mul_lo_u32 v1, s3, v0
	v_mul_hi_u32 v1, v0, v1
	s_delay_alu instid0(VALU_DEP_1) | instskip(NEXT) | instid1(VALU_DEP_1)
	v_add_nc_u32_e32 v0, v0, v1
	v_mul_hi_u32 v0, v2, v0
	s_delay_alu instid0(VALU_DEP_1) | instskip(SKIP_1) | instid1(VALU_DEP_2)
	v_mul_lo_u32 v1, v0, s6
	v_add_nc_u32_e32 v3, 1, v0
	v_sub_nc_u32_e32 v1, v2, v1
	s_delay_alu instid0(VALU_DEP_1) | instskip(SKIP_1) | instid1(VALU_DEP_2)
	v_subrev_nc_u32_e32 v4, s6, v1
	v_cmp_le_u32_e32 vcc_lo, s6, v1
	v_dual_cndmask_b32 v1, v1, v4 :: v_dual_cndmask_b32 v0, v0, v3
	s_delay_alu instid0(VALU_DEP_1) | instskip(NEXT) | instid1(VALU_DEP_2)
	v_cmp_le_u32_e32 vcc_lo, s6, v1
	v_add_nc_u32_e32 v3, 1, v0
	s_delay_alu instid0(VALU_DEP_1)
	v_dual_mov_b32 v1, 0 :: v_dual_cndmask_b32 v0, v0, v3
.LBB22_4:
	s_or_b32 exec_lo, exec_lo, s2
	s_load_b64 s[2:3], s[0:1], 0x18
	s_delay_alu instid0(VALU_DEP_1) | instskip(NEXT) | instid1(VALU_DEP_1)
	v_mad_u64_u32 v[3:4], null, v0, s6, 0
	v_sub_co_u32 v2, null, v2, v3
	s_waitcnt lgkmcnt(0)
	v_cmp_gt_i64_e32 vcc_lo, s[2:3], v[0:1]
	s_delay_alu instid0(VALU_DEP_2) | instskip(NEXT) | instid1(VALU_DEP_1)
	v_cmp_gt_i32_e64 s2, s5, v2
	s_and_b32 s2, vcc_lo, s2
	s_delay_alu instid0(SALU_CYCLE_1)
	s_and_saveexec_b32 s3, s2
	s_cbranch_execz .LBB22_390
; %bb.5:
	s_ashr_i32 s5, s4, 31
	s_load_b64 s[2:3], s[0:1], 0x0
	v_mul_lo_u32 v5, v1, s4
	v_mad_u64_u32 v[3:4], null, v0, s4, 0
	v_mul_lo_u32 v6, v0, s5
	s_delay_alu instid0(VALU_DEP_1) | instskip(SKIP_1) | instid1(VALU_DEP_2)
	v_add3_u32 v4, v4, v6, v5
	v_dual_mov_b32 v6, 0 :: v_dual_lshlrev_b32 v5, 5, v2
	v_lshlrev_b64 v[3:4], 1, v[3:4]
	s_delay_alu instid0(VALU_DEP_2) | instskip(SKIP_1) | instid1(VALU_DEP_2)
	v_lshlrev_b64 v[5:6], 1, v[5:6]
	s_waitcnt lgkmcnt(0)
	v_add_co_u32 v3, vcc_lo, s2, v3
	s_delay_alu instid0(VALU_DEP_3) | instskip(SKIP_1) | instid1(VALU_DEP_2)
	v_add_co_ci_u32_e32 v4, vcc_lo, s3, v4, vcc_lo
	s_mov_b32 s2, exec_lo
	v_add_co_u32 v7, vcc_lo, v3, v5
	s_delay_alu instid0(VALU_DEP_2)
	v_add_co_ci_u32_e32 v8, vcc_lo, v4, v6, vcc_lo
	s_clause 0x3
	global_load_b128 v[3:6], v[7:8], off
	global_load_b128 v[10:13], v[7:8], off offset:16
	global_load_b128 v[52:55], v[7:8], off offset:32
	;; [unrolled: 1-line block ×3, first 2 shown]
	s_waitcnt vmcnt(3)
	v_lshlrev_b32_e32 v17, 16, v3
	v_and_b32_e32 v7, 0xffff0000, v3
	v_lshlrev_b32_e32 v9, 16, v4
	v_and_b32_e32 v14, 0xffff0000, v4
	;; [unrolled: 2-line block ×3, first 2 shown]
	v_max3_f32 v3, |v17|, 0, |v7|
	v_lshlrev_b32_e32 v22, 16, v6
	v_and_b32_e32 v25, 0xffff0000, v6
	s_waitcnt vmcnt(2)
	v_lshlrev_b32_e32 v28, 16, v10
	v_and_b32_e32 v31, 0xffff0000, v10
	v_max3_f32 v3, v3, |v9|, |v14|
	v_lshlrev_b32_e32 v33, 16, v11
	v_and_b32_e32 v36, 0xffff0000, v11
	v_lshlrev_b32_e32 v39, 16, v12
	v_and_b32_e32 v41, 0xffff0000, v12
	v_max3_f32 v3, v3, |v16|, |v20|
	v_lshlrev_b32_e32 v45, 16, v13
	v_and_b32_e32 v47, 0xffff0000, v13
	s_waitcnt vmcnt(1)
	v_lshlrev_b32_e32 v51, 16, v52
	v_and_b32_e32 v52, 0xffff0000, v52
	v_max3_f32 v3, v3, |v22|, |v25|
	v_lshlrev_b32_e32 v49, 16, v53
	v_and_b32_e32 v46, 0xffff0000, v53
	v_lshlrev_b32_e32 v44, 16, v54
	v_and_b32_e32 v40, 0xffff0000, v54
	v_max3_f32 v3, v3, |v28|, |v31|
	;; [unrolled: 11-line block ×3, first 2 shown]
	v_lshlrev_b32_e32 v13, 16, v59
	v_and_b32_e32 v8, 0xffff0000, v59
	s_delay_alu instid0(VALU_DEP_3) | instskip(NEXT) | instid1(VALU_DEP_1)
	v_max3_f32 v3, v3, |v45|, |v47|
	v_max3_f32 v3, v3, |v51|, |v52|
	s_delay_alu instid0(VALU_DEP_1) | instskip(NEXT) | instid1(VALU_DEP_1)
	v_max3_f32 v3, v3, |v49|, |v46|
	v_max3_f32 v3, v3, |v44|, |v40|
	s_delay_alu instid0(VALU_DEP_1) | instskip(NEXT) | instid1(VALU_DEP_1)
	;; [unrolled: 3-line block ×4, first 2 shown]
	v_max3_f32 v3, v3, |v13|, |v8|
	v_mul_f32_e32 v3, 0x3e800000, v3
	s_delay_alu instid0(VALU_DEP_1) | instskip(NEXT) | instid1(VALU_DEP_1)
	v_and_b32_e32 v4, 0x7f800000, v3
	v_div_scale_f32 v5, null, v4, v4, 1.0
	v_div_scale_f32 v11, vcc_lo, 1.0, v4, 1.0
	s_delay_alu instid0(VALU_DEP_2) | instskip(SKIP_2) | instid1(VALU_DEP_1)
	v_rcp_f32_e32 v6, v5
	s_waitcnt_depctr 0xfff
	v_fma_f32 v10, -v5, v6, 1.0
	v_fmac_f32_e32 v6, v10, v6
	s_delay_alu instid0(VALU_DEP_1) | instskip(NEXT) | instid1(VALU_DEP_1)
	v_mul_f32_e32 v10, v11, v6
	v_fma_f32 v12, -v5, v10, v11
	s_delay_alu instid0(VALU_DEP_1) | instskip(NEXT) | instid1(VALU_DEP_1)
	v_fmac_f32_e32 v10, v12, v6
	v_fma_f32 v5, -v5, v10, v11
	s_delay_alu instid0(VALU_DEP_1) | instskip(SKIP_2) | instid1(VALU_DEP_3)
	v_div_fmas_f32 v5, v5, v6, v10
	v_mov_b32_e32 v6, 7
	v_cmp_neq_f32_e32 vcc_lo, 0, v4
	v_div_fixup_f32 v5, v5, v4, 1.0
	s_delay_alu instid0(VALU_DEP_1) | instskip(NEXT) | instid1(VALU_DEP_1)
	v_dual_cndmask_b32 v12, 0, v5 :: v_dual_mov_b32 v5, 7
	v_mul_f32_e32 v4, v12, v17
	s_delay_alu instid0(VALU_DEP_1)
	v_cmpx_nle_f32_e64 0x40a00000, |v4|
	s_cbranch_execz .LBB22_17
; %bb.6:
	v_mov_b32_e32 v5, 6
	s_mov_b32 s3, exec_lo
	v_cmpx_nle_f32_e64 0x40600000, |v4|
	s_cbranch_execz .LBB22_16
; %bb.7:
	v_mov_b32_e32 v5, 5
	s_mov_b32 s5, exec_lo
	;; [unrolled: 5-line block ×5, first 2 shown]
	v_cmpx_nle_f32_e64 0x3f400000, |v4|
; %bb.11:
	v_cmp_le_f32_e64 s10, 0x3e800000, |v4|
	s_delay_alu instid0(VALU_DEP_1)
	v_cndmask_b32_e64 v5, 0, 1, s10
; %bb.12:
	s_or_b32 exec_lo, exec_lo, s9
.LBB22_13:
	s_delay_alu instid0(SALU_CYCLE_1)
	s_or_b32 exec_lo, exec_lo, s8
.LBB22_14:
	s_delay_alu instid0(SALU_CYCLE_1)
	s_or_b32 exec_lo, exec_lo, s7
.LBB22_15:
	s_delay_alu instid0(SALU_CYCLE_1)
	s_or_b32 exec_lo, exec_lo, s5
.LBB22_16:
	s_delay_alu instid0(SALU_CYCLE_1)
	s_or_b32 exec_lo, exec_lo, s3
.LBB22_17:
	s_delay_alu instid0(SALU_CYCLE_1) | instskip(SKIP_2) | instid1(VALU_DEP_1)
	s_or_b32 exec_lo, exec_lo, s2
	v_mul_f32_e32 v7, v12, v7
	s_mov_b32 s2, exec_lo
	v_cmpx_nle_f32_e64 0x40a00000, |v7|
	s_cbranch_execz .LBB22_29
; %bb.18:
	v_mov_b32_e32 v6, 6
	s_mov_b32 s3, exec_lo
	v_cmpx_nle_f32_e64 0x40600000, |v7|
	s_cbranch_execz .LBB22_28
; %bb.19:
	v_mov_b32_e32 v6, 5
	;; [unrolled: 5-line block ×5, first 2 shown]
	s_mov_b32 s9, exec_lo
	v_cmpx_nle_f32_e64 0x3f400000, |v7|
; %bb.23:
	v_cmp_le_f32_e64 s10, 0x3e800000, |v7|
	s_delay_alu instid0(VALU_DEP_1)
	v_cndmask_b32_e64 v6, 0, 1, s10
; %bb.24:
	s_or_b32 exec_lo, exec_lo, s9
.LBB22_25:
	s_delay_alu instid0(SALU_CYCLE_1)
	s_or_b32 exec_lo, exec_lo, s8
.LBB22_26:
	s_delay_alu instid0(SALU_CYCLE_1)
	s_or_b32 exec_lo, exec_lo, s7
.LBB22_27:
	s_delay_alu instid0(SALU_CYCLE_1)
	s_or_b32 exec_lo, exec_lo, s5
.LBB22_28:
	s_delay_alu instid0(SALU_CYCLE_1)
	s_or_b32 exec_lo, exec_lo, s3
.LBB22_29:
	s_delay_alu instid0(SALU_CYCLE_1) | instskip(SKIP_3) | instid1(VALU_DEP_2)
	s_or_b32 exec_lo, exec_lo, s2
	v_dual_mul_f32 v10, v12, v9 :: v_dual_mov_b32 v9, 7
	v_mov_b32_e32 v11, 7
	s_mov_b32 s2, exec_lo
	v_cmpx_nle_f32_e64 0x40a00000, |v10|
	s_cbranch_execz .LBB22_41
; %bb.30:
	v_mov_b32_e32 v11, 6
	s_mov_b32 s3, exec_lo
	v_cmpx_nle_f32_e64 0x40600000, |v10|
	s_cbranch_execz .LBB22_40
; %bb.31:
	;; [unrolled: 5-line block ×5, first 2 shown]
	v_mov_b32_e32 v11, 2
	s_mov_b32 s9, exec_lo
	v_cmpx_nle_f32_e64 0x3f400000, |v10|
; %bb.35:
	v_cmp_le_f32_e64 s10, 0x3e800000, |v10|
	s_delay_alu instid0(VALU_DEP_1)
	v_cndmask_b32_e64 v11, 0, 1, s10
; %bb.36:
	s_or_b32 exec_lo, exec_lo, s9
.LBB22_37:
	s_delay_alu instid0(SALU_CYCLE_1)
	s_or_b32 exec_lo, exec_lo, s8
.LBB22_38:
	s_delay_alu instid0(SALU_CYCLE_1)
	s_or_b32 exec_lo, exec_lo, s7
.LBB22_39:
	s_delay_alu instid0(SALU_CYCLE_1)
	s_or_b32 exec_lo, exec_lo, s5
.LBB22_40:
	s_delay_alu instid0(SALU_CYCLE_1)
	s_or_b32 exec_lo, exec_lo, s3
.LBB22_41:
	s_delay_alu instid0(SALU_CYCLE_1) | instskip(SKIP_2) | instid1(VALU_DEP_1)
	s_or_b32 exec_lo, exec_lo, s2
	v_mul_f32_e32 v14, v12, v14
	s_mov_b32 s2, exec_lo
	v_cmpx_nle_f32_e64 0x40a00000, |v14|
	s_cbranch_execz .LBB22_53
; %bb.42:
	v_mov_b32_e32 v9, 6
	s_mov_b32 s3, exec_lo
	v_cmpx_nle_f32_e64 0x40600000, |v14|
	s_cbranch_execz .LBB22_52
; %bb.43:
	v_mov_b32_e32 v9, 5
	;; [unrolled: 5-line block ×5, first 2 shown]
	s_mov_b32 s9, exec_lo
	v_cmpx_nle_f32_e64 0x3f400000, |v14|
; %bb.47:
	v_cmp_le_f32_e64 s10, 0x3e800000, |v14|
	s_delay_alu instid0(VALU_DEP_1)
	v_cndmask_b32_e64 v9, 0, 1, s10
; %bb.48:
	s_or_b32 exec_lo, exec_lo, s9
.LBB22_49:
	s_delay_alu instid0(SALU_CYCLE_1)
	s_or_b32 exec_lo, exec_lo, s8
.LBB22_50:
	s_delay_alu instid0(SALU_CYCLE_1)
	s_or_b32 exec_lo, exec_lo, s7
.LBB22_51:
	s_delay_alu instid0(SALU_CYCLE_1)
	s_or_b32 exec_lo, exec_lo, s5
.LBB22_52:
	s_delay_alu instid0(SALU_CYCLE_1)
	s_or_b32 exec_lo, exec_lo, s3
.LBB22_53:
	s_delay_alu instid0(SALU_CYCLE_1) | instskip(SKIP_3) | instid1(VALU_DEP_2)
	s_or_b32 exec_lo, exec_lo, s2
	v_dual_mul_f32 v18, v12, v16 :: v_dual_mov_b32 v17, 7
	v_mov_b32_e32 v16, 7
	s_mov_b32 s2, exec_lo
	v_cmpx_nle_f32_e64 0x40a00000, |v18|
	s_cbranch_execz .LBB22_65
; %bb.54:
	v_mov_b32_e32 v17, 6
	s_mov_b32 s3, exec_lo
	v_cmpx_nle_f32_e64 0x40600000, |v18|
	s_cbranch_execz .LBB22_64
; %bb.55:
	;; [unrolled: 5-line block ×5, first 2 shown]
	v_mov_b32_e32 v17, 2
	s_mov_b32 s9, exec_lo
	v_cmpx_nle_f32_e64 0x3f400000, |v18|
; %bb.59:
	v_cmp_le_f32_e64 s10, 0x3e800000, |v18|
	s_delay_alu instid0(VALU_DEP_1)
	v_cndmask_b32_e64 v17, 0, 1, s10
; %bb.60:
	s_or_b32 exec_lo, exec_lo, s9
.LBB22_61:
	s_delay_alu instid0(SALU_CYCLE_1)
	s_or_b32 exec_lo, exec_lo, s8
.LBB22_62:
	s_delay_alu instid0(SALU_CYCLE_1)
	s_or_b32 exec_lo, exec_lo, s7
.LBB22_63:
	s_delay_alu instid0(SALU_CYCLE_1)
	s_or_b32 exec_lo, exec_lo, s5
.LBB22_64:
	s_delay_alu instid0(SALU_CYCLE_1)
	s_or_b32 exec_lo, exec_lo, s3
.LBB22_65:
	s_delay_alu instid0(SALU_CYCLE_1) | instskip(SKIP_2) | instid1(VALU_DEP_1)
	s_or_b32 exec_lo, exec_lo, s2
	v_mul_f32_e32 v20, v12, v20
	s_mov_b32 s2, exec_lo
	v_cmpx_nle_f32_e64 0x40a00000, |v20|
	s_cbranch_execz .LBB22_77
; %bb.66:
	v_mov_b32_e32 v16, 6
	s_mov_b32 s3, exec_lo
	v_cmpx_nle_f32_e64 0x40600000, |v20|
	s_cbranch_execz .LBB22_76
; %bb.67:
	v_mov_b32_e32 v16, 5
	;; [unrolled: 5-line block ×5, first 2 shown]
	s_mov_b32 s9, exec_lo
	v_cmpx_nle_f32_e64 0x3f400000, |v20|
; %bb.71:
	v_cmp_le_f32_e64 s10, 0x3e800000, |v20|
	s_delay_alu instid0(VALU_DEP_1)
	v_cndmask_b32_e64 v16, 0, 1, s10
; %bb.72:
	s_or_b32 exec_lo, exec_lo, s9
.LBB22_73:
	s_delay_alu instid0(SALU_CYCLE_1)
	s_or_b32 exec_lo, exec_lo, s8
.LBB22_74:
	s_delay_alu instid0(SALU_CYCLE_1)
	s_or_b32 exec_lo, exec_lo, s7
.LBB22_75:
	s_delay_alu instid0(SALU_CYCLE_1)
	s_or_b32 exec_lo, exec_lo, s5
.LBB22_76:
	s_delay_alu instid0(SALU_CYCLE_1)
	s_or_b32 exec_lo, exec_lo, s3
.LBB22_77:
	s_delay_alu instid0(SALU_CYCLE_1) | instskip(SKIP_3) | instid1(VALU_DEP_2)
	s_or_b32 exec_lo, exec_lo, s2
	v_dual_mul_f32 v24, v12, v22 :: v_dual_mov_b32 v23, 7
	v_mov_b32_e32 v22, 7
	s_mov_b32 s2, exec_lo
	v_cmpx_nle_f32_e64 0x40a00000, |v24|
	s_cbranch_execz .LBB22_89
; %bb.78:
	v_mov_b32_e32 v23, 6
	s_mov_b32 s3, exec_lo
	v_cmpx_nle_f32_e64 0x40600000, |v24|
	s_cbranch_execz .LBB22_88
; %bb.79:
	;; [unrolled: 5-line block ×5, first 2 shown]
	v_mov_b32_e32 v23, 2
	s_mov_b32 s9, exec_lo
	v_cmpx_nle_f32_e64 0x3f400000, |v24|
; %bb.83:
	v_cmp_le_f32_e64 s10, 0x3e800000, |v24|
	s_delay_alu instid0(VALU_DEP_1)
	v_cndmask_b32_e64 v23, 0, 1, s10
; %bb.84:
	s_or_b32 exec_lo, exec_lo, s9
.LBB22_85:
	s_delay_alu instid0(SALU_CYCLE_1)
	s_or_b32 exec_lo, exec_lo, s8
.LBB22_86:
	s_delay_alu instid0(SALU_CYCLE_1)
	s_or_b32 exec_lo, exec_lo, s7
.LBB22_87:
	s_delay_alu instid0(SALU_CYCLE_1)
	s_or_b32 exec_lo, exec_lo, s5
.LBB22_88:
	s_delay_alu instid0(SALU_CYCLE_1)
	s_or_b32 exec_lo, exec_lo, s3
.LBB22_89:
	s_delay_alu instid0(SALU_CYCLE_1) | instskip(SKIP_2) | instid1(VALU_DEP_1)
	s_or_b32 exec_lo, exec_lo, s2
	v_mul_f32_e32 v25, v12, v25
	s_mov_b32 s2, exec_lo
	v_cmpx_nle_f32_e64 0x40a00000, |v25|
	s_cbranch_execz .LBB22_101
; %bb.90:
	v_mov_b32_e32 v22, 6
	s_mov_b32 s3, exec_lo
	v_cmpx_nle_f32_e64 0x40600000, |v25|
	s_cbranch_execz .LBB22_100
; %bb.91:
	v_mov_b32_e32 v22, 5
	s_mov_b32 s5, exec_lo
	v_cmpx_nle_f32_e64 0x40200000, |v25|
	s_cbranch_execz .LBB22_99
; %bb.92:
	v_mov_b32_e32 v22, 4
	s_mov_b32 s7, exec_lo
	v_cmpx_nle_f32_e64 0x3fe00000, |v25|
	s_cbranch_execz .LBB22_98
; %bb.93:
	v_mov_b32_e32 v22, 3
	s_mov_b32 s8, exec_lo
	v_cmpx_nle_f32_e64 0x3fa00000, |v25|
	s_cbranch_execz .LBB22_97
; %bb.94:
	v_mov_b32_e32 v22, 2
	s_mov_b32 s9, exec_lo
	v_cmpx_nle_f32_e64 0x3f400000, |v25|
; %bb.95:
	v_cmp_le_f32_e64 s10, 0x3e800000, |v25|
	s_delay_alu instid0(VALU_DEP_1)
	v_cndmask_b32_e64 v22, 0, 1, s10
; %bb.96:
	s_or_b32 exec_lo, exec_lo, s9
.LBB22_97:
	s_delay_alu instid0(SALU_CYCLE_1)
	s_or_b32 exec_lo, exec_lo, s8
.LBB22_98:
	s_delay_alu instid0(SALU_CYCLE_1)
	s_or_b32 exec_lo, exec_lo, s7
.LBB22_99:
	s_delay_alu instid0(SALU_CYCLE_1)
	s_or_b32 exec_lo, exec_lo, s5
.LBB22_100:
	s_delay_alu instid0(SALU_CYCLE_1)
	s_or_b32 exec_lo, exec_lo, s3
.LBB22_101:
	s_delay_alu instid0(SALU_CYCLE_1) | instskip(SKIP_3) | instid1(VALU_DEP_2)
	s_or_b32 exec_lo, exec_lo, s2
	v_dual_mul_f32 v29, v12, v28 :: v_dual_mov_b32 v28, 7
	v_mov_b32_e32 v30, 7
	s_mov_b32 s2, exec_lo
	v_cmpx_nle_f32_e64 0x40a00000, |v29|
	s_cbranch_execz .LBB22_113
; %bb.102:
	v_mov_b32_e32 v30, 6
	s_mov_b32 s3, exec_lo
	v_cmpx_nle_f32_e64 0x40600000, |v29|
	s_cbranch_execz .LBB22_112
; %bb.103:
	;; [unrolled: 5-line block ×5, first 2 shown]
	v_mov_b32_e32 v30, 2
	s_mov_b32 s9, exec_lo
	v_cmpx_nle_f32_e64 0x3f400000, |v29|
; %bb.107:
	v_cmp_le_f32_e64 s10, 0x3e800000, |v29|
	s_delay_alu instid0(VALU_DEP_1)
	v_cndmask_b32_e64 v30, 0, 1, s10
; %bb.108:
	s_or_b32 exec_lo, exec_lo, s9
.LBB22_109:
	s_delay_alu instid0(SALU_CYCLE_1)
	s_or_b32 exec_lo, exec_lo, s8
.LBB22_110:
	s_delay_alu instid0(SALU_CYCLE_1)
	s_or_b32 exec_lo, exec_lo, s7
.LBB22_111:
	s_delay_alu instid0(SALU_CYCLE_1)
	s_or_b32 exec_lo, exec_lo, s5
.LBB22_112:
	s_delay_alu instid0(SALU_CYCLE_1)
	s_or_b32 exec_lo, exec_lo, s3
.LBB22_113:
	s_delay_alu instid0(SALU_CYCLE_1) | instskip(SKIP_2) | instid1(VALU_DEP_1)
	s_or_b32 exec_lo, exec_lo, s2
	v_mul_f32_e32 v31, v12, v31
	s_mov_b32 s2, exec_lo
	v_cmpx_nle_f32_e64 0x40a00000, |v31|
	s_cbranch_execz .LBB22_125
; %bb.114:
	v_mov_b32_e32 v28, 6
	s_mov_b32 s3, exec_lo
	v_cmpx_nle_f32_e64 0x40600000, |v31|
	s_cbranch_execz .LBB22_124
; %bb.115:
	v_mov_b32_e32 v28, 5
	;; [unrolled: 5-line block ×5, first 2 shown]
	s_mov_b32 s9, exec_lo
	v_cmpx_nle_f32_e64 0x3f400000, |v31|
; %bb.119:
	v_cmp_le_f32_e64 s10, 0x3e800000, |v31|
	s_delay_alu instid0(VALU_DEP_1)
	v_cndmask_b32_e64 v28, 0, 1, s10
; %bb.120:
	s_or_b32 exec_lo, exec_lo, s9
.LBB22_121:
	s_delay_alu instid0(SALU_CYCLE_1)
	s_or_b32 exec_lo, exec_lo, s8
.LBB22_122:
	s_delay_alu instid0(SALU_CYCLE_1)
	s_or_b32 exec_lo, exec_lo, s7
.LBB22_123:
	s_delay_alu instid0(SALU_CYCLE_1)
	s_or_b32 exec_lo, exec_lo, s5
.LBB22_124:
	s_delay_alu instid0(SALU_CYCLE_1)
	s_or_b32 exec_lo, exec_lo, s3
.LBB22_125:
	s_delay_alu instid0(SALU_CYCLE_1) | instskip(SKIP_4) | instid1(VALU_DEP_3)
	s_or_b32 exec_lo, exec_lo, s2
	v_mul_f32_e32 v35, v12, v33
	v_mov_b32_e32 v33, 7
	v_mov_b32_e32 v37, 7
	s_mov_b32 s2, exec_lo
	v_cmpx_nle_f32_e64 0x40a00000, |v35|
	s_cbranch_execz .LBB22_137
; %bb.126:
	v_mov_b32_e32 v37, 6
	s_mov_b32 s3, exec_lo
	v_cmpx_nle_f32_e64 0x40600000, |v35|
	s_cbranch_execz .LBB22_136
; %bb.127:
	;; [unrolled: 5-line block ×5, first 2 shown]
	v_mov_b32_e32 v37, 2
	s_mov_b32 s9, exec_lo
	v_cmpx_nle_f32_e64 0x3f400000, |v35|
; %bb.131:
	v_cmp_le_f32_e64 s10, 0x3e800000, |v35|
	s_delay_alu instid0(VALU_DEP_1)
	v_cndmask_b32_e64 v37, 0, 1, s10
; %bb.132:
	s_or_b32 exec_lo, exec_lo, s9
.LBB22_133:
	s_delay_alu instid0(SALU_CYCLE_1)
	s_or_b32 exec_lo, exec_lo, s8
.LBB22_134:
	s_delay_alu instid0(SALU_CYCLE_1)
	s_or_b32 exec_lo, exec_lo, s7
.LBB22_135:
	s_delay_alu instid0(SALU_CYCLE_1)
	s_or_b32 exec_lo, exec_lo, s5
.LBB22_136:
	s_delay_alu instid0(SALU_CYCLE_1)
	s_or_b32 exec_lo, exec_lo, s3
.LBB22_137:
	s_delay_alu instid0(SALU_CYCLE_1) | instskip(SKIP_2) | instid1(VALU_DEP_1)
	s_or_b32 exec_lo, exec_lo, s2
	v_mul_f32_e32 v36, v12, v36
	s_mov_b32 s2, exec_lo
	v_cmpx_nle_f32_e64 0x40a00000, |v36|
	s_cbranch_execz .LBB22_149
; %bb.138:
	v_mov_b32_e32 v33, 6
	s_mov_b32 s3, exec_lo
	v_cmpx_nle_f32_e64 0x40600000, |v36|
	s_cbranch_execz .LBB22_148
; %bb.139:
	v_mov_b32_e32 v33, 5
	;; [unrolled: 5-line block ×5, first 2 shown]
	s_mov_b32 s9, exec_lo
	v_cmpx_nle_f32_e64 0x3f400000, |v36|
; %bb.143:
	v_cmp_le_f32_e64 s10, 0x3e800000, |v36|
	s_delay_alu instid0(VALU_DEP_1)
	v_cndmask_b32_e64 v33, 0, 1, s10
; %bb.144:
	s_or_b32 exec_lo, exec_lo, s9
.LBB22_145:
	s_delay_alu instid0(SALU_CYCLE_1)
	s_or_b32 exec_lo, exec_lo, s8
.LBB22_146:
	s_delay_alu instid0(SALU_CYCLE_1)
	s_or_b32 exec_lo, exec_lo, s7
.LBB22_147:
	s_delay_alu instid0(SALU_CYCLE_1)
	s_or_b32 exec_lo, exec_lo, s5
.LBB22_148:
	s_delay_alu instid0(SALU_CYCLE_1)
	s_or_b32 exec_lo, exec_lo, s3
.LBB22_149:
	s_delay_alu instid0(SALU_CYCLE_1) | instskip(SKIP_3) | instid1(VALU_DEP_2)
	s_or_b32 exec_lo, exec_lo, s2
	v_dual_mul_f32 v43, v12, v39 :: v_dual_mov_b32 v42, 7
	v_mov_b32_e32 v39, 7
	s_mov_b32 s2, exec_lo
	v_cmpx_nle_f32_e64 0x40a00000, |v43|
	s_cbranch_execz .LBB22_161
; %bb.150:
	v_mov_b32_e32 v42, 6
	s_mov_b32 s3, exec_lo
	v_cmpx_nle_f32_e64 0x40600000, |v43|
	s_cbranch_execz .LBB22_160
; %bb.151:
	;; [unrolled: 5-line block ×5, first 2 shown]
	v_mov_b32_e32 v42, 2
	s_mov_b32 s9, exec_lo
	v_cmpx_nle_f32_e64 0x3f400000, |v43|
; %bb.155:
	v_cmp_le_f32_e64 s10, 0x3e800000, |v43|
	s_delay_alu instid0(VALU_DEP_1)
	v_cndmask_b32_e64 v42, 0, 1, s10
; %bb.156:
	s_or_b32 exec_lo, exec_lo, s9
.LBB22_157:
	s_delay_alu instid0(SALU_CYCLE_1)
	s_or_b32 exec_lo, exec_lo, s8
.LBB22_158:
	s_delay_alu instid0(SALU_CYCLE_1)
	s_or_b32 exec_lo, exec_lo, s7
.LBB22_159:
	s_delay_alu instid0(SALU_CYCLE_1)
	s_or_b32 exec_lo, exec_lo, s5
.LBB22_160:
	s_delay_alu instid0(SALU_CYCLE_1)
	s_or_b32 exec_lo, exec_lo, s3
.LBB22_161:
	s_delay_alu instid0(SALU_CYCLE_1) | instskip(SKIP_2) | instid1(VALU_DEP_1)
	s_or_b32 exec_lo, exec_lo, s2
	v_mul_f32_e32 v41, v12, v41
	s_mov_b32 s2, exec_lo
	v_cmpx_nle_f32_e64 0x40a00000, |v41|
	s_cbranch_execz .LBB22_173
; %bb.162:
	v_mov_b32_e32 v39, 6
	s_mov_b32 s3, exec_lo
	v_cmpx_nle_f32_e64 0x40600000, |v41|
	s_cbranch_execz .LBB22_172
; %bb.163:
	v_mov_b32_e32 v39, 5
	;; [unrolled: 5-line block ×5, first 2 shown]
	s_mov_b32 s9, exec_lo
	v_cmpx_nle_f32_e64 0x3f400000, |v41|
; %bb.167:
	v_cmp_le_f32_e64 s10, 0x3e800000, |v41|
	s_delay_alu instid0(VALU_DEP_1)
	v_cndmask_b32_e64 v39, 0, 1, s10
; %bb.168:
	s_or_b32 exec_lo, exec_lo, s9
.LBB22_169:
	s_delay_alu instid0(SALU_CYCLE_1)
	s_or_b32 exec_lo, exec_lo, s8
.LBB22_170:
	s_delay_alu instid0(SALU_CYCLE_1)
	s_or_b32 exec_lo, exec_lo, s7
.LBB22_171:
	s_delay_alu instid0(SALU_CYCLE_1)
	s_or_b32 exec_lo, exec_lo, s5
.LBB22_172:
	s_delay_alu instid0(SALU_CYCLE_1)
	s_or_b32 exec_lo, exec_lo, s3
.LBB22_173:
	s_delay_alu instid0(SALU_CYCLE_1) | instskip(SKIP_3) | instid1(VALU_DEP_2)
	s_or_b32 exec_lo, exec_lo, s2
	v_dual_mul_f32 v50, v12, v45 :: v_dual_mov_b32 v45, 7
	v_mov_b32_e32 v48, 7
	s_mov_b32 s2, exec_lo
	v_cmpx_nle_f32_e64 0x40a00000, |v50|
	s_cbranch_execz .LBB22_185
; %bb.174:
	v_mov_b32_e32 v48, 6
	s_mov_b32 s3, exec_lo
	v_cmpx_nle_f32_e64 0x40600000, |v50|
	s_cbranch_execz .LBB22_184
; %bb.175:
	;; [unrolled: 5-line block ×5, first 2 shown]
	v_mov_b32_e32 v48, 2
	s_mov_b32 s9, exec_lo
	v_cmpx_nle_f32_e64 0x3f400000, |v50|
; %bb.179:
	v_cmp_le_f32_e64 s10, 0x3e800000, |v50|
	s_delay_alu instid0(VALU_DEP_1)
	v_cndmask_b32_e64 v48, 0, 1, s10
; %bb.180:
	s_or_b32 exec_lo, exec_lo, s9
.LBB22_181:
	s_delay_alu instid0(SALU_CYCLE_1)
	s_or_b32 exec_lo, exec_lo, s8
.LBB22_182:
	s_delay_alu instid0(SALU_CYCLE_1)
	s_or_b32 exec_lo, exec_lo, s7
.LBB22_183:
	s_delay_alu instid0(SALU_CYCLE_1)
	s_or_b32 exec_lo, exec_lo, s5
.LBB22_184:
	s_delay_alu instid0(SALU_CYCLE_1)
	s_or_b32 exec_lo, exec_lo, s3
.LBB22_185:
	s_delay_alu instid0(SALU_CYCLE_1) | instskip(SKIP_2) | instid1(VALU_DEP_1)
	s_or_b32 exec_lo, exec_lo, s2
	v_mul_f32_e32 v47, v12, v47
	s_mov_b32 s2, exec_lo
	v_cmpx_nle_f32_e64 0x40a00000, |v47|
	s_cbranch_execz .LBB22_197
; %bb.186:
	v_mov_b32_e32 v45, 6
	s_mov_b32 s3, exec_lo
	v_cmpx_nle_f32_e64 0x40600000, |v47|
	s_cbranch_execz .LBB22_196
; %bb.187:
	v_mov_b32_e32 v45, 5
	;; [unrolled: 5-line block ×5, first 2 shown]
	s_mov_b32 s9, exec_lo
	v_cmpx_nle_f32_e64 0x3f400000, |v47|
; %bb.191:
	v_cmp_le_f32_e64 s10, 0x3e800000, |v47|
	s_delay_alu instid0(VALU_DEP_1)
	v_cndmask_b32_e64 v45, 0, 1, s10
; %bb.192:
	s_or_b32 exec_lo, exec_lo, s9
.LBB22_193:
	s_delay_alu instid0(SALU_CYCLE_1)
	s_or_b32 exec_lo, exec_lo, s8
.LBB22_194:
	s_delay_alu instid0(SALU_CYCLE_1)
	s_or_b32 exec_lo, exec_lo, s7
.LBB22_195:
	s_delay_alu instid0(SALU_CYCLE_1)
	s_or_b32 exec_lo, exec_lo, s5
.LBB22_196:
	s_delay_alu instid0(SALU_CYCLE_1)
	s_or_b32 exec_lo, exec_lo, s3
.LBB22_197:
	s_delay_alu instid0(SALU_CYCLE_1) | instskip(SKIP_3) | instid1(VALU_DEP_2)
	s_or_b32 exec_lo, exec_lo, s2
	v_dual_mul_f32 v54, v12, v51 :: v_dual_mov_b32 v51, 7
	v_mov_b32_e32 v53, 7
	s_mov_b32 s2, exec_lo
	v_cmpx_nle_f32_e64 0x40a00000, |v54|
	s_cbranch_execz .LBB22_209
; %bb.198:
	v_mov_b32_e32 v53, 6
	s_mov_b32 s3, exec_lo
	v_cmpx_nle_f32_e64 0x40600000, |v54|
	s_cbranch_execz .LBB22_208
; %bb.199:
	;; [unrolled: 5-line block ×5, first 2 shown]
	v_mov_b32_e32 v53, 2
	s_mov_b32 s9, exec_lo
	v_cmpx_nle_f32_e64 0x3f400000, |v54|
; %bb.203:
	v_cmp_le_f32_e64 s10, 0x3e800000, |v54|
	s_delay_alu instid0(VALU_DEP_1)
	v_cndmask_b32_e64 v53, 0, 1, s10
; %bb.204:
	s_or_b32 exec_lo, exec_lo, s9
.LBB22_205:
	s_delay_alu instid0(SALU_CYCLE_1)
	s_or_b32 exec_lo, exec_lo, s8
.LBB22_206:
	s_delay_alu instid0(SALU_CYCLE_1)
	s_or_b32 exec_lo, exec_lo, s7
.LBB22_207:
	s_delay_alu instid0(SALU_CYCLE_1)
	s_or_b32 exec_lo, exec_lo, s5
.LBB22_208:
	s_delay_alu instid0(SALU_CYCLE_1)
	s_or_b32 exec_lo, exec_lo, s3
.LBB22_209:
	s_delay_alu instid0(SALU_CYCLE_1) | instskip(SKIP_2) | instid1(VALU_DEP_1)
	s_or_b32 exec_lo, exec_lo, s2
	v_mul_f32_e32 v52, v12, v52
	s_mov_b32 s2, exec_lo
	v_cmpx_nle_f32_e64 0x40a00000, |v52|
	s_cbranch_execz .LBB22_221
; %bb.210:
	v_mov_b32_e32 v51, 6
	s_mov_b32 s3, exec_lo
	v_cmpx_nle_f32_e64 0x40600000, |v52|
	s_cbranch_execz .LBB22_220
; %bb.211:
	v_mov_b32_e32 v51, 5
	;; [unrolled: 5-line block ×5, first 2 shown]
	s_mov_b32 s9, exec_lo
	v_cmpx_nle_f32_e64 0x3f400000, |v52|
; %bb.215:
	v_cmp_le_f32_e64 s10, 0x3e800000, |v52|
	s_delay_alu instid0(VALU_DEP_1)
	v_cndmask_b32_e64 v51, 0, 1, s10
; %bb.216:
	s_or_b32 exec_lo, exec_lo, s9
.LBB22_217:
	s_delay_alu instid0(SALU_CYCLE_1)
	s_or_b32 exec_lo, exec_lo, s8
.LBB22_218:
	s_delay_alu instid0(SALU_CYCLE_1)
	s_or_b32 exec_lo, exec_lo, s7
.LBB22_219:
	s_delay_alu instid0(SALU_CYCLE_1)
	s_or_b32 exec_lo, exec_lo, s5
.LBB22_220:
	s_delay_alu instid0(SALU_CYCLE_1)
	s_or_b32 exec_lo, exec_lo, s3
.LBB22_221:
	s_delay_alu instid0(SALU_CYCLE_1) | instskip(SKIP_3) | instid1(VALU_DEP_2)
	s_or_b32 exec_lo, exec_lo, s2
	v_dual_mul_f32 v55, v12, v49 :: v_dual_mov_b32 v56, 7
	v_mov_b32_e32 v49, 7
	s_mov_b32 s2, exec_lo
	v_cmpx_nle_f32_e64 0x40a00000, |v55|
	s_cbranch_execz .LBB22_233
; %bb.222:
	v_mov_b32_e32 v56, 6
	s_mov_b32 s3, exec_lo
	v_cmpx_nle_f32_e64 0x40600000, |v55|
	s_cbranch_execz .LBB22_232
; %bb.223:
	;; [unrolled: 5-line block ×5, first 2 shown]
	v_mov_b32_e32 v56, 2
	s_mov_b32 s9, exec_lo
	v_cmpx_nle_f32_e64 0x3f400000, |v55|
; %bb.227:
	v_cmp_le_f32_e64 s10, 0x3e800000, |v55|
	s_delay_alu instid0(VALU_DEP_1)
	v_cndmask_b32_e64 v56, 0, 1, s10
; %bb.228:
	s_or_b32 exec_lo, exec_lo, s9
.LBB22_229:
	s_delay_alu instid0(SALU_CYCLE_1)
	s_or_b32 exec_lo, exec_lo, s8
.LBB22_230:
	s_delay_alu instid0(SALU_CYCLE_1)
	s_or_b32 exec_lo, exec_lo, s7
.LBB22_231:
	s_delay_alu instid0(SALU_CYCLE_1)
	s_or_b32 exec_lo, exec_lo, s5
.LBB22_232:
	s_delay_alu instid0(SALU_CYCLE_1)
	s_or_b32 exec_lo, exec_lo, s3
.LBB22_233:
	s_delay_alu instid0(SALU_CYCLE_1) | instskip(SKIP_2) | instid1(VALU_DEP_1)
	s_or_b32 exec_lo, exec_lo, s2
	v_mul_f32_e32 v46, v12, v46
	s_mov_b32 s2, exec_lo
	v_cmpx_nle_f32_e64 0x40a00000, |v46|
	s_cbranch_execz .LBB22_245
; %bb.234:
	v_mov_b32_e32 v49, 6
	s_mov_b32 s3, exec_lo
	v_cmpx_nle_f32_e64 0x40600000, |v46|
	s_cbranch_execz .LBB22_244
; %bb.235:
	v_mov_b32_e32 v49, 5
	;; [unrolled: 5-line block ×5, first 2 shown]
	s_mov_b32 s9, exec_lo
	v_cmpx_nle_f32_e64 0x3f400000, |v46|
; %bb.239:
	v_cmp_le_f32_e64 s10, 0x3e800000, |v46|
	s_delay_alu instid0(VALU_DEP_1)
	v_cndmask_b32_e64 v49, 0, 1, s10
; %bb.240:
	s_or_b32 exec_lo, exec_lo, s9
.LBB22_241:
	s_delay_alu instid0(SALU_CYCLE_1)
	s_or_b32 exec_lo, exec_lo, s8
.LBB22_242:
	s_delay_alu instid0(SALU_CYCLE_1)
	s_or_b32 exec_lo, exec_lo, s7
.LBB22_243:
	s_delay_alu instid0(SALU_CYCLE_1)
	s_or_b32 exec_lo, exec_lo, s5
.LBB22_244:
	s_delay_alu instid0(SALU_CYCLE_1)
	s_or_b32 exec_lo, exec_lo, s3
.LBB22_245:
	s_delay_alu instid0(SALU_CYCLE_1) | instskip(SKIP_3) | instid1(VALU_DEP_2)
	s_or_b32 exec_lo, exec_lo, s2
	v_dual_mul_f32 v57, v12, v44 :: v_dual_mov_b32 v44, 7
	v_mov_b32_e32 v58, 7
	s_mov_b32 s2, exec_lo
	v_cmpx_nle_f32_e64 0x40a00000, |v57|
	s_cbranch_execz .LBB22_257
; %bb.246:
	v_mov_b32_e32 v58, 6
	s_mov_b32 s3, exec_lo
	v_cmpx_nle_f32_e64 0x40600000, |v57|
	s_cbranch_execz .LBB22_256
; %bb.247:
	;; [unrolled: 5-line block ×5, first 2 shown]
	v_mov_b32_e32 v58, 2
	s_mov_b32 s9, exec_lo
	v_cmpx_nle_f32_e64 0x3f400000, |v57|
; %bb.251:
	v_cmp_le_f32_e64 s10, 0x3e800000, |v57|
	s_delay_alu instid0(VALU_DEP_1)
	v_cndmask_b32_e64 v58, 0, 1, s10
; %bb.252:
	s_or_b32 exec_lo, exec_lo, s9
.LBB22_253:
	s_delay_alu instid0(SALU_CYCLE_1)
	s_or_b32 exec_lo, exec_lo, s8
.LBB22_254:
	s_delay_alu instid0(SALU_CYCLE_1)
	s_or_b32 exec_lo, exec_lo, s7
.LBB22_255:
	s_delay_alu instid0(SALU_CYCLE_1)
	s_or_b32 exec_lo, exec_lo, s5
.LBB22_256:
	s_delay_alu instid0(SALU_CYCLE_1)
	s_or_b32 exec_lo, exec_lo, s3
.LBB22_257:
	s_delay_alu instid0(SALU_CYCLE_1) | instskip(SKIP_2) | instid1(VALU_DEP_1)
	s_or_b32 exec_lo, exec_lo, s2
	v_mul_f32_e32 v40, v12, v40
	s_mov_b32 s2, exec_lo
	v_cmpx_nle_f32_e64 0x40a00000, |v40|
	s_cbranch_execz .LBB22_269
; %bb.258:
	v_mov_b32_e32 v44, 6
	s_mov_b32 s3, exec_lo
	v_cmpx_nle_f32_e64 0x40600000, |v40|
	s_cbranch_execz .LBB22_268
; %bb.259:
	v_mov_b32_e32 v44, 5
	;; [unrolled: 5-line block ×5, first 2 shown]
	s_mov_b32 s9, exec_lo
	v_cmpx_nle_f32_e64 0x3f400000, |v40|
; %bb.263:
	v_cmp_le_f32_e64 s10, 0x3e800000, |v40|
	s_delay_alu instid0(VALU_DEP_1)
	v_cndmask_b32_e64 v44, 0, 1, s10
; %bb.264:
	s_or_b32 exec_lo, exec_lo, s9
.LBB22_265:
	s_delay_alu instid0(SALU_CYCLE_1)
	s_or_b32 exec_lo, exec_lo, s8
.LBB22_266:
	s_delay_alu instid0(SALU_CYCLE_1)
	s_or_b32 exec_lo, exec_lo, s7
.LBB22_267:
	s_delay_alu instid0(SALU_CYCLE_1)
	s_or_b32 exec_lo, exec_lo, s5
.LBB22_268:
	s_delay_alu instid0(SALU_CYCLE_1)
	s_or_b32 exec_lo, exec_lo, s3
.LBB22_269:
	s_delay_alu instid0(SALU_CYCLE_1) | instskip(SKIP_3) | instid1(VALU_DEP_2)
	s_or_b32 exec_lo, exec_lo, s2
	v_dual_mul_f32 v60, v12, v38 :: v_dual_mov_b32 v59, 7
	v_mov_b32_e32 v38, 7
	s_mov_b32 s2, exec_lo
	v_cmpx_nle_f32_e64 0x40a00000, |v60|
	s_cbranch_execz .LBB22_281
; %bb.270:
	v_mov_b32_e32 v59, 6
	s_mov_b32 s3, exec_lo
	v_cmpx_nle_f32_e64 0x40600000, |v60|
	s_cbranch_execz .LBB22_280
; %bb.271:
	;; [unrolled: 5-line block ×5, first 2 shown]
	v_mov_b32_e32 v59, 2
	s_mov_b32 s9, exec_lo
	v_cmpx_nle_f32_e64 0x3f400000, |v60|
; %bb.275:
	v_cmp_le_f32_e64 s10, 0x3e800000, |v60|
	s_delay_alu instid0(VALU_DEP_1)
	v_cndmask_b32_e64 v59, 0, 1, s10
; %bb.276:
	s_or_b32 exec_lo, exec_lo, s9
.LBB22_277:
	s_delay_alu instid0(SALU_CYCLE_1)
	s_or_b32 exec_lo, exec_lo, s8
.LBB22_278:
	s_delay_alu instid0(SALU_CYCLE_1)
	s_or_b32 exec_lo, exec_lo, s7
.LBB22_279:
	s_delay_alu instid0(SALU_CYCLE_1)
	s_or_b32 exec_lo, exec_lo, s5
.LBB22_280:
	s_delay_alu instid0(SALU_CYCLE_1)
	s_or_b32 exec_lo, exec_lo, s3
.LBB22_281:
	s_delay_alu instid0(SALU_CYCLE_1) | instskip(SKIP_2) | instid1(VALU_DEP_1)
	s_or_b32 exec_lo, exec_lo, s2
	v_mul_f32_e32 v34, v12, v34
	s_mov_b32 s2, exec_lo
	v_cmpx_nle_f32_e64 0x40a00000, |v34|
	s_cbranch_execz .LBB22_293
; %bb.282:
	v_mov_b32_e32 v38, 6
	s_mov_b32 s3, exec_lo
	v_cmpx_nle_f32_e64 0x40600000, |v34|
	s_cbranch_execz .LBB22_292
; %bb.283:
	v_mov_b32_e32 v38, 5
	;; [unrolled: 5-line block ×5, first 2 shown]
	s_mov_b32 s9, exec_lo
	v_cmpx_nle_f32_e64 0x3f400000, |v34|
; %bb.287:
	v_cmp_le_f32_e64 s10, 0x3e800000, |v34|
	s_delay_alu instid0(VALU_DEP_1)
	v_cndmask_b32_e64 v38, 0, 1, s10
; %bb.288:
	s_or_b32 exec_lo, exec_lo, s9
.LBB22_289:
	s_delay_alu instid0(SALU_CYCLE_1)
	s_or_b32 exec_lo, exec_lo, s8
.LBB22_290:
	s_delay_alu instid0(SALU_CYCLE_1)
	s_or_b32 exec_lo, exec_lo, s7
.LBB22_291:
	s_delay_alu instid0(SALU_CYCLE_1)
	s_or_b32 exec_lo, exec_lo, s5
.LBB22_292:
	s_delay_alu instid0(SALU_CYCLE_1)
	s_or_b32 exec_lo, exec_lo, s3
.LBB22_293:
	s_delay_alu instid0(SALU_CYCLE_1) | instskip(SKIP_3) | instid1(VALU_DEP_2)
	s_or_b32 exec_lo, exec_lo, s2
	v_dual_mul_f32 v62, v12, v32 :: v_dual_mov_b32 v61, 7
	v_mov_b32_e32 v32, 7
	s_mov_b32 s2, exec_lo
	v_cmpx_nle_f32_e64 0x40a00000, |v62|
	s_cbranch_execz .LBB22_305
; %bb.294:
	v_mov_b32_e32 v61, 6
	s_mov_b32 s3, exec_lo
	v_cmpx_nle_f32_e64 0x40600000, |v62|
	s_cbranch_execz .LBB22_304
; %bb.295:
	;; [unrolled: 5-line block ×5, first 2 shown]
	v_mov_b32_e32 v61, 2
	s_mov_b32 s9, exec_lo
	v_cmpx_nle_f32_e64 0x3f400000, |v62|
; %bb.299:
	v_cmp_le_f32_e64 s10, 0x3e800000, |v62|
	s_delay_alu instid0(VALU_DEP_1)
	v_cndmask_b32_e64 v61, 0, 1, s10
; %bb.300:
	s_or_b32 exec_lo, exec_lo, s9
.LBB22_301:
	s_delay_alu instid0(SALU_CYCLE_1)
	s_or_b32 exec_lo, exec_lo, s8
.LBB22_302:
	s_delay_alu instid0(SALU_CYCLE_1)
	s_or_b32 exec_lo, exec_lo, s7
.LBB22_303:
	s_delay_alu instid0(SALU_CYCLE_1)
	s_or_b32 exec_lo, exec_lo, s5
.LBB22_304:
	s_delay_alu instid0(SALU_CYCLE_1)
	s_or_b32 exec_lo, exec_lo, s3
.LBB22_305:
	s_delay_alu instid0(SALU_CYCLE_1) | instskip(SKIP_2) | instid1(VALU_DEP_1)
	s_or_b32 exec_lo, exec_lo, s2
	v_mul_f32_e32 v27, v12, v27
	s_mov_b32 s2, exec_lo
	v_cmpx_nle_f32_e64 0x40a00000, |v27|
	s_cbranch_execz .LBB22_317
; %bb.306:
	v_mov_b32_e32 v32, 6
	s_mov_b32 s3, exec_lo
	v_cmpx_nle_f32_e64 0x40600000, |v27|
	s_cbranch_execz .LBB22_316
; %bb.307:
	v_mov_b32_e32 v32, 5
	;; [unrolled: 5-line block ×5, first 2 shown]
	s_mov_b32 s9, exec_lo
	v_cmpx_nle_f32_e64 0x3f400000, |v27|
; %bb.311:
	v_cmp_le_f32_e64 s10, 0x3e800000, |v27|
	s_delay_alu instid0(VALU_DEP_1)
	v_cndmask_b32_e64 v32, 0, 1, s10
; %bb.312:
	s_or_b32 exec_lo, exec_lo, s9
.LBB22_313:
	s_delay_alu instid0(SALU_CYCLE_1)
	s_or_b32 exec_lo, exec_lo, s8
.LBB22_314:
	s_delay_alu instid0(SALU_CYCLE_1)
	s_or_b32 exec_lo, exec_lo, s7
.LBB22_315:
	s_delay_alu instid0(SALU_CYCLE_1)
	s_or_b32 exec_lo, exec_lo, s5
.LBB22_316:
	s_delay_alu instid0(SALU_CYCLE_1)
	s_or_b32 exec_lo, exec_lo, s3
.LBB22_317:
	s_delay_alu instid0(SALU_CYCLE_1) | instskip(SKIP_3) | instid1(VALU_DEP_2)
	s_or_b32 exec_lo, exec_lo, s2
	v_dual_mul_f32 v64, v12, v26 :: v_dual_mov_b32 v63, 7
	v_mov_b32_e32 v26, 7
	s_mov_b32 s2, exec_lo
	v_cmpx_nle_f32_e64 0x40a00000, |v64|
	s_cbranch_execz .LBB22_329
; %bb.318:
	v_mov_b32_e32 v63, 6
	s_mov_b32 s3, exec_lo
	v_cmpx_nle_f32_e64 0x40600000, |v64|
	s_cbranch_execz .LBB22_328
; %bb.319:
	;; [unrolled: 5-line block ×5, first 2 shown]
	v_mov_b32_e32 v63, 2
	s_mov_b32 s9, exec_lo
	v_cmpx_nle_f32_e64 0x3f400000, |v64|
; %bb.323:
	v_cmp_le_f32_e64 s10, 0x3e800000, |v64|
	s_delay_alu instid0(VALU_DEP_1)
	v_cndmask_b32_e64 v63, 0, 1, s10
; %bb.324:
	s_or_b32 exec_lo, exec_lo, s9
.LBB22_325:
	s_delay_alu instid0(SALU_CYCLE_1)
	s_or_b32 exec_lo, exec_lo, s8
.LBB22_326:
	s_delay_alu instid0(SALU_CYCLE_1)
	s_or_b32 exec_lo, exec_lo, s7
.LBB22_327:
	s_delay_alu instid0(SALU_CYCLE_1)
	s_or_b32 exec_lo, exec_lo, s5
.LBB22_328:
	s_delay_alu instid0(SALU_CYCLE_1)
	s_or_b32 exec_lo, exec_lo, s3
.LBB22_329:
	s_delay_alu instid0(SALU_CYCLE_1) | instskip(SKIP_2) | instid1(VALU_DEP_1)
	s_or_b32 exec_lo, exec_lo, s2
	v_mul_f32_e32 v21, v12, v21
	s_mov_b32 s2, exec_lo
	v_cmpx_nle_f32_e64 0x40a00000, |v21|
	s_cbranch_execz .LBB22_341
; %bb.330:
	v_mov_b32_e32 v26, 6
	s_mov_b32 s3, exec_lo
	v_cmpx_nle_f32_e64 0x40600000, |v21|
	s_cbranch_execz .LBB22_340
; %bb.331:
	v_mov_b32_e32 v26, 5
	;; [unrolled: 5-line block ×5, first 2 shown]
	s_mov_b32 s9, exec_lo
	v_cmpx_nle_f32_e64 0x3f400000, |v21|
; %bb.335:
	v_cmp_le_f32_e64 s10, 0x3e800000, |v21|
	s_delay_alu instid0(VALU_DEP_1)
	v_cndmask_b32_e64 v26, 0, 1, s10
; %bb.336:
	s_or_b32 exec_lo, exec_lo, s9
.LBB22_337:
	s_delay_alu instid0(SALU_CYCLE_1)
	s_or_b32 exec_lo, exec_lo, s8
.LBB22_338:
	s_delay_alu instid0(SALU_CYCLE_1)
	s_or_b32 exec_lo, exec_lo, s7
.LBB22_339:
	s_delay_alu instid0(SALU_CYCLE_1)
	s_or_b32 exec_lo, exec_lo, s5
.LBB22_340:
	s_delay_alu instid0(SALU_CYCLE_1)
	s_or_b32 exec_lo, exec_lo, s3
.LBB22_341:
	s_delay_alu instid0(SALU_CYCLE_1) | instskip(SKIP_3) | instid1(VALU_DEP_2)
	s_or_b32 exec_lo, exec_lo, s2
	v_dual_mul_f32 v65, v12, v19 :: v_dual_mov_b32 v66, 7
	v_mov_b32_e32 v19, 7
	s_mov_b32 s2, exec_lo
	v_cmpx_nle_f32_e64 0x40a00000, |v65|
	s_cbranch_execz .LBB22_353
; %bb.342:
	v_mov_b32_e32 v66, 6
	s_mov_b32 s3, exec_lo
	v_cmpx_nle_f32_e64 0x40600000, |v65|
	s_cbranch_execz .LBB22_352
; %bb.343:
	;; [unrolled: 5-line block ×5, first 2 shown]
	v_mov_b32_e32 v66, 2
	s_mov_b32 s9, exec_lo
	v_cmpx_nle_f32_e64 0x3f400000, |v65|
; %bb.347:
	v_cmp_le_f32_e64 s10, 0x3e800000, |v65|
	s_delay_alu instid0(VALU_DEP_1)
	v_cndmask_b32_e64 v66, 0, 1, s10
; %bb.348:
	s_or_b32 exec_lo, exec_lo, s9
.LBB22_349:
	s_delay_alu instid0(SALU_CYCLE_1)
	s_or_b32 exec_lo, exec_lo, s8
.LBB22_350:
	s_delay_alu instid0(SALU_CYCLE_1)
	s_or_b32 exec_lo, exec_lo, s7
.LBB22_351:
	s_delay_alu instid0(SALU_CYCLE_1)
	s_or_b32 exec_lo, exec_lo, s5
.LBB22_352:
	s_delay_alu instid0(SALU_CYCLE_1)
	s_or_b32 exec_lo, exec_lo, s3
.LBB22_353:
	s_delay_alu instid0(SALU_CYCLE_1) | instskip(SKIP_2) | instid1(VALU_DEP_1)
	s_or_b32 exec_lo, exec_lo, s2
	v_mul_f32_e32 v15, v12, v15
	s_mov_b32 s2, exec_lo
	v_cmpx_nle_f32_e64 0x40a00000, |v15|
	s_cbranch_execz .LBB22_365
; %bb.354:
	v_mov_b32_e32 v19, 6
	s_mov_b32 s3, exec_lo
	v_cmpx_nle_f32_e64 0x40600000, |v15|
	s_cbranch_execz .LBB22_364
; %bb.355:
	v_mov_b32_e32 v19, 5
	;; [unrolled: 5-line block ×5, first 2 shown]
	s_mov_b32 s9, exec_lo
	v_cmpx_nle_f32_e64 0x3f400000, |v15|
; %bb.359:
	v_cmp_le_f32_e64 s10, 0x3e800000, |v15|
	s_delay_alu instid0(VALU_DEP_1)
	v_cndmask_b32_e64 v19, 0, 1, s10
; %bb.360:
	s_or_b32 exec_lo, exec_lo, s9
.LBB22_361:
	s_delay_alu instid0(SALU_CYCLE_1)
	s_or_b32 exec_lo, exec_lo, s8
.LBB22_362:
	s_delay_alu instid0(SALU_CYCLE_1)
	s_or_b32 exec_lo, exec_lo, s7
.LBB22_363:
	s_delay_alu instid0(SALU_CYCLE_1)
	s_or_b32 exec_lo, exec_lo, s5
.LBB22_364:
	s_delay_alu instid0(SALU_CYCLE_1)
	s_or_b32 exec_lo, exec_lo, s3
.LBB22_365:
	s_delay_alu instid0(SALU_CYCLE_1) | instskip(SKIP_4) | instid1(VALU_DEP_2)
	s_or_b32 exec_lo, exec_lo, s2
	s_load_b64 s[2:3], s[0:1], 0x10
	v_dual_mul_f32 v67, v12, v13 :: v_dual_mov_b32 v68, 7
	v_mov_b32_e32 v13, 7
	s_mov_b32 s5, exec_lo
	v_cmpx_nle_f32_e64 0x40a00000, |v67|
	s_cbranch_execz .LBB22_377
; %bb.366:
	v_mov_b32_e32 v68, 6
	s_mov_b32 s7, exec_lo
	v_cmpx_nle_f32_e64 0x40600000, |v67|
	s_cbranch_execz .LBB22_376
; %bb.367:
	v_mov_b32_e32 v68, 5
	s_mov_b32 s8, exec_lo
	v_cmpx_nle_f32_e64 0x40200000, |v67|
	s_cbranch_execz .LBB22_375
; %bb.368:
	v_mov_b32_e32 v68, 4
	s_mov_b32 s9, exec_lo
	v_cmpx_nle_f32_e64 0x3fe00000, |v67|
	s_cbranch_execz .LBB22_374
; %bb.369:
	v_mov_b32_e32 v68, 3
	s_mov_b32 s10, exec_lo
	v_cmpx_nle_f32_e64 0x3fa00000, |v67|
	s_cbranch_execz .LBB22_373
; %bb.370:
	v_mov_b32_e32 v68, 2
	s_mov_b32 s11, exec_lo
	v_cmpx_nle_f32_e64 0x3f400000, |v67|
; %bb.371:
	v_cmp_le_f32_e64 s12, 0x3e800000, |v67|
	s_delay_alu instid0(VALU_DEP_1)
	v_cndmask_b32_e64 v68, 0, 1, s12
; %bb.372:
	s_or_b32 exec_lo, exec_lo, s11
.LBB22_373:
	s_delay_alu instid0(SALU_CYCLE_1)
	s_or_b32 exec_lo, exec_lo, s10
.LBB22_374:
	s_delay_alu instid0(SALU_CYCLE_1)
	s_or_b32 exec_lo, exec_lo, s9
.LBB22_375:
	s_delay_alu instid0(SALU_CYCLE_1)
	s_or_b32 exec_lo, exec_lo, s8
.LBB22_376:
	s_delay_alu instid0(SALU_CYCLE_1)
	s_or_b32 exec_lo, exec_lo, s7
.LBB22_377:
	s_delay_alu instid0(SALU_CYCLE_1) | instskip(SKIP_3) | instid1(VALU_DEP_1)
	s_or_b32 exec_lo, exec_lo, s5
	s_load_b64 s[0:1], s[0:1], 0x8
	v_mul_f32_e32 v8, v12, v8
	s_mov_b32 s5, exec_lo
	v_cmpx_nle_f32_e64 0x40a00000, |v8|
	s_cbranch_execz .LBB22_389
; %bb.378:
	v_mov_b32_e32 v13, 6
	s_mov_b32 s7, exec_lo
	v_cmpx_nle_f32_e64 0x40600000, |v8|
	s_cbranch_execz .LBB22_388
; %bb.379:
	v_mov_b32_e32 v13, 5
	;; [unrolled: 5-line block ×5, first 2 shown]
	s_mov_b32 s11, exec_lo
	v_cmpx_nle_f32_e64 0x3f400000, |v8|
; %bb.383:
	v_cmp_le_f32_e64 s12, 0x3e800000, |v8|
	s_delay_alu instid0(VALU_DEP_1)
	v_cndmask_b32_e64 v13, 0, 1, s12
; %bb.384:
	s_or_b32 exec_lo, exec_lo, s11
.LBB22_385:
	s_delay_alu instid0(SALU_CYCLE_1)
	s_or_b32 exec_lo, exec_lo, s10
.LBB22_386:
	s_delay_alu instid0(SALU_CYCLE_1)
	s_or_b32 exec_lo, exec_lo, s9
.LBB22_387:
	s_delay_alu instid0(SALU_CYCLE_1)
	s_or_b32 exec_lo, exec_lo, s8
.LBB22_388:
	s_delay_alu instid0(SALU_CYCLE_1)
	s_or_b32 exec_lo, exec_lo, s7
.LBB22_389:
	s_delay_alu instid0(SALU_CYCLE_1)
	s_or_b32 exec_lo, exec_lo, s5
	v_cmp_gt_f32_e32 vcc_lo, 0, v67
	v_lshlrev_b16 v6, 4, v6
	v_lshlrev_b16 v13, 4, v13
	;; [unrolled: 1-line block ×3, first 2 shown]
	s_lshr_b32 s5, s4, 31
	v_cndmask_b32_e64 v12, 0, 1, vcc_lo
	v_cmp_gt_f32_e32 vcc_lo, 0, v65
	s_add_i32 s4, s4, s5
	s_delay_alu instid0(SALU_CYCLE_1) | instskip(NEXT) | instid1(VALU_DEP_2)
	s_ashr_i32 s4, s4, 1
	v_lshlrev_b16 v12, 3, v12
	v_cndmask_b32_e64 v65, 0, 1, vcc_lo
	v_cmp_gt_f32_e32 vcc_lo, 0, v64
	s_ashr_i32 s5, s4, 31
	v_mul_lo_u32 v1, v1, s4
	v_or_b32_e32 v12, v12, v68
	v_lshlrev_b16 v65, 3, v65
	v_cndmask_b32_e64 v64, 0, 1, vcc_lo
	v_cmp_gt_f32_e32 vcc_lo, 0, v62
	s_delay_alu instid0(VALU_DEP_3) | instskip(NEXT) | instid1(VALU_DEP_3)
	v_or_b32_e32 v65, v65, v66
	v_lshlrev_b16 v64, 3, v64
	v_cndmask_b32_e64 v62, 0, 1, vcc_lo
	v_cmp_gt_f32_e32 vcc_lo, 0, v60
	s_delay_alu instid0(VALU_DEP_3) | instskip(NEXT) | instid1(VALU_DEP_3)
	;; [unrolled: 5-line block ×12, first 2 shown]
	v_or_b32_e32 v23, v24, v23
	v_lshlrev_b16 v18, 3, v18
	v_cndmask_b32_e64 v4, 0, 1, vcc_lo
	v_cmp_gt_f32_e32 vcc_lo, 0, v7
	s_delay_alu instid0(VALU_DEP_2) | instskip(SKIP_2) | instid1(VALU_DEP_3)
	v_lshlrev_b16 v4, 3, v4
	v_cndmask_b32_e64 v7, 0, 1, vcc_lo
	v_cmp_gt_f32_e32 vcc_lo, 0, v10
	v_or_b32_e32 v4, v4, v5
	s_delay_alu instid0(VALU_DEP_3)
	v_lshlrev_b16 v7, 7, v7
	v_cndmask_b32_e64 v10, 0, 1, vcc_lo
	v_cmp_gt_f32_e32 vcc_lo, 0, v14
	v_lshlrev_b16 v14, 4, v22
	v_lshlrev_b16 v22, 4, v49
	v_or_b32_e32 v5, v7, v6
	v_lshlrev_b16 v10, 3, v10
	v_cndmask_b32_e64 v6, 0, 1, vcc_lo
	v_cmp_gt_f32_e32 vcc_lo, 0, v20
	v_or_b32_e32 v7, v18, v17
	v_or_b32_e32 v4, v5, v4
	v_lshlrev_b16 v5, 4, v9
	v_or_b32_e32 v10, v10, v11
	v_cndmask_b32_e64 v9, 0, 1, vcc_lo
	v_cmp_gt_f32_e32 vcc_lo, 0, v25
	v_lshlrev_b16 v6, 7, v6
	v_lshlrev_b16 v17, 4, v39
	;; [unrolled: 1-line block ×4, first 2 shown]
	v_cndmask_b32_e64 v11, 0, 1, vcc_lo
	v_cmp_gt_f32_e32 vcc_lo, 0, v31
	v_or_b32_e32 v5, v6, v5
	v_lshlrev_b16 v6, 4, v16
	v_lshlrev_b16 v25, 4, v26
	;; [unrolled: 1-line block ×3, first 2 shown]
	v_cndmask_b32_e64 v16, 0, 1, vcc_lo
	v_cmp_gt_f32_e32 vcc_lo, 0, v36
	v_or_b32_e32 v10, v5, v10
	v_or_b32_e32 v5, v9, v6
	v_or_b32_e32 v6, v11, v14
	v_lshlrev_b16 v9, 4, v28
	v_cndmask_b32_e64 v14, 0, 1, vcc_lo
	v_cmp_gt_f32_e32 vcc_lo, 0, v41
	v_lshlrev_b16 v11, 7, v16
	v_or_b32_e32 v7, v5, v7
	v_or_b32_e32 v6, v6, v23
	v_lshlrev_b16 v14, 7, v14
	v_cndmask_b32_e64 v16, 0, 1, vcc_lo
	v_or_b32_e32 v9, v11, v9
	v_lshlrev_b16 v11, 4, v33
	v_cmp_gt_f32_e32 vcc_lo, 0, v47
	v_lshlrev_b16 v10, 8, v10
	v_lshlrev_b16 v16, 7, v16
	v_or_b32_e32 v9, v9, v29
	v_or_b32_e32 v5, v14, v11
	v_lshlrev_b16 v14, 4, v45
	v_lshlrev_b16 v6, 8, v6
	v_or_b32_e32 v11, v16, v17
	v_cndmask_b32_e64 v16, 0, 1, vcc_lo
	v_cmp_gt_f32_e32 vcc_lo, 0, v52
	v_or_b32_e32 v23, v5, v35
	v_or_b32_e32 v4, v4, v10
	;; [unrolled: 1-line block ×3, first 2 shown]
	v_lshlrev_b16 v16, 7, v16
	v_cndmask_b32_e64 v17, 0, 1, vcc_lo
	v_cmp_gt_f32_e32 vcc_lo, 0, v46
	v_or_b32_e32 v10, v7, v6
	s_delay_alu instid0(VALU_DEP_4) | instskip(NEXT) | instid1(VALU_DEP_4)
	v_or_b32_e32 v5, v16, v14
	v_lshlrev_b16 v17, 7, v17
	v_cndmask_b32_e64 v18, 0, 1, vcc_lo
	v_cmp_gt_f32_e32 vcc_lo, 0, v40
	v_lshlrev_b32_e32 v10, 16, v10
	s_delay_alu instid0(VALU_DEP_4) | instskip(NEXT) | instid1(VALU_DEP_4)
	v_or_b32_e32 v14, v17, v20
	v_lshlrev_b16 v18, 7, v18
	v_cndmask_b32_e64 v17, 0, 1, vcc_lo
	v_cmp_gt_f32_e32 vcc_lo, 0, v21
	v_lshlrev_b16 v20, 4, v38
	v_or_b32_e32 v14, v14, v53
	v_or_b32_e32 v16, v18, v22
	v_lshlrev_b16 v22, 4, v32
	v_cndmask_b32_e64 v21, 0, 1, vcc_lo
	v_cmp_gt_f32_e32 vcc_lo, 0, v27
	v_or_b32_e32 v18, v5, v48
	v_or_b32_e32 v5, v16, v55
	v_lshlrev_b16 v16, 4, v44
	v_lshlrev_b16 v21, 7, v21
	v_cndmask_b32_e64 v24, 0, 1, vcc_lo
	v_cmp_gt_f32_e32 vcc_lo, 0, v8
	v_lshlrev_b16 v17, 7, v17
	s_delay_alu instid0(VALU_DEP_4) | instskip(NEXT) | instid1(VALU_DEP_4)
	v_or_b32_e32 v21, v21, v25
	v_lshlrev_b16 v24, 7, v24
	v_cndmask_b32_e64 v8, 0, 1, vcc_lo
	v_cmp_gt_f32_e32 vcc_lo, 0, v15
	v_or_b32_e32 v16, v17, v16
	v_lshrrev_b32_e32 v17, 23, v3
	v_or_b32_e32 v22, v24, v22
	v_lshlrev_b16 v8, 7, v8
	v_cndmask_b32_e64 v15, 0, 1, vcc_lo
	v_cmp_gt_f32_e32 vcc_lo, 0, v34
	v_lshlrev_b16 v3, 8, v5
	v_or_b32_e32 v16, v16, v57
	v_or_b32_e32 v8, v8, v13
	v_lshlrev_b16 v15, 7, v15
	v_cndmask_b32_e64 v13, 0, 1, vcc_lo
	v_or_b32_e32 v3, v14, v3
	v_lshlrev_b16 v14, 8, v18
	v_or_b32_e32 v8, v8, v12
	v_or_b32_e32 v15, v15, v19
	;; [unrolled: 1-line block ×3, first 2 shown]
	v_lshlrev_b16 v12, 7, v13
	v_or_b32_e32 v13, v22, v61
	v_lshlrev_b16 v8, 8, v8
	v_or_b32_e32 v15, v15, v65
	v_lshlrev_b16 v19, 8, v19
	v_ashrrev_i32_e32 v21, 31, v0
	v_or_b32_e32 v11, v11, v14
	v_or_b32_e32 v12, v12, v20
	v_or_b32_e32 v8, v15, v8
	v_or_b32_e32 v13, v13, v19
	v_lshrrev_b32_e32 v15, 27, v21
	v_lshrrev_b32_e32 v14, 28, v21
	v_or_b32_e32 v12, v12, v59
	v_lshlrev_b32_e32 v8, 16, v8
	v_and_b32_e32 v13, 0xffff, v13
	v_add_nc_u32_e32 v15, v0, v15
	v_add_nc_u32_e32 v7, v0, v14
	v_lshlrev_b32_e32 v14, 6, v2
	v_lshlrev_b16 v12, 8, v12
	v_or_b32_e32 v5, v13, v8
	v_and_b32_e32 v8, 0xffe0, v15
	v_lshlrev_b16 v13, 8, v23
	v_and_b32_e32 v7, 0x3ffffff0, v7
	v_or_b32_e32 v12, v16, v12
	v_and_b32_e32 v3, 0xffff, v3
	v_sub_nc_u32_e32 v8, v0, v8
	v_or_b32_e32 v9, v9, v13
	v_sub_nc_u32_e32 v7, v0, v7
	v_lshlrev_b32_e32 v12, 16, v12
	v_lshlrev_b32_e32 v11, 16, v11
	v_bfe_i32 v13, v8, 0, 8
	v_and_b32_e32 v9, 0xffff, v9
	s_delay_alu instid0(VALU_DEP_2) | instskip(NEXT) | instid1(VALU_DEP_1)
	v_lshrrev_b16 v13, 11, v13
	v_and_b32_e32 v6, 15, v13
	v_lshrrev_b32_e32 v13, 5, v15
	v_lshrrev_b32_e32 v15, 1, v2
	s_delay_alu instid0(VALU_DEP_3) | instskip(NEXT) | instid1(VALU_DEP_3)
	v_add_nc_u16 v6, v8, v6
	v_mul_lo_u32 v8, v13, s6
	v_and_b32_e32 v13, 0xc0, v14
	v_and_b32_e32 v14, 0x3fffff8, v2
	s_delay_alu instid0(VALU_DEP_4) | instskip(NEXT) | instid1(VALU_DEP_3)
	v_bfe_i32 v6, v6, 0, 8
	v_lshl_add_u32 v7, v7, 2, v13
	v_mul_lo_u32 v13, v0, s5
	s_delay_alu instid0(VALU_DEP_4) | instskip(NEXT) | instid1(VALU_DEP_4)
	v_add_lshl_u32 v8, v8, v14, 5
	v_ashrrev_i16 v6, 4, v6
	s_delay_alu instid0(VALU_DEP_4) | instskip(NEXT) | instid1(VALU_DEP_2)
	v_and_or_b32 v15, v15, 2, v7
	v_bfe_i32 v14, v6, 0, 16
	s_waitcnt lgkmcnt(0)
	v_mad_u64_u32 v[6:7], null, v0, s4, s[0:1]
	v_and_b32_e32 v0, 0xffff, v4
	v_or_b32_e32 v4, v3, v12
	v_add3_u32 v8, v15, v8, v14
	v_or_b32_e32 v3, v9, v11
	v_lshlrev_b32_e32 v9, 4, v2
	v_or_b32_e32 v2, v0, v10
	v_add3_u32 v1, v1, v7, v13
	v_ashrrev_i32_e32 v7, 31, v8
	s_delay_alu instid0(VALU_DEP_4) | instskip(NEXT) | instid1(VALU_DEP_3)
	v_add_co_u32 v0, vcc_lo, v6, v9
	v_add_co_ci_u32_e32 v1, vcc_lo, 0, v1, vcc_lo
	v_add_co_u32 v6, vcc_lo, s2, v8
	s_delay_alu instid0(VALU_DEP_4)
	v_add_co_ci_u32_e32 v7, vcc_lo, s3, v7, vcc_lo
	global_store_b128 v[0:1], v[2:5], off
	global_store_b8 v[6:7], v17, off
.LBB22_390:
	s_nop 0
	s_sendmsg sendmsg(MSG_DEALLOC_VGPRS)
	s_endpgm
	.section	.rodata,"a",@progbits
	.p2align	6, 0x0
	.amdhsa_kernel _ZN5aiter18quant_mxfp4_kernelI12hip_bfloat16LNS_16MxScaleRoundModeE0ELb1ELb0ELb0EEEvPKT_PhPfliiib
		.amdhsa_group_segment_fixed_size 0
		.amdhsa_private_segment_fixed_size 0
		.amdhsa_kernarg_size 304
		.amdhsa_user_sgpr_count 15
		.amdhsa_user_sgpr_dispatch_ptr 0
		.amdhsa_user_sgpr_queue_ptr 0
		.amdhsa_user_sgpr_kernarg_segment_ptr 1
		.amdhsa_user_sgpr_dispatch_id 0
		.amdhsa_user_sgpr_private_segment_size 0
		.amdhsa_wavefront_size32 1
		.amdhsa_uses_dynamic_stack 0
		.amdhsa_enable_private_segment 0
		.amdhsa_system_sgpr_workgroup_id_x 1
		.amdhsa_system_sgpr_workgroup_id_y 0
		.amdhsa_system_sgpr_workgroup_id_z 0
		.amdhsa_system_sgpr_workgroup_info 0
		.amdhsa_system_vgpr_workitem_id 0
		.amdhsa_next_free_vgpr 69
		.amdhsa_next_free_sgpr 16
		.amdhsa_reserve_vcc 1
		.amdhsa_float_round_mode_32 0
		.amdhsa_float_round_mode_16_64 0
		.amdhsa_float_denorm_mode_32 3
		.amdhsa_float_denorm_mode_16_64 3
		.amdhsa_dx10_clamp 1
		.amdhsa_ieee_mode 1
		.amdhsa_fp16_overflow 0
		.amdhsa_workgroup_processor_mode 1
		.amdhsa_memory_ordered 1
		.amdhsa_forward_progress 0
		.amdhsa_shared_vgpr_count 0
		.amdhsa_exception_fp_ieee_invalid_op 0
		.amdhsa_exception_fp_denorm_src 0
		.amdhsa_exception_fp_ieee_div_zero 0
		.amdhsa_exception_fp_ieee_overflow 0
		.amdhsa_exception_fp_ieee_underflow 0
		.amdhsa_exception_fp_ieee_inexact 0
		.amdhsa_exception_int_div_zero 0
	.end_amdhsa_kernel
	.section	.text._ZN5aiter18quant_mxfp4_kernelI12hip_bfloat16LNS_16MxScaleRoundModeE0ELb1ELb0ELb0EEEvPKT_PhPfliiib,"axG",@progbits,_ZN5aiter18quant_mxfp4_kernelI12hip_bfloat16LNS_16MxScaleRoundModeE0ELb1ELb0ELb0EEEvPKT_PhPfliiib,comdat
.Lfunc_end22:
	.size	_ZN5aiter18quant_mxfp4_kernelI12hip_bfloat16LNS_16MxScaleRoundModeE0ELb1ELb0ELb0EEEvPKT_PhPfliiib, .Lfunc_end22-_ZN5aiter18quant_mxfp4_kernelI12hip_bfloat16LNS_16MxScaleRoundModeE0ELb1ELb0ELb0EEEvPKT_PhPfliiib
                                        ; -- End function
	.section	.AMDGPU.csdata,"",@progbits
; Kernel info:
; codeLenInByte = 10052
; NumSgprs: 18
; NumVgprs: 69
; ScratchSize: 0
; MemoryBound: 0
; FloatMode: 240
; IeeeMode: 1
; LDSByteSize: 0 bytes/workgroup (compile time only)
; SGPRBlocks: 2
; VGPRBlocks: 8
; NumSGPRsForWavesPerEU: 18
; NumVGPRsForWavesPerEU: 69
; Occupancy: 16
; WaveLimiterHint : 0
; COMPUTE_PGM_RSRC2:SCRATCH_EN: 0
; COMPUTE_PGM_RSRC2:USER_SGPR: 15
; COMPUTE_PGM_RSRC2:TRAP_HANDLER: 0
; COMPUTE_PGM_RSRC2:TGID_X_EN: 1
; COMPUTE_PGM_RSRC2:TGID_Y_EN: 0
; COMPUTE_PGM_RSRC2:TGID_Z_EN: 0
; COMPUTE_PGM_RSRC2:TIDIG_COMP_CNT: 0
	.section	.text._ZN5aiter18quant_mxfp4_kernelI12hip_bfloat16LNS_16MxScaleRoundModeE0ELb0ELb1ELb1EEEvPKT_PhPfliiib,"axG",@progbits,_ZN5aiter18quant_mxfp4_kernelI12hip_bfloat16LNS_16MxScaleRoundModeE0ELb0ELb1ELb1EEEvPKT_PhPfliiib,comdat
	.protected	_ZN5aiter18quant_mxfp4_kernelI12hip_bfloat16LNS_16MxScaleRoundModeE0ELb0ELb1ELb1EEEvPKT_PhPfliiib ; -- Begin function _ZN5aiter18quant_mxfp4_kernelI12hip_bfloat16LNS_16MxScaleRoundModeE0ELb0ELb1ELb1EEEvPKT_PhPfliiib
	.globl	_ZN5aiter18quant_mxfp4_kernelI12hip_bfloat16LNS_16MxScaleRoundModeE0ELb0ELb1ELb1EEEvPKT_PhPfliiib
	.p2align	8
	.type	_ZN5aiter18quant_mxfp4_kernelI12hip_bfloat16LNS_16MxScaleRoundModeE0ELb0ELb1ELb1EEEvPKT_PhPfliiib,@function
_ZN5aiter18quant_mxfp4_kernelI12hip_bfloat16LNS_16MxScaleRoundModeE0ELb0ELb1ELb1EEEvPKT_PhPfliiib: ; @_ZN5aiter18quant_mxfp4_kernelI12hip_bfloat16LNS_16MxScaleRoundModeE0ELb0ELb1ELb1EEEvPKT_PhPfliiib
; %bb.0:
	s_clause 0x1
	s_load_b32 s2, s[0:1], 0x3c
	s_load_b128 s[4:7], s[0:1], 0x20
	v_mov_b32_e32 v1, 0
	s_delay_alu instid0(VALU_DEP_1)
	v_mov_b32_e32 v4, v1
	s_waitcnt lgkmcnt(0)
	s_and_b32 s2, s2, 0xffff
	s_mov_b32 s3, s6
	v_mad_u64_u32 v[2:3], null, s2, s15, v[0:1]
	s_ashr_i32 s2, s6, 31
	s_mov_b32 s6, exec_lo
                                        ; implicit-def: $vgpr0_vgpr1
	s_delay_alu instid0(VALU_DEP_1) | instskip(NEXT) | instid1(VALU_DEP_1)
	v_or_b32_e32 v5, s2, v3
	v_cmpx_ne_u64_e32 0, v[4:5]
	s_xor_b32 s6, exec_lo, s6
	s_cbranch_execz .LBB23_2
; %bb.1:
	s_add_u32 s10, s3, s2
	s_mov_b32 s8, s2
	s_mov_b32 s9, s2
	s_addc_u32 s11, s2, s2
	s_delay_alu instid0(SALU_CYCLE_1) | instskip(NEXT) | instid1(SALU_CYCLE_1)
	s_xor_b64 s[10:11], s[10:11], s[8:9]
	v_cvt_f32_u32_e32 v0, s10
	v_cvt_f32_u32_e32 v1, s11
	s_sub_u32 s2, 0, s10
	s_subb_u32 s12, 0, s11
	s_delay_alu instid0(VALU_DEP_1) | instskip(NEXT) | instid1(VALU_DEP_1)
	v_fmamk_f32 v0, v1, 0x4f800000, v0
	v_rcp_f32_e32 v0, v0
	s_waitcnt_depctr 0xfff
	v_mul_f32_e32 v0, 0x5f7ffffc, v0
	s_delay_alu instid0(VALU_DEP_1) | instskip(NEXT) | instid1(VALU_DEP_1)
	v_mul_f32_e32 v1, 0x2f800000, v0
	v_trunc_f32_e32 v1, v1
	s_delay_alu instid0(VALU_DEP_1) | instskip(SKIP_1) | instid1(VALU_DEP_2)
	v_fmamk_f32 v0, v1, 0xcf800000, v0
	v_cvt_u32_f32_e32 v1, v1
	v_cvt_u32_f32_e32 v0, v0
	s_delay_alu instid0(VALU_DEP_2) | instskip(NEXT) | instid1(VALU_DEP_2)
	v_mul_lo_u32 v4, s2, v1
	v_mul_hi_u32 v5, s2, v0
	v_mul_lo_u32 v6, s12, v0
	s_delay_alu instid0(VALU_DEP_2) | instskip(SKIP_1) | instid1(VALU_DEP_2)
	v_add_nc_u32_e32 v4, v5, v4
	v_mul_lo_u32 v5, s2, v0
	v_add_nc_u32_e32 v4, v4, v6
	s_delay_alu instid0(VALU_DEP_2) | instskip(NEXT) | instid1(VALU_DEP_2)
	v_mul_hi_u32 v6, v0, v5
	v_mul_lo_u32 v7, v0, v4
	v_mul_hi_u32 v8, v0, v4
	v_mul_hi_u32 v9, v1, v5
	v_mul_lo_u32 v5, v1, v5
	v_mul_hi_u32 v10, v1, v4
	v_mul_lo_u32 v4, v1, v4
	v_add_co_u32 v6, vcc_lo, v6, v7
	v_add_co_ci_u32_e32 v7, vcc_lo, 0, v8, vcc_lo
	s_delay_alu instid0(VALU_DEP_2) | instskip(NEXT) | instid1(VALU_DEP_2)
	v_add_co_u32 v5, vcc_lo, v6, v5
	v_add_co_ci_u32_e32 v5, vcc_lo, v7, v9, vcc_lo
	v_add_co_ci_u32_e32 v6, vcc_lo, 0, v10, vcc_lo
	v_ashrrev_i32_e32 v9, 31, v3
	s_delay_alu instid0(VALU_DEP_3) | instskip(NEXT) | instid1(VALU_DEP_3)
	v_add_co_u32 v4, vcc_lo, v5, v4
	v_add_co_ci_u32_e32 v5, vcc_lo, 0, v6, vcc_lo
	s_delay_alu instid0(VALU_DEP_2) | instskip(NEXT) | instid1(VALU_DEP_2)
	v_add_co_u32 v0, vcc_lo, v0, v4
	v_add_co_ci_u32_e32 v1, vcc_lo, v1, v5, vcc_lo
	s_delay_alu instid0(VALU_DEP_2) | instskip(SKIP_1) | instid1(VALU_DEP_3)
	v_mul_hi_u32 v4, s2, v0
	v_mul_lo_u32 v6, s12, v0
	v_mul_lo_u32 v5, s2, v1
	s_delay_alu instid0(VALU_DEP_1) | instskip(SKIP_1) | instid1(VALU_DEP_2)
	v_add_nc_u32_e32 v4, v4, v5
	v_mul_lo_u32 v5, s2, v0
	v_add_nc_u32_e32 v4, v4, v6
	s_delay_alu instid0(VALU_DEP_2) | instskip(NEXT) | instid1(VALU_DEP_2)
	v_mul_hi_u32 v6, v0, v5
	v_mul_lo_u32 v7, v0, v4
	v_mul_hi_u32 v8, v0, v4
	v_mul_hi_u32 v10, v1, v5
	v_mul_lo_u32 v5, v1, v5
	v_mul_hi_u32 v11, v1, v4
	v_mul_lo_u32 v4, v1, v4
	v_add_co_u32 v6, vcc_lo, v6, v7
	v_add_co_ci_u32_e32 v7, vcc_lo, 0, v8, vcc_lo
	s_delay_alu instid0(VALU_DEP_2) | instskip(NEXT) | instid1(VALU_DEP_2)
	v_add_co_u32 v5, vcc_lo, v6, v5
	v_add_co_ci_u32_e32 v5, vcc_lo, v7, v10, vcc_lo
	v_add_co_ci_u32_e32 v6, vcc_lo, 0, v11, vcc_lo
	v_add_co_u32 v7, vcc_lo, v2, v9
	v_add_co_ci_u32_e32 v3, vcc_lo, v3, v9, vcc_lo
	s_delay_alu instid0(VALU_DEP_4) | instskip(NEXT) | instid1(VALU_DEP_4)
	v_add_co_u32 v4, vcc_lo, v5, v4
	v_add_co_ci_u32_e32 v5, vcc_lo, 0, v6, vcc_lo
	s_delay_alu instid0(VALU_DEP_4) | instskip(NEXT) | instid1(VALU_DEP_3)
	v_xor_b32_e32 v7, v7, v9
	v_add_co_u32 v6, vcc_lo, v0, v4
	s_delay_alu instid0(VALU_DEP_3) | instskip(SKIP_1) | instid1(VALU_DEP_3)
	v_add_co_ci_u32_e32 v8, vcc_lo, v1, v5, vcc_lo
	v_xor_b32_e32 v10, v3, v9
	v_mul_hi_u32 v11, v7, v6
	s_delay_alu instid0(VALU_DEP_3) | instskip(NEXT) | instid1(VALU_DEP_3)
	v_mad_u64_u32 v[0:1], null, v7, v8, 0
	v_mad_u64_u32 v[3:4], null, v10, v6, 0
	;; [unrolled: 1-line block ×3, first 2 shown]
	s_delay_alu instid0(VALU_DEP_3) | instskip(NEXT) | instid1(VALU_DEP_4)
	v_add_co_u32 v0, vcc_lo, v11, v0
	v_add_co_ci_u32_e32 v1, vcc_lo, 0, v1, vcc_lo
	s_delay_alu instid0(VALU_DEP_2) | instskip(NEXT) | instid1(VALU_DEP_2)
	v_add_co_u32 v0, vcc_lo, v0, v3
	v_add_co_ci_u32_e32 v0, vcc_lo, v1, v4, vcc_lo
	v_add_co_ci_u32_e32 v1, vcc_lo, 0, v6, vcc_lo
	s_delay_alu instid0(VALU_DEP_2) | instskip(NEXT) | instid1(VALU_DEP_2)
	v_add_co_u32 v3, vcc_lo, v0, v5
	v_add_co_ci_u32_e32 v4, vcc_lo, 0, v1, vcc_lo
	s_delay_alu instid0(VALU_DEP_2) | instskip(SKIP_1) | instid1(VALU_DEP_3)
	v_mul_lo_u32 v5, s11, v3
	v_mad_u64_u32 v[0:1], null, s10, v3, 0
	v_mul_lo_u32 v6, s10, v4
	s_delay_alu instid0(VALU_DEP_2) | instskip(NEXT) | instid1(VALU_DEP_2)
	v_sub_co_u32 v0, vcc_lo, v7, v0
	v_add3_u32 v1, v1, v6, v5
	s_delay_alu instid0(VALU_DEP_1) | instskip(NEXT) | instid1(VALU_DEP_1)
	v_sub_nc_u32_e32 v5, v10, v1
	v_subrev_co_ci_u32_e64 v5, s2, s11, v5, vcc_lo
	v_add_co_u32 v6, s2, v3, 2
	s_delay_alu instid0(VALU_DEP_1) | instskip(SKIP_3) | instid1(VALU_DEP_3)
	v_add_co_ci_u32_e64 v7, s2, 0, v4, s2
	v_sub_co_u32 v8, s2, v0, s10
	v_sub_co_ci_u32_e32 v1, vcc_lo, v10, v1, vcc_lo
	v_subrev_co_ci_u32_e64 v5, s2, 0, v5, s2
	v_cmp_le_u32_e32 vcc_lo, s10, v8
	s_delay_alu instid0(VALU_DEP_3) | instskip(SKIP_1) | instid1(VALU_DEP_4)
	v_cmp_eq_u32_e64 s2, s11, v1
	v_cndmask_b32_e64 v8, 0, -1, vcc_lo
	v_cmp_le_u32_e32 vcc_lo, s11, v5
	v_cndmask_b32_e64 v10, 0, -1, vcc_lo
	v_cmp_le_u32_e32 vcc_lo, s10, v0
	;; [unrolled: 2-line block ×3, first 2 shown]
	v_cndmask_b32_e64 v11, 0, -1, vcc_lo
	v_cmp_eq_u32_e32 vcc_lo, s11, v5
	s_delay_alu instid0(VALU_DEP_2) | instskip(SKIP_3) | instid1(VALU_DEP_3)
	v_cndmask_b32_e64 v0, v11, v0, s2
	v_cndmask_b32_e32 v5, v10, v8, vcc_lo
	v_add_co_u32 v8, vcc_lo, v3, 1
	v_add_co_ci_u32_e32 v10, vcc_lo, 0, v4, vcc_lo
	v_cmp_ne_u32_e32 vcc_lo, 0, v5
	s_delay_alu instid0(VALU_DEP_2) | instskip(NEXT) | instid1(VALU_DEP_4)
	v_cndmask_b32_e32 v1, v10, v7, vcc_lo
	v_cndmask_b32_e32 v5, v8, v6, vcc_lo
	v_cmp_ne_u32_e32 vcc_lo, 0, v0
	v_xor_b32_e32 v0, s8, v9
	s_delay_alu instid0(VALU_DEP_3) | instskip(SKIP_2) | instid1(VALU_DEP_3)
	v_cndmask_b32_e32 v3, v3, v5, vcc_lo
	v_cndmask_b32_e32 v1, v4, v1, vcc_lo
	v_xor_b32_e32 v4, s9, v9
	v_xor_b32_e32 v3, v3, v0
	s_delay_alu instid0(VALU_DEP_2) | instskip(NEXT) | instid1(VALU_DEP_2)
	v_xor_b32_e32 v1, v1, v4
	v_sub_co_u32 v0, vcc_lo, v3, v0
	s_delay_alu instid0(VALU_DEP_2)
	v_sub_co_ci_u32_e32 v1, vcc_lo, v1, v4, vcc_lo
.LBB23_2:
	s_and_not1_saveexec_b32 s2, s6
	s_cbranch_execz .LBB23_4
; %bb.3:
	v_cvt_f32_u32_e32 v0, s3
	s_sub_i32 s6, 0, s3
	s_delay_alu instid0(VALU_DEP_1) | instskip(SKIP_2) | instid1(VALU_DEP_1)
	v_rcp_iflag_f32_e32 v0, v0
	s_waitcnt_depctr 0xfff
	v_mul_f32_e32 v0, 0x4f7ffffe, v0
	v_cvt_u32_f32_e32 v0, v0
	s_delay_alu instid0(VALU_DEP_1) | instskip(NEXT) | instid1(VALU_DEP_1)
	v_mul_lo_u32 v1, s6, v0
	v_mul_hi_u32 v1, v0, v1
	s_delay_alu instid0(VALU_DEP_1) | instskip(NEXT) | instid1(VALU_DEP_1)
	v_add_nc_u32_e32 v0, v0, v1
	v_mul_hi_u32 v0, v2, v0
	s_delay_alu instid0(VALU_DEP_1) | instskip(SKIP_1) | instid1(VALU_DEP_2)
	v_mul_lo_u32 v1, v0, s3
	v_add_nc_u32_e32 v3, 1, v0
	v_sub_nc_u32_e32 v1, v2, v1
	s_delay_alu instid0(VALU_DEP_1) | instskip(SKIP_1) | instid1(VALU_DEP_2)
	v_subrev_nc_u32_e32 v4, s3, v1
	v_cmp_le_u32_e32 vcc_lo, s3, v1
	v_dual_cndmask_b32 v1, v1, v4 :: v_dual_cndmask_b32 v0, v0, v3
	s_delay_alu instid0(VALU_DEP_1) | instskip(NEXT) | instid1(VALU_DEP_2)
	v_cmp_le_u32_e32 vcc_lo, s3, v1
	v_add_nc_u32_e32 v3, 1, v0
	s_delay_alu instid0(VALU_DEP_1)
	v_dual_mov_b32 v1, 0 :: v_dual_cndmask_b32 v0, v0, v3
.LBB23_4:
	s_or_b32 exec_lo, exec_lo, s2
	s_load_b64 s[8:9], s[0:1], 0x18
	s_delay_alu instid0(VALU_DEP_1) | instskip(NEXT) | instid1(VALU_DEP_1)
	v_mad_u64_u32 v[3:4], null, v0, s3, 0
	v_sub_co_u32 v5, null, v2, v3
	s_delay_alu instid0(VALU_DEP_1) | instskip(SKIP_2) | instid1(VALU_DEP_2)
	v_cmp_gt_i32_e64 s2, s5, v5
	s_waitcnt lgkmcnt(0)
	v_cmp_gt_i64_e32 vcc_lo, s[8:9], v[0:1]
	s_and_b32 s2, vcc_lo, s2
	s_delay_alu instid0(SALU_CYCLE_1)
	s_and_saveexec_b32 s3, s2
	s_cbranch_execz .LBB23_398
; %bb.5:
	s_ashr_i32 s6, s4, 31
	s_load_b64 s[2:3], s[0:1], 0x0
	v_mul_lo_u32 v2, v1, s4
	v_mad_u64_u32 v[6:7], null, v0, s4, 0
	v_mul_lo_u32 v3, v0, s6
	s_delay_alu instid0(VALU_DEP_1) | instskip(SKIP_1) | instid1(VALU_DEP_2)
	v_add3_u32 v7, v7, v3, v2
	v_dual_mov_b32 v3, 0 :: v_dual_lshlrev_b32 v2, 5, v5
	v_lshlrev_b64 v[6:7], 1, v[6:7]
	s_delay_alu instid0(VALU_DEP_2) | instskip(SKIP_1) | instid1(VALU_DEP_2)
	v_lshlrev_b64 v[3:4], 1, v[2:3]
	s_waitcnt lgkmcnt(0)
	v_add_co_u32 v6, vcc_lo, s2, v6
	s_delay_alu instid0(VALU_DEP_3) | instskip(SKIP_1) | instid1(VALU_DEP_2)
	v_add_co_ci_u32_e32 v7, vcc_lo, s3, v7, vcc_lo
	s_mov_b32 s2, exec_lo
	v_add_co_u32 v3, vcc_lo, v6, v3
	s_delay_alu instid0(VALU_DEP_2)
	v_add_co_ci_u32_e32 v4, vcc_lo, v7, v4, vcc_lo
	s_clause 0x3
	global_load_b128 v[6:9], v[3:4], off
	global_load_b128 v[35:38], v[3:4], off offset:16
	global_load_b128 v[53:56], v[3:4], off offset:32
	;; [unrolled: 1-line block ×3, first 2 shown]
	s_waitcnt vmcnt(3)
	v_lshlrev_b32_e32 v12, 16, v6
	v_and_b32_e32 v10, 0xffff0000, v6
	v_lshlrev_b32_e32 v11, 16, v7
	v_and_b32_e32 v14, 0xffff0000, v7
	;; [unrolled: 2-line block ×3, first 2 shown]
	v_max3_f32 v3, |v12|, 0, |v10|
	v_lshlrev_b32_e32 v21, 16, v9
	v_and_b32_e32 v25, 0xffff0000, v9
	s_waitcnt vmcnt(2)
	v_lshlrev_b32_e32 v27, 16, v35
	v_and_b32_e32 v31, 0xffff0000, v35
	v_max3_f32 v3, v3, |v11|, |v14|
	v_lshlrev_b32_e32 v33, 16, v36
	v_and_b32_e32 v36, 0xffff0000, v36
	v_lshlrev_b32_e32 v39, 16, v37
	v_and_b32_e32 v41, 0xffff0000, v37
	v_max3_f32 v3, v3, |v15|, |v19|
	v_lshlrev_b32_e32 v45, 16, v38
	v_and_b32_e32 v46, 0xffff0000, v38
	s_waitcnt vmcnt(1)
	v_lshlrev_b32_e32 v51, 16, v53
	v_and_b32_e32 v52, 0xffff0000, v53
	v_max3_f32 v3, v3, |v21|, |v25|
	v_lshlrev_b32_e32 v53, 16, v54
	v_and_b32_e32 v50, 0xffff0000, v54
	v_lshlrev_b32_e32 v47, 16, v55
	v_and_b32_e32 v44, 0xffff0000, v55
	v_max3_f32 v3, v3, |v27|, |v31|
	;; [unrolled: 11-line block ×3, first 2 shown]
	v_lshlrev_b32_e32 v18, 16, v60
	s_delay_alu instid0(VALU_DEP_2) | instskip(NEXT) | instid1(VALU_DEP_1)
	v_max3_f32 v3, v3, |v45|, |v46|
	v_max3_f32 v3, v3, |v51|, |v52|
	s_delay_alu instid0(VALU_DEP_1) | instskip(NEXT) | instid1(VALU_DEP_1)
	v_max3_f32 v3, v3, |v53|, |v50|
	v_max3_f32 v3, v3, |v47|, |v44|
	s_delay_alu instid0(VALU_DEP_1) | instskip(NEXT) | instid1(VALU_DEP_1)
	v_max3_f32 v3, v3, |v40|, |v38|
	v_max3_f32 v3, v3, |v34|, |v32|
	s_delay_alu instid0(VALU_DEP_1) | instskip(SKIP_1) | instid1(VALU_DEP_2)
	v_max3_f32 v4, v3, |v28|, |v26|
	v_and_b32_e32 v3, 0xffff0000, v60
	v_max3_f32 v4, v4, |v24|, |v20|
	s_delay_alu instid0(VALU_DEP_1) | instskip(NEXT) | instid1(VALU_DEP_1)
	v_max3_f32 v4, v4, |v18|, |v3|
	v_mul_f32_e32 v6, 0x3e800000, v4
	s_delay_alu instid0(VALU_DEP_1) | instskip(NEXT) | instid1(VALU_DEP_1)
	v_and_b32_e32 v4, 0x7f800000, v6
	v_div_scale_f32 v7, null, v4, v4, 1.0
	v_div_scale_f32 v13, vcc_lo, 1.0, v4, 1.0
	s_delay_alu instid0(VALU_DEP_2) | instskip(SKIP_2) | instid1(VALU_DEP_1)
	v_rcp_f32_e32 v8, v7
	s_waitcnt_depctr 0xfff
	v_fma_f32 v9, -v7, v8, 1.0
	v_fmac_f32_e32 v8, v9, v8
	s_delay_alu instid0(VALU_DEP_1) | instskip(NEXT) | instid1(VALU_DEP_1)
	v_mul_f32_e32 v9, v13, v8
	v_fma_f32 v16, -v7, v9, v13
	s_delay_alu instid0(VALU_DEP_1) | instskip(NEXT) | instid1(VALU_DEP_1)
	v_fmac_f32_e32 v9, v16, v8
	v_fma_f32 v7, -v7, v9, v13
	s_delay_alu instid0(VALU_DEP_1) | instskip(SKIP_3) | instid1(VALU_DEP_4)
	v_div_fmas_f32 v7, v7, v8, v9
	v_mov_b32_e32 v9, 7
	v_cmp_neq_f32_e32 vcc_lo, 0, v4
	v_mov_b32_e32 v8, 7
	v_div_fixup_f32 v7, v7, v4, 1.0
	s_delay_alu instid0(VALU_DEP_1) | instskip(NEXT) | instid1(VALU_DEP_1)
	v_cndmask_b32_e32 v4, 0, v7, vcc_lo
	v_mul_f32_e32 v7, v4, v12
	s_delay_alu instid0(VALU_DEP_1)
	v_cmpx_nle_f32_e64 0x40a00000, |v7|
	s_cbranch_execz .LBB23_17
; %bb.6:
	v_mov_b32_e32 v8, 6
	s_mov_b32 s3, exec_lo
	v_cmpx_nle_f32_e64 0x40600000, |v7|
	s_cbranch_execz .LBB23_16
; %bb.7:
	v_mov_b32_e32 v8, 5
	s_mov_b32 s6, exec_lo
	;; [unrolled: 5-line block ×5, first 2 shown]
	v_cmpx_nle_f32_e64 0x3f400000, |v7|
; %bb.11:
	v_cmp_le_f32_e64 s12, 0x3e800000, |v7|
	s_delay_alu instid0(VALU_DEP_1)
	v_cndmask_b32_e64 v8, 0, 1, s12
; %bb.12:
	s_or_b32 exec_lo, exec_lo, s11
.LBB23_13:
	s_delay_alu instid0(SALU_CYCLE_1)
	s_or_b32 exec_lo, exec_lo, s10
.LBB23_14:
	s_delay_alu instid0(SALU_CYCLE_1)
	s_or_b32 exec_lo, exec_lo, s9
.LBB23_15:
	s_delay_alu instid0(SALU_CYCLE_1)
	s_or_b32 exec_lo, exec_lo, s6
.LBB23_16:
	s_delay_alu instid0(SALU_CYCLE_1)
	s_or_b32 exec_lo, exec_lo, s3
.LBB23_17:
	s_delay_alu instid0(SALU_CYCLE_1) | instskip(SKIP_2) | instid1(VALU_DEP_1)
	s_or_b32 exec_lo, exec_lo, s2
	v_mul_f32_e32 v10, v4, v10
	s_mov_b32 s2, exec_lo
	v_cmpx_nle_f32_e64 0x40a00000, |v10|
	s_cbranch_execz .LBB23_29
; %bb.18:
	v_mov_b32_e32 v9, 6
	s_mov_b32 s3, exec_lo
	v_cmpx_nle_f32_e64 0x40600000, |v10|
	s_cbranch_execz .LBB23_28
; %bb.19:
	v_mov_b32_e32 v9, 5
	;; [unrolled: 5-line block ×5, first 2 shown]
	s_mov_b32 s11, exec_lo
	v_cmpx_nle_f32_e64 0x3f400000, |v10|
; %bb.23:
	v_cmp_le_f32_e64 s12, 0x3e800000, |v10|
	s_delay_alu instid0(VALU_DEP_1)
	v_cndmask_b32_e64 v9, 0, 1, s12
; %bb.24:
	s_or_b32 exec_lo, exec_lo, s11
.LBB23_25:
	s_delay_alu instid0(SALU_CYCLE_1)
	s_or_b32 exec_lo, exec_lo, s10
.LBB23_26:
	s_delay_alu instid0(SALU_CYCLE_1)
	s_or_b32 exec_lo, exec_lo, s9
.LBB23_27:
	s_delay_alu instid0(SALU_CYCLE_1)
	s_or_b32 exec_lo, exec_lo, s6
.LBB23_28:
	s_delay_alu instid0(SALU_CYCLE_1)
	s_or_b32 exec_lo, exec_lo, s3
.LBB23_29:
	s_delay_alu instid0(SALU_CYCLE_1) | instskip(SKIP_3) | instid1(VALU_DEP_2)
	s_or_b32 exec_lo, exec_lo, s2
	v_dual_mul_f32 v12, v4, v11 :: v_dual_mov_b32 v11, 7
	v_mov_b32_e32 v13, 7
	s_mov_b32 s2, exec_lo
	v_cmpx_nle_f32_e64 0x40a00000, |v12|
	s_cbranch_execz .LBB23_41
; %bb.30:
	v_mov_b32_e32 v13, 6
	s_mov_b32 s3, exec_lo
	v_cmpx_nle_f32_e64 0x40600000, |v12|
	s_cbranch_execz .LBB23_40
; %bb.31:
	;; [unrolled: 5-line block ×5, first 2 shown]
	v_mov_b32_e32 v13, 2
	s_mov_b32 s11, exec_lo
	v_cmpx_nle_f32_e64 0x3f400000, |v12|
; %bb.35:
	v_cmp_le_f32_e64 s12, 0x3e800000, |v12|
	s_delay_alu instid0(VALU_DEP_1)
	v_cndmask_b32_e64 v13, 0, 1, s12
; %bb.36:
	s_or_b32 exec_lo, exec_lo, s11
.LBB23_37:
	s_delay_alu instid0(SALU_CYCLE_1)
	s_or_b32 exec_lo, exec_lo, s10
.LBB23_38:
	s_delay_alu instid0(SALU_CYCLE_1)
	s_or_b32 exec_lo, exec_lo, s9
.LBB23_39:
	s_delay_alu instid0(SALU_CYCLE_1)
	s_or_b32 exec_lo, exec_lo, s6
.LBB23_40:
	s_delay_alu instid0(SALU_CYCLE_1)
	s_or_b32 exec_lo, exec_lo, s3
.LBB23_41:
	s_delay_alu instid0(SALU_CYCLE_1) | instskip(SKIP_2) | instid1(VALU_DEP_1)
	s_or_b32 exec_lo, exec_lo, s2
	v_mul_f32_e32 v14, v4, v14
	s_mov_b32 s2, exec_lo
	v_cmpx_nle_f32_e64 0x40a00000, |v14|
	s_cbranch_execz .LBB23_53
; %bb.42:
	v_mov_b32_e32 v11, 6
	s_mov_b32 s3, exec_lo
	v_cmpx_nle_f32_e64 0x40600000, |v14|
	s_cbranch_execz .LBB23_52
; %bb.43:
	v_mov_b32_e32 v11, 5
	;; [unrolled: 5-line block ×5, first 2 shown]
	s_mov_b32 s11, exec_lo
	v_cmpx_nle_f32_e64 0x3f400000, |v14|
; %bb.47:
	v_cmp_le_f32_e64 s12, 0x3e800000, |v14|
	s_delay_alu instid0(VALU_DEP_1)
	v_cndmask_b32_e64 v11, 0, 1, s12
; %bb.48:
	s_or_b32 exec_lo, exec_lo, s11
.LBB23_49:
	s_delay_alu instid0(SALU_CYCLE_1)
	s_or_b32 exec_lo, exec_lo, s10
.LBB23_50:
	s_delay_alu instid0(SALU_CYCLE_1)
	s_or_b32 exec_lo, exec_lo, s9
.LBB23_51:
	s_delay_alu instid0(SALU_CYCLE_1)
	s_or_b32 exec_lo, exec_lo, s6
.LBB23_52:
	s_delay_alu instid0(SALU_CYCLE_1)
	s_or_b32 exec_lo, exec_lo, s3
.LBB23_53:
	s_delay_alu instid0(SALU_CYCLE_1) | instskip(SKIP_3) | instid1(VALU_DEP_2)
	s_or_b32 exec_lo, exec_lo, s2
	v_dual_mul_f32 v17, v4, v15 :: v_dual_mov_b32 v16, 7
	v_mov_b32_e32 v15, 7
	s_mov_b32 s2, exec_lo
	v_cmpx_nle_f32_e64 0x40a00000, |v17|
	s_cbranch_execz .LBB23_65
; %bb.54:
	v_mov_b32_e32 v16, 6
	s_mov_b32 s3, exec_lo
	v_cmpx_nle_f32_e64 0x40600000, |v17|
	s_cbranch_execz .LBB23_64
; %bb.55:
	;; [unrolled: 5-line block ×5, first 2 shown]
	v_mov_b32_e32 v16, 2
	s_mov_b32 s11, exec_lo
	v_cmpx_nle_f32_e64 0x3f400000, |v17|
; %bb.59:
	v_cmp_le_f32_e64 s12, 0x3e800000, |v17|
	s_delay_alu instid0(VALU_DEP_1)
	v_cndmask_b32_e64 v16, 0, 1, s12
; %bb.60:
	s_or_b32 exec_lo, exec_lo, s11
.LBB23_61:
	s_delay_alu instid0(SALU_CYCLE_1)
	s_or_b32 exec_lo, exec_lo, s10
.LBB23_62:
	s_delay_alu instid0(SALU_CYCLE_1)
	s_or_b32 exec_lo, exec_lo, s9
.LBB23_63:
	s_delay_alu instid0(SALU_CYCLE_1)
	s_or_b32 exec_lo, exec_lo, s6
.LBB23_64:
	s_delay_alu instid0(SALU_CYCLE_1)
	s_or_b32 exec_lo, exec_lo, s3
.LBB23_65:
	s_delay_alu instid0(SALU_CYCLE_1) | instskip(SKIP_2) | instid1(VALU_DEP_1)
	s_or_b32 exec_lo, exec_lo, s2
	v_mul_f32_e32 v19, v4, v19
	s_mov_b32 s2, exec_lo
	v_cmpx_nle_f32_e64 0x40a00000, |v19|
	s_cbranch_execz .LBB23_77
; %bb.66:
	v_mov_b32_e32 v15, 6
	s_mov_b32 s3, exec_lo
	v_cmpx_nle_f32_e64 0x40600000, |v19|
	s_cbranch_execz .LBB23_76
; %bb.67:
	v_mov_b32_e32 v15, 5
	;; [unrolled: 5-line block ×5, first 2 shown]
	s_mov_b32 s11, exec_lo
	v_cmpx_nle_f32_e64 0x3f400000, |v19|
; %bb.71:
	v_cmp_le_f32_e64 s12, 0x3e800000, |v19|
	s_delay_alu instid0(VALU_DEP_1)
	v_cndmask_b32_e64 v15, 0, 1, s12
; %bb.72:
	s_or_b32 exec_lo, exec_lo, s11
.LBB23_73:
	s_delay_alu instid0(SALU_CYCLE_1)
	s_or_b32 exec_lo, exec_lo, s10
.LBB23_74:
	s_delay_alu instid0(SALU_CYCLE_1)
	s_or_b32 exec_lo, exec_lo, s9
.LBB23_75:
	s_delay_alu instid0(SALU_CYCLE_1)
	s_or_b32 exec_lo, exec_lo, s6
.LBB23_76:
	s_delay_alu instid0(SALU_CYCLE_1)
	s_or_b32 exec_lo, exec_lo, s3
.LBB23_77:
	s_delay_alu instid0(SALU_CYCLE_1) | instskip(SKIP_3) | instid1(VALU_DEP_2)
	s_or_b32 exec_lo, exec_lo, s2
	v_dual_mul_f32 v23, v4, v21 :: v_dual_mov_b32 v22, 7
	v_mov_b32_e32 v21, 7
	s_mov_b32 s2, exec_lo
	v_cmpx_nle_f32_e64 0x40a00000, |v23|
	s_cbranch_execz .LBB23_89
; %bb.78:
	v_mov_b32_e32 v22, 6
	s_mov_b32 s3, exec_lo
	v_cmpx_nle_f32_e64 0x40600000, |v23|
	s_cbranch_execz .LBB23_88
; %bb.79:
	;; [unrolled: 5-line block ×5, first 2 shown]
	v_mov_b32_e32 v22, 2
	s_mov_b32 s11, exec_lo
	v_cmpx_nle_f32_e64 0x3f400000, |v23|
; %bb.83:
	v_cmp_le_f32_e64 s12, 0x3e800000, |v23|
	s_delay_alu instid0(VALU_DEP_1)
	v_cndmask_b32_e64 v22, 0, 1, s12
; %bb.84:
	s_or_b32 exec_lo, exec_lo, s11
.LBB23_85:
	s_delay_alu instid0(SALU_CYCLE_1)
	s_or_b32 exec_lo, exec_lo, s10
.LBB23_86:
	s_delay_alu instid0(SALU_CYCLE_1)
	s_or_b32 exec_lo, exec_lo, s9
.LBB23_87:
	s_delay_alu instid0(SALU_CYCLE_1)
	s_or_b32 exec_lo, exec_lo, s6
.LBB23_88:
	s_delay_alu instid0(SALU_CYCLE_1)
	s_or_b32 exec_lo, exec_lo, s3
.LBB23_89:
	s_delay_alu instid0(SALU_CYCLE_1) | instskip(SKIP_2) | instid1(VALU_DEP_1)
	s_or_b32 exec_lo, exec_lo, s2
	v_mul_f32_e32 v25, v4, v25
	s_mov_b32 s2, exec_lo
	v_cmpx_nle_f32_e64 0x40a00000, |v25|
	s_cbranch_execz .LBB23_101
; %bb.90:
	v_mov_b32_e32 v21, 6
	s_mov_b32 s3, exec_lo
	v_cmpx_nle_f32_e64 0x40600000, |v25|
	s_cbranch_execz .LBB23_100
; %bb.91:
	v_mov_b32_e32 v21, 5
	;; [unrolled: 5-line block ×5, first 2 shown]
	s_mov_b32 s11, exec_lo
	v_cmpx_nle_f32_e64 0x3f400000, |v25|
; %bb.95:
	v_cmp_le_f32_e64 s12, 0x3e800000, |v25|
	s_delay_alu instid0(VALU_DEP_1)
	v_cndmask_b32_e64 v21, 0, 1, s12
; %bb.96:
	s_or_b32 exec_lo, exec_lo, s11
.LBB23_97:
	s_delay_alu instid0(SALU_CYCLE_1)
	s_or_b32 exec_lo, exec_lo, s10
.LBB23_98:
	s_delay_alu instid0(SALU_CYCLE_1)
	s_or_b32 exec_lo, exec_lo, s9
.LBB23_99:
	s_delay_alu instid0(SALU_CYCLE_1)
	s_or_b32 exec_lo, exec_lo, s6
.LBB23_100:
	s_delay_alu instid0(SALU_CYCLE_1)
	s_or_b32 exec_lo, exec_lo, s3
.LBB23_101:
	s_delay_alu instid0(SALU_CYCLE_1) | instskip(SKIP_3) | instid1(VALU_DEP_2)
	s_or_b32 exec_lo, exec_lo, s2
	v_dual_mul_f32 v29, v4, v27 :: v_dual_mov_b32 v30, 7
	v_mov_b32_e32 v27, 7
	s_mov_b32 s2, exec_lo
	v_cmpx_nle_f32_e64 0x40a00000, |v29|
	s_cbranch_execz .LBB23_113
; %bb.102:
	v_mov_b32_e32 v30, 6
	s_mov_b32 s3, exec_lo
	v_cmpx_nle_f32_e64 0x40600000, |v29|
	s_cbranch_execz .LBB23_112
; %bb.103:
	;; [unrolled: 5-line block ×5, first 2 shown]
	v_mov_b32_e32 v30, 2
	s_mov_b32 s11, exec_lo
	v_cmpx_nle_f32_e64 0x3f400000, |v29|
; %bb.107:
	v_cmp_le_f32_e64 s12, 0x3e800000, |v29|
	s_delay_alu instid0(VALU_DEP_1)
	v_cndmask_b32_e64 v30, 0, 1, s12
; %bb.108:
	s_or_b32 exec_lo, exec_lo, s11
.LBB23_109:
	s_delay_alu instid0(SALU_CYCLE_1)
	s_or_b32 exec_lo, exec_lo, s10
.LBB23_110:
	s_delay_alu instid0(SALU_CYCLE_1)
	s_or_b32 exec_lo, exec_lo, s9
.LBB23_111:
	s_delay_alu instid0(SALU_CYCLE_1)
	s_or_b32 exec_lo, exec_lo, s6
.LBB23_112:
	s_delay_alu instid0(SALU_CYCLE_1)
	s_or_b32 exec_lo, exec_lo, s3
.LBB23_113:
	s_delay_alu instid0(SALU_CYCLE_1) | instskip(SKIP_2) | instid1(VALU_DEP_1)
	s_or_b32 exec_lo, exec_lo, s2
	v_mul_f32_e32 v31, v4, v31
	s_mov_b32 s2, exec_lo
	v_cmpx_nle_f32_e64 0x40a00000, |v31|
	s_cbranch_execz .LBB23_125
; %bb.114:
	v_mov_b32_e32 v27, 6
	s_mov_b32 s3, exec_lo
	v_cmpx_nle_f32_e64 0x40600000, |v31|
	s_cbranch_execz .LBB23_124
; %bb.115:
	v_mov_b32_e32 v27, 5
	;; [unrolled: 5-line block ×5, first 2 shown]
	s_mov_b32 s11, exec_lo
	v_cmpx_nle_f32_e64 0x3f400000, |v31|
; %bb.119:
	v_cmp_le_f32_e64 s12, 0x3e800000, |v31|
	s_delay_alu instid0(VALU_DEP_1)
	v_cndmask_b32_e64 v27, 0, 1, s12
; %bb.120:
	s_or_b32 exec_lo, exec_lo, s11
.LBB23_121:
	s_delay_alu instid0(SALU_CYCLE_1)
	s_or_b32 exec_lo, exec_lo, s10
.LBB23_122:
	s_delay_alu instid0(SALU_CYCLE_1)
	s_or_b32 exec_lo, exec_lo, s9
.LBB23_123:
	s_delay_alu instid0(SALU_CYCLE_1)
	s_or_b32 exec_lo, exec_lo, s6
.LBB23_124:
	s_delay_alu instid0(SALU_CYCLE_1)
	s_or_b32 exec_lo, exec_lo, s3
.LBB23_125:
	s_delay_alu instid0(SALU_CYCLE_1) | instskip(SKIP_4) | instid1(VALU_DEP_3)
	s_or_b32 exec_lo, exec_lo, s2
	v_mul_f32_e32 v35, v4, v33
	v_mov_b32_e32 v33, 7
	v_mov_b32_e32 v37, 7
	s_mov_b32 s2, exec_lo
	v_cmpx_nle_f32_e64 0x40a00000, |v35|
	s_cbranch_execz .LBB23_137
; %bb.126:
	v_mov_b32_e32 v37, 6
	s_mov_b32 s3, exec_lo
	v_cmpx_nle_f32_e64 0x40600000, |v35|
	s_cbranch_execz .LBB23_136
; %bb.127:
	;; [unrolled: 5-line block ×5, first 2 shown]
	v_mov_b32_e32 v37, 2
	s_mov_b32 s11, exec_lo
	v_cmpx_nle_f32_e64 0x3f400000, |v35|
; %bb.131:
	v_cmp_le_f32_e64 s12, 0x3e800000, |v35|
	s_delay_alu instid0(VALU_DEP_1)
	v_cndmask_b32_e64 v37, 0, 1, s12
; %bb.132:
	s_or_b32 exec_lo, exec_lo, s11
.LBB23_133:
	s_delay_alu instid0(SALU_CYCLE_1)
	s_or_b32 exec_lo, exec_lo, s10
.LBB23_134:
	s_delay_alu instid0(SALU_CYCLE_1)
	s_or_b32 exec_lo, exec_lo, s9
.LBB23_135:
	s_delay_alu instid0(SALU_CYCLE_1)
	s_or_b32 exec_lo, exec_lo, s6
.LBB23_136:
	s_delay_alu instid0(SALU_CYCLE_1)
	s_or_b32 exec_lo, exec_lo, s3
.LBB23_137:
	s_delay_alu instid0(SALU_CYCLE_1) | instskip(SKIP_2) | instid1(VALU_DEP_1)
	s_or_b32 exec_lo, exec_lo, s2
	v_mul_f32_e32 v36, v4, v36
	s_mov_b32 s2, exec_lo
	v_cmpx_nle_f32_e64 0x40a00000, |v36|
	s_cbranch_execz .LBB23_149
; %bb.138:
	v_mov_b32_e32 v33, 6
	s_mov_b32 s3, exec_lo
	v_cmpx_nle_f32_e64 0x40600000, |v36|
	s_cbranch_execz .LBB23_148
; %bb.139:
	v_mov_b32_e32 v33, 5
	;; [unrolled: 5-line block ×5, first 2 shown]
	s_mov_b32 s11, exec_lo
	v_cmpx_nle_f32_e64 0x3f400000, |v36|
; %bb.143:
	v_cmp_le_f32_e64 s12, 0x3e800000, |v36|
	s_delay_alu instid0(VALU_DEP_1)
	v_cndmask_b32_e64 v33, 0, 1, s12
; %bb.144:
	s_or_b32 exec_lo, exec_lo, s11
.LBB23_145:
	s_delay_alu instid0(SALU_CYCLE_1)
	s_or_b32 exec_lo, exec_lo, s10
.LBB23_146:
	s_delay_alu instid0(SALU_CYCLE_1)
	s_or_b32 exec_lo, exec_lo, s9
.LBB23_147:
	s_delay_alu instid0(SALU_CYCLE_1)
	s_or_b32 exec_lo, exec_lo, s6
.LBB23_148:
	s_delay_alu instid0(SALU_CYCLE_1)
	s_or_b32 exec_lo, exec_lo, s3
.LBB23_149:
	s_delay_alu instid0(SALU_CYCLE_1) | instskip(SKIP_3) | instid1(VALU_DEP_2)
	s_or_b32 exec_lo, exec_lo, s2
	v_dual_mul_f32 v43, v4, v39 :: v_dual_mov_b32 v42, 7
	v_mov_b32_e32 v39, 7
	s_mov_b32 s2, exec_lo
	v_cmpx_nle_f32_e64 0x40a00000, |v43|
	s_cbranch_execz .LBB23_161
; %bb.150:
	v_mov_b32_e32 v42, 6
	s_mov_b32 s3, exec_lo
	v_cmpx_nle_f32_e64 0x40600000, |v43|
	s_cbranch_execz .LBB23_160
; %bb.151:
	;; [unrolled: 5-line block ×5, first 2 shown]
	v_mov_b32_e32 v42, 2
	s_mov_b32 s11, exec_lo
	v_cmpx_nle_f32_e64 0x3f400000, |v43|
; %bb.155:
	v_cmp_le_f32_e64 s12, 0x3e800000, |v43|
	s_delay_alu instid0(VALU_DEP_1)
	v_cndmask_b32_e64 v42, 0, 1, s12
; %bb.156:
	s_or_b32 exec_lo, exec_lo, s11
.LBB23_157:
	s_delay_alu instid0(SALU_CYCLE_1)
	s_or_b32 exec_lo, exec_lo, s10
.LBB23_158:
	s_delay_alu instid0(SALU_CYCLE_1)
	s_or_b32 exec_lo, exec_lo, s9
.LBB23_159:
	s_delay_alu instid0(SALU_CYCLE_1)
	s_or_b32 exec_lo, exec_lo, s6
.LBB23_160:
	s_delay_alu instid0(SALU_CYCLE_1)
	s_or_b32 exec_lo, exec_lo, s3
.LBB23_161:
	s_delay_alu instid0(SALU_CYCLE_1) | instskip(SKIP_2) | instid1(VALU_DEP_1)
	s_or_b32 exec_lo, exec_lo, s2
	v_mul_f32_e32 v41, v4, v41
	s_mov_b32 s2, exec_lo
	v_cmpx_nle_f32_e64 0x40a00000, |v41|
	s_cbranch_execz .LBB23_173
; %bb.162:
	v_mov_b32_e32 v39, 6
	s_mov_b32 s3, exec_lo
	v_cmpx_nle_f32_e64 0x40600000, |v41|
	s_cbranch_execz .LBB23_172
; %bb.163:
	v_mov_b32_e32 v39, 5
	;; [unrolled: 5-line block ×5, first 2 shown]
	s_mov_b32 s11, exec_lo
	v_cmpx_nle_f32_e64 0x3f400000, |v41|
; %bb.167:
	v_cmp_le_f32_e64 s12, 0x3e800000, |v41|
	s_delay_alu instid0(VALU_DEP_1)
	v_cndmask_b32_e64 v39, 0, 1, s12
; %bb.168:
	s_or_b32 exec_lo, exec_lo, s11
.LBB23_169:
	s_delay_alu instid0(SALU_CYCLE_1)
	s_or_b32 exec_lo, exec_lo, s10
.LBB23_170:
	s_delay_alu instid0(SALU_CYCLE_1)
	s_or_b32 exec_lo, exec_lo, s9
.LBB23_171:
	s_delay_alu instid0(SALU_CYCLE_1)
	s_or_b32 exec_lo, exec_lo, s6
.LBB23_172:
	s_delay_alu instid0(SALU_CYCLE_1)
	s_or_b32 exec_lo, exec_lo, s3
.LBB23_173:
	s_delay_alu instid0(SALU_CYCLE_1) | instskip(SKIP_3) | instid1(VALU_DEP_2)
	s_or_b32 exec_lo, exec_lo, s2
	v_dual_mul_f32 v49, v4, v45 :: v_dual_mov_b32 v48, 7
	v_mov_b32_e32 v45, 7
	s_mov_b32 s2, exec_lo
	v_cmpx_nle_f32_e64 0x40a00000, |v49|
	s_cbranch_execz .LBB23_185
; %bb.174:
	v_mov_b32_e32 v48, 6
	s_mov_b32 s3, exec_lo
	v_cmpx_nle_f32_e64 0x40600000, |v49|
	s_cbranch_execz .LBB23_184
; %bb.175:
	;; [unrolled: 5-line block ×5, first 2 shown]
	v_mov_b32_e32 v48, 2
	s_mov_b32 s11, exec_lo
	v_cmpx_nle_f32_e64 0x3f400000, |v49|
; %bb.179:
	v_cmp_le_f32_e64 s12, 0x3e800000, |v49|
	s_delay_alu instid0(VALU_DEP_1)
	v_cndmask_b32_e64 v48, 0, 1, s12
; %bb.180:
	s_or_b32 exec_lo, exec_lo, s11
.LBB23_181:
	s_delay_alu instid0(SALU_CYCLE_1)
	s_or_b32 exec_lo, exec_lo, s10
.LBB23_182:
	s_delay_alu instid0(SALU_CYCLE_1)
	s_or_b32 exec_lo, exec_lo, s9
.LBB23_183:
	s_delay_alu instid0(SALU_CYCLE_1)
	s_or_b32 exec_lo, exec_lo, s6
.LBB23_184:
	s_delay_alu instid0(SALU_CYCLE_1)
	s_or_b32 exec_lo, exec_lo, s3
.LBB23_185:
	s_delay_alu instid0(SALU_CYCLE_1) | instskip(SKIP_2) | instid1(VALU_DEP_1)
	s_or_b32 exec_lo, exec_lo, s2
	v_mul_f32_e32 v46, v4, v46
	s_mov_b32 s2, exec_lo
	v_cmpx_nle_f32_e64 0x40a00000, |v46|
	s_cbranch_execz .LBB23_197
; %bb.186:
	v_mov_b32_e32 v45, 6
	s_mov_b32 s3, exec_lo
	v_cmpx_nle_f32_e64 0x40600000, |v46|
	s_cbranch_execz .LBB23_196
; %bb.187:
	v_mov_b32_e32 v45, 5
	;; [unrolled: 5-line block ×5, first 2 shown]
	s_mov_b32 s11, exec_lo
	v_cmpx_nle_f32_e64 0x3f400000, |v46|
; %bb.191:
	v_cmp_le_f32_e64 s12, 0x3e800000, |v46|
	s_delay_alu instid0(VALU_DEP_1)
	v_cndmask_b32_e64 v45, 0, 1, s12
; %bb.192:
	s_or_b32 exec_lo, exec_lo, s11
.LBB23_193:
	s_delay_alu instid0(SALU_CYCLE_1)
	s_or_b32 exec_lo, exec_lo, s10
.LBB23_194:
	s_delay_alu instid0(SALU_CYCLE_1)
	s_or_b32 exec_lo, exec_lo, s9
.LBB23_195:
	s_delay_alu instid0(SALU_CYCLE_1)
	s_or_b32 exec_lo, exec_lo, s6
.LBB23_196:
	s_delay_alu instid0(SALU_CYCLE_1)
	s_or_b32 exec_lo, exec_lo, s3
.LBB23_197:
	s_delay_alu instid0(SALU_CYCLE_1) | instskip(SKIP_3) | instid1(VALU_DEP_2)
	s_or_b32 exec_lo, exec_lo, s2
	v_dual_mul_f32 v55, v4, v51 :: v_dual_mov_b32 v54, 7
	v_mov_b32_e32 v51, 7
	s_mov_b32 s2, exec_lo
	v_cmpx_nle_f32_e64 0x40a00000, |v55|
	s_cbranch_execz .LBB23_209
; %bb.198:
	v_mov_b32_e32 v54, 6
	s_mov_b32 s3, exec_lo
	v_cmpx_nle_f32_e64 0x40600000, |v55|
	s_cbranch_execz .LBB23_208
; %bb.199:
	;; [unrolled: 5-line block ×5, first 2 shown]
	v_mov_b32_e32 v54, 2
	s_mov_b32 s11, exec_lo
	v_cmpx_nle_f32_e64 0x3f400000, |v55|
; %bb.203:
	v_cmp_le_f32_e64 s12, 0x3e800000, |v55|
	s_delay_alu instid0(VALU_DEP_1)
	v_cndmask_b32_e64 v54, 0, 1, s12
; %bb.204:
	s_or_b32 exec_lo, exec_lo, s11
.LBB23_205:
	s_delay_alu instid0(SALU_CYCLE_1)
	s_or_b32 exec_lo, exec_lo, s10
.LBB23_206:
	s_delay_alu instid0(SALU_CYCLE_1)
	s_or_b32 exec_lo, exec_lo, s9
.LBB23_207:
	s_delay_alu instid0(SALU_CYCLE_1)
	s_or_b32 exec_lo, exec_lo, s6
.LBB23_208:
	s_delay_alu instid0(SALU_CYCLE_1)
	s_or_b32 exec_lo, exec_lo, s3
.LBB23_209:
	s_delay_alu instid0(SALU_CYCLE_1) | instskip(SKIP_2) | instid1(VALU_DEP_1)
	s_or_b32 exec_lo, exec_lo, s2
	v_mul_f32_e32 v52, v4, v52
	s_mov_b32 s2, exec_lo
	v_cmpx_nle_f32_e64 0x40a00000, |v52|
	s_cbranch_execz .LBB23_221
; %bb.210:
	v_mov_b32_e32 v51, 6
	s_mov_b32 s3, exec_lo
	v_cmpx_nle_f32_e64 0x40600000, |v52|
	s_cbranch_execz .LBB23_220
; %bb.211:
	v_mov_b32_e32 v51, 5
	;; [unrolled: 5-line block ×5, first 2 shown]
	s_mov_b32 s11, exec_lo
	v_cmpx_nle_f32_e64 0x3f400000, |v52|
; %bb.215:
	v_cmp_le_f32_e64 s12, 0x3e800000, |v52|
	s_delay_alu instid0(VALU_DEP_1)
	v_cndmask_b32_e64 v51, 0, 1, s12
; %bb.216:
	s_or_b32 exec_lo, exec_lo, s11
.LBB23_217:
	s_delay_alu instid0(SALU_CYCLE_1)
	s_or_b32 exec_lo, exec_lo, s10
.LBB23_218:
	s_delay_alu instid0(SALU_CYCLE_1)
	s_or_b32 exec_lo, exec_lo, s9
.LBB23_219:
	s_delay_alu instid0(SALU_CYCLE_1)
	s_or_b32 exec_lo, exec_lo, s6
.LBB23_220:
	s_delay_alu instid0(SALU_CYCLE_1)
	s_or_b32 exec_lo, exec_lo, s3
.LBB23_221:
	s_delay_alu instid0(SALU_CYCLE_1) | instskip(SKIP_3) | instid1(VALU_DEP_2)
	s_or_b32 exec_lo, exec_lo, s2
	v_dual_mul_f32 v56, v4, v53 :: v_dual_mov_b32 v53, 7
	v_mov_b32_e32 v57, 7
	s_mov_b32 s2, exec_lo
	v_cmpx_nle_f32_e64 0x40a00000, |v56|
	s_cbranch_execz .LBB23_233
; %bb.222:
	v_mov_b32_e32 v57, 6
	s_mov_b32 s3, exec_lo
	v_cmpx_nle_f32_e64 0x40600000, |v56|
	s_cbranch_execz .LBB23_232
; %bb.223:
	;; [unrolled: 5-line block ×5, first 2 shown]
	v_mov_b32_e32 v57, 2
	s_mov_b32 s11, exec_lo
	v_cmpx_nle_f32_e64 0x3f400000, |v56|
; %bb.227:
	v_cmp_le_f32_e64 s12, 0x3e800000, |v56|
	s_delay_alu instid0(VALU_DEP_1)
	v_cndmask_b32_e64 v57, 0, 1, s12
; %bb.228:
	s_or_b32 exec_lo, exec_lo, s11
.LBB23_229:
	s_delay_alu instid0(SALU_CYCLE_1)
	s_or_b32 exec_lo, exec_lo, s10
.LBB23_230:
	s_delay_alu instid0(SALU_CYCLE_1)
	s_or_b32 exec_lo, exec_lo, s9
.LBB23_231:
	s_delay_alu instid0(SALU_CYCLE_1)
	s_or_b32 exec_lo, exec_lo, s6
.LBB23_232:
	s_delay_alu instid0(SALU_CYCLE_1)
	s_or_b32 exec_lo, exec_lo, s3
.LBB23_233:
	s_delay_alu instid0(SALU_CYCLE_1) | instskip(SKIP_2) | instid1(VALU_DEP_1)
	s_or_b32 exec_lo, exec_lo, s2
	v_mul_f32_e32 v50, v4, v50
	s_mov_b32 s2, exec_lo
	v_cmpx_nle_f32_e64 0x40a00000, |v50|
	s_cbranch_execz .LBB23_245
; %bb.234:
	v_mov_b32_e32 v53, 6
	s_mov_b32 s3, exec_lo
	v_cmpx_nle_f32_e64 0x40600000, |v50|
	s_cbranch_execz .LBB23_244
; %bb.235:
	v_mov_b32_e32 v53, 5
	;; [unrolled: 5-line block ×5, first 2 shown]
	s_mov_b32 s11, exec_lo
	v_cmpx_nle_f32_e64 0x3f400000, |v50|
; %bb.239:
	v_cmp_le_f32_e64 s12, 0x3e800000, |v50|
	s_delay_alu instid0(VALU_DEP_1)
	v_cndmask_b32_e64 v53, 0, 1, s12
; %bb.240:
	s_or_b32 exec_lo, exec_lo, s11
.LBB23_241:
	s_delay_alu instid0(SALU_CYCLE_1)
	s_or_b32 exec_lo, exec_lo, s10
.LBB23_242:
	s_delay_alu instid0(SALU_CYCLE_1)
	s_or_b32 exec_lo, exec_lo, s9
.LBB23_243:
	s_delay_alu instid0(SALU_CYCLE_1)
	s_or_b32 exec_lo, exec_lo, s6
.LBB23_244:
	s_delay_alu instid0(SALU_CYCLE_1)
	s_or_b32 exec_lo, exec_lo, s3
.LBB23_245:
	s_delay_alu instid0(SALU_CYCLE_1) | instskip(SKIP_3) | instid1(VALU_DEP_2)
	s_or_b32 exec_lo, exec_lo, s2
	v_dual_mul_f32 v58, v4, v47 :: v_dual_mov_b32 v47, 7
	v_mov_b32_e32 v59, 7
	s_mov_b32 s2, exec_lo
	v_cmpx_nle_f32_e64 0x40a00000, |v58|
	s_cbranch_execz .LBB23_257
; %bb.246:
	v_mov_b32_e32 v59, 6
	s_mov_b32 s3, exec_lo
	v_cmpx_nle_f32_e64 0x40600000, |v58|
	s_cbranch_execz .LBB23_256
; %bb.247:
	;; [unrolled: 5-line block ×5, first 2 shown]
	v_mov_b32_e32 v59, 2
	s_mov_b32 s11, exec_lo
	v_cmpx_nle_f32_e64 0x3f400000, |v58|
; %bb.251:
	v_cmp_le_f32_e64 s12, 0x3e800000, |v58|
	s_delay_alu instid0(VALU_DEP_1)
	v_cndmask_b32_e64 v59, 0, 1, s12
; %bb.252:
	s_or_b32 exec_lo, exec_lo, s11
.LBB23_253:
	s_delay_alu instid0(SALU_CYCLE_1)
	s_or_b32 exec_lo, exec_lo, s10
.LBB23_254:
	s_delay_alu instid0(SALU_CYCLE_1)
	s_or_b32 exec_lo, exec_lo, s9
.LBB23_255:
	s_delay_alu instid0(SALU_CYCLE_1)
	s_or_b32 exec_lo, exec_lo, s6
.LBB23_256:
	s_delay_alu instid0(SALU_CYCLE_1)
	s_or_b32 exec_lo, exec_lo, s3
.LBB23_257:
	s_delay_alu instid0(SALU_CYCLE_1) | instskip(SKIP_2) | instid1(VALU_DEP_1)
	s_or_b32 exec_lo, exec_lo, s2
	v_mul_f32_e32 v44, v4, v44
	s_mov_b32 s2, exec_lo
	v_cmpx_nle_f32_e64 0x40a00000, |v44|
	s_cbranch_execz .LBB23_269
; %bb.258:
	v_mov_b32_e32 v47, 6
	s_mov_b32 s3, exec_lo
	v_cmpx_nle_f32_e64 0x40600000, |v44|
	s_cbranch_execz .LBB23_268
; %bb.259:
	v_mov_b32_e32 v47, 5
	;; [unrolled: 5-line block ×5, first 2 shown]
	s_mov_b32 s11, exec_lo
	v_cmpx_nle_f32_e64 0x3f400000, |v44|
; %bb.263:
	v_cmp_le_f32_e64 s12, 0x3e800000, |v44|
	s_delay_alu instid0(VALU_DEP_1)
	v_cndmask_b32_e64 v47, 0, 1, s12
; %bb.264:
	s_or_b32 exec_lo, exec_lo, s11
.LBB23_265:
	s_delay_alu instid0(SALU_CYCLE_1)
	s_or_b32 exec_lo, exec_lo, s10
.LBB23_266:
	s_delay_alu instid0(SALU_CYCLE_1)
	s_or_b32 exec_lo, exec_lo, s9
.LBB23_267:
	s_delay_alu instid0(SALU_CYCLE_1)
	s_or_b32 exec_lo, exec_lo, s6
.LBB23_268:
	s_delay_alu instid0(SALU_CYCLE_1)
	s_or_b32 exec_lo, exec_lo, s3
.LBB23_269:
	s_delay_alu instid0(SALU_CYCLE_1) | instskip(SKIP_3) | instid1(VALU_DEP_2)
	s_or_b32 exec_lo, exec_lo, s2
	v_dual_mul_f32 v61, v4, v40 :: v_dual_mov_b32 v40, 7
	v_mov_b32_e32 v60, 7
	s_mov_b32 s2, exec_lo
	v_cmpx_nle_f32_e64 0x40a00000, |v61|
	s_cbranch_execz .LBB23_281
; %bb.270:
	v_mov_b32_e32 v60, 6
	s_mov_b32 s3, exec_lo
	v_cmpx_nle_f32_e64 0x40600000, |v61|
	s_cbranch_execz .LBB23_280
; %bb.271:
	;; [unrolled: 5-line block ×5, first 2 shown]
	v_mov_b32_e32 v60, 2
	s_mov_b32 s11, exec_lo
	v_cmpx_nle_f32_e64 0x3f400000, |v61|
; %bb.275:
	v_cmp_le_f32_e64 s12, 0x3e800000, |v61|
	s_delay_alu instid0(VALU_DEP_1)
	v_cndmask_b32_e64 v60, 0, 1, s12
; %bb.276:
	s_or_b32 exec_lo, exec_lo, s11
.LBB23_277:
	s_delay_alu instid0(SALU_CYCLE_1)
	s_or_b32 exec_lo, exec_lo, s10
.LBB23_278:
	s_delay_alu instid0(SALU_CYCLE_1)
	s_or_b32 exec_lo, exec_lo, s9
.LBB23_279:
	s_delay_alu instid0(SALU_CYCLE_1)
	s_or_b32 exec_lo, exec_lo, s6
.LBB23_280:
	s_delay_alu instid0(SALU_CYCLE_1)
	s_or_b32 exec_lo, exec_lo, s3
.LBB23_281:
	s_delay_alu instid0(SALU_CYCLE_1) | instskip(SKIP_2) | instid1(VALU_DEP_1)
	s_or_b32 exec_lo, exec_lo, s2
	v_mul_f32_e32 v38, v4, v38
	s_mov_b32 s2, exec_lo
	v_cmpx_nle_f32_e64 0x40a00000, |v38|
	s_cbranch_execz .LBB23_293
; %bb.282:
	v_mov_b32_e32 v40, 6
	s_mov_b32 s3, exec_lo
	v_cmpx_nle_f32_e64 0x40600000, |v38|
	s_cbranch_execz .LBB23_292
; %bb.283:
	v_mov_b32_e32 v40, 5
	;; [unrolled: 5-line block ×5, first 2 shown]
	s_mov_b32 s11, exec_lo
	v_cmpx_nle_f32_e64 0x3f400000, |v38|
; %bb.287:
	v_cmp_le_f32_e64 s12, 0x3e800000, |v38|
	s_delay_alu instid0(VALU_DEP_1)
	v_cndmask_b32_e64 v40, 0, 1, s12
; %bb.288:
	s_or_b32 exec_lo, exec_lo, s11
.LBB23_289:
	s_delay_alu instid0(SALU_CYCLE_1)
	s_or_b32 exec_lo, exec_lo, s10
.LBB23_290:
	s_delay_alu instid0(SALU_CYCLE_1)
	s_or_b32 exec_lo, exec_lo, s9
.LBB23_291:
	s_delay_alu instid0(SALU_CYCLE_1)
	s_or_b32 exec_lo, exec_lo, s6
.LBB23_292:
	s_delay_alu instid0(SALU_CYCLE_1)
	s_or_b32 exec_lo, exec_lo, s3
.LBB23_293:
	s_delay_alu instid0(SALU_CYCLE_1) | instskip(SKIP_3) | instid1(VALU_DEP_2)
	s_or_b32 exec_lo, exec_lo, s2
	v_dual_mul_f32 v63, v4, v34 :: v_dual_mov_b32 v34, 7
	v_mov_b32_e32 v62, 7
	s_mov_b32 s2, exec_lo
	v_cmpx_nle_f32_e64 0x40a00000, |v63|
	s_cbranch_execz .LBB23_305
; %bb.294:
	v_mov_b32_e32 v62, 6
	s_mov_b32 s3, exec_lo
	v_cmpx_nle_f32_e64 0x40600000, |v63|
	s_cbranch_execz .LBB23_304
; %bb.295:
	;; [unrolled: 5-line block ×5, first 2 shown]
	v_mov_b32_e32 v62, 2
	s_mov_b32 s11, exec_lo
	v_cmpx_nle_f32_e64 0x3f400000, |v63|
; %bb.299:
	v_cmp_le_f32_e64 s12, 0x3e800000, |v63|
	s_delay_alu instid0(VALU_DEP_1)
	v_cndmask_b32_e64 v62, 0, 1, s12
; %bb.300:
	s_or_b32 exec_lo, exec_lo, s11
.LBB23_301:
	s_delay_alu instid0(SALU_CYCLE_1)
	s_or_b32 exec_lo, exec_lo, s10
.LBB23_302:
	s_delay_alu instid0(SALU_CYCLE_1)
	s_or_b32 exec_lo, exec_lo, s9
.LBB23_303:
	s_delay_alu instid0(SALU_CYCLE_1)
	s_or_b32 exec_lo, exec_lo, s6
.LBB23_304:
	s_delay_alu instid0(SALU_CYCLE_1)
	s_or_b32 exec_lo, exec_lo, s3
.LBB23_305:
	s_delay_alu instid0(SALU_CYCLE_1) | instskip(SKIP_2) | instid1(VALU_DEP_1)
	s_or_b32 exec_lo, exec_lo, s2
	v_mul_f32_e32 v32, v4, v32
	s_mov_b32 s2, exec_lo
	v_cmpx_nle_f32_e64 0x40a00000, |v32|
	s_cbranch_execz .LBB23_317
; %bb.306:
	v_mov_b32_e32 v34, 6
	s_mov_b32 s3, exec_lo
	v_cmpx_nle_f32_e64 0x40600000, |v32|
	s_cbranch_execz .LBB23_316
; %bb.307:
	v_mov_b32_e32 v34, 5
	;; [unrolled: 5-line block ×5, first 2 shown]
	s_mov_b32 s11, exec_lo
	v_cmpx_nle_f32_e64 0x3f400000, |v32|
; %bb.311:
	v_cmp_le_f32_e64 s12, 0x3e800000, |v32|
	s_delay_alu instid0(VALU_DEP_1)
	v_cndmask_b32_e64 v34, 0, 1, s12
; %bb.312:
	s_or_b32 exec_lo, exec_lo, s11
.LBB23_313:
	s_delay_alu instid0(SALU_CYCLE_1)
	s_or_b32 exec_lo, exec_lo, s10
.LBB23_314:
	s_delay_alu instid0(SALU_CYCLE_1)
	s_or_b32 exec_lo, exec_lo, s9
.LBB23_315:
	s_delay_alu instid0(SALU_CYCLE_1)
	s_or_b32 exec_lo, exec_lo, s6
.LBB23_316:
	s_delay_alu instid0(SALU_CYCLE_1)
	s_or_b32 exec_lo, exec_lo, s3
.LBB23_317:
	s_delay_alu instid0(SALU_CYCLE_1) | instskip(SKIP_3) | instid1(VALU_DEP_2)
	s_or_b32 exec_lo, exec_lo, s2
	v_dual_mul_f32 v65, v4, v28 :: v_dual_mov_b32 v28, 7
	v_mov_b32_e32 v64, 7
	s_mov_b32 s2, exec_lo
	v_cmpx_nle_f32_e64 0x40a00000, |v65|
	s_cbranch_execz .LBB23_329
; %bb.318:
	v_mov_b32_e32 v64, 6
	s_mov_b32 s3, exec_lo
	v_cmpx_nle_f32_e64 0x40600000, |v65|
	s_cbranch_execz .LBB23_328
; %bb.319:
	;; [unrolled: 5-line block ×5, first 2 shown]
	v_mov_b32_e32 v64, 2
	s_mov_b32 s11, exec_lo
	v_cmpx_nle_f32_e64 0x3f400000, |v65|
; %bb.323:
	v_cmp_le_f32_e64 s12, 0x3e800000, |v65|
	s_delay_alu instid0(VALU_DEP_1)
	v_cndmask_b32_e64 v64, 0, 1, s12
; %bb.324:
	s_or_b32 exec_lo, exec_lo, s11
.LBB23_325:
	s_delay_alu instid0(SALU_CYCLE_1)
	s_or_b32 exec_lo, exec_lo, s10
.LBB23_326:
	s_delay_alu instid0(SALU_CYCLE_1)
	s_or_b32 exec_lo, exec_lo, s9
.LBB23_327:
	s_delay_alu instid0(SALU_CYCLE_1)
	s_or_b32 exec_lo, exec_lo, s6
.LBB23_328:
	s_delay_alu instid0(SALU_CYCLE_1)
	s_or_b32 exec_lo, exec_lo, s3
.LBB23_329:
	s_delay_alu instid0(SALU_CYCLE_1) | instskip(SKIP_2) | instid1(VALU_DEP_1)
	s_or_b32 exec_lo, exec_lo, s2
	v_mul_f32_e32 v26, v4, v26
	s_mov_b32 s2, exec_lo
	v_cmpx_nle_f32_e64 0x40a00000, |v26|
	s_cbranch_execz .LBB23_341
; %bb.330:
	v_mov_b32_e32 v28, 6
	s_mov_b32 s3, exec_lo
	v_cmpx_nle_f32_e64 0x40600000, |v26|
	s_cbranch_execz .LBB23_340
; %bb.331:
	v_mov_b32_e32 v28, 5
	;; [unrolled: 5-line block ×5, first 2 shown]
	s_mov_b32 s11, exec_lo
	v_cmpx_nle_f32_e64 0x3f400000, |v26|
; %bb.335:
	v_cmp_le_f32_e64 s12, 0x3e800000, |v26|
	s_delay_alu instid0(VALU_DEP_1)
	v_cndmask_b32_e64 v28, 0, 1, s12
; %bb.336:
	s_or_b32 exec_lo, exec_lo, s11
.LBB23_337:
	s_delay_alu instid0(SALU_CYCLE_1)
	s_or_b32 exec_lo, exec_lo, s10
.LBB23_338:
	s_delay_alu instid0(SALU_CYCLE_1)
	s_or_b32 exec_lo, exec_lo, s9
.LBB23_339:
	s_delay_alu instid0(SALU_CYCLE_1)
	s_or_b32 exec_lo, exec_lo, s6
.LBB23_340:
	s_delay_alu instid0(SALU_CYCLE_1)
	s_or_b32 exec_lo, exec_lo, s3
.LBB23_341:
	s_delay_alu instid0(SALU_CYCLE_1) | instskip(SKIP_3) | instid1(VALU_DEP_2)
	s_or_b32 exec_lo, exec_lo, s2
	v_dual_mul_f32 v66, v4, v24 :: v_dual_mov_b32 v67, 7
	v_mov_b32_e32 v24, 7
	s_mov_b32 s2, exec_lo
	v_cmpx_nle_f32_e64 0x40a00000, |v66|
	s_cbranch_execz .LBB23_353
; %bb.342:
	v_mov_b32_e32 v67, 6
	s_mov_b32 s3, exec_lo
	v_cmpx_nle_f32_e64 0x40600000, |v66|
	s_cbranch_execz .LBB23_352
; %bb.343:
	;; [unrolled: 5-line block ×5, first 2 shown]
	v_mov_b32_e32 v67, 2
	s_mov_b32 s11, exec_lo
	v_cmpx_nle_f32_e64 0x3f400000, |v66|
; %bb.347:
	v_cmp_le_f32_e64 s12, 0x3e800000, |v66|
	s_delay_alu instid0(VALU_DEP_1)
	v_cndmask_b32_e64 v67, 0, 1, s12
; %bb.348:
	s_or_b32 exec_lo, exec_lo, s11
.LBB23_349:
	s_delay_alu instid0(SALU_CYCLE_1)
	s_or_b32 exec_lo, exec_lo, s10
.LBB23_350:
	s_delay_alu instid0(SALU_CYCLE_1)
	s_or_b32 exec_lo, exec_lo, s9
.LBB23_351:
	s_delay_alu instid0(SALU_CYCLE_1)
	s_or_b32 exec_lo, exec_lo, s6
.LBB23_352:
	s_delay_alu instid0(SALU_CYCLE_1)
	s_or_b32 exec_lo, exec_lo, s3
.LBB23_353:
	s_delay_alu instid0(SALU_CYCLE_1) | instskip(SKIP_2) | instid1(VALU_DEP_1)
	s_or_b32 exec_lo, exec_lo, s2
	v_mul_f32_e32 v20, v4, v20
	s_mov_b32 s2, exec_lo
	v_cmpx_nle_f32_e64 0x40a00000, |v20|
	s_cbranch_execz .LBB23_365
; %bb.354:
	v_mov_b32_e32 v24, 6
	s_mov_b32 s3, exec_lo
	v_cmpx_nle_f32_e64 0x40600000, |v20|
	s_cbranch_execz .LBB23_364
; %bb.355:
	v_mov_b32_e32 v24, 5
	;; [unrolled: 5-line block ×5, first 2 shown]
	s_mov_b32 s11, exec_lo
	v_cmpx_nle_f32_e64 0x3f400000, |v20|
; %bb.359:
	v_cmp_le_f32_e64 s12, 0x3e800000, |v20|
	s_delay_alu instid0(VALU_DEP_1)
	v_cndmask_b32_e64 v24, 0, 1, s12
; %bb.360:
	s_or_b32 exec_lo, exec_lo, s11
.LBB23_361:
	s_delay_alu instid0(SALU_CYCLE_1)
	s_or_b32 exec_lo, exec_lo, s10
.LBB23_362:
	s_delay_alu instid0(SALU_CYCLE_1)
	s_or_b32 exec_lo, exec_lo, s9
.LBB23_363:
	s_delay_alu instid0(SALU_CYCLE_1)
	s_or_b32 exec_lo, exec_lo, s6
.LBB23_364:
	s_delay_alu instid0(SALU_CYCLE_1)
	s_or_b32 exec_lo, exec_lo, s3
.LBB23_365:
	s_delay_alu instid0(SALU_CYCLE_1) | instskip(SKIP_3) | instid1(VALU_DEP_2)
	s_or_b32 exec_lo, exec_lo, s2
	v_dual_mul_f32 v69, v4, v18 :: v_dual_mov_b32 v18, 7
	v_mov_b32_e32 v70, 7
	s_mov_b32 s2, exec_lo
	v_cmpx_nle_f32_e64 0x40a00000, |v69|
	s_cbranch_execz .LBB23_377
; %bb.366:
	v_mov_b32_e32 v70, 6
	s_mov_b32 s3, exec_lo
	v_cmpx_nle_f32_e64 0x40600000, |v69|
	s_cbranch_execz .LBB23_376
; %bb.367:
	v_mov_b32_e32 v70, 5
	s_mov_b32 s6, exec_lo
	v_cmpx_nle_f32_e64 0x40200000, |v69|
	s_cbranch_execz .LBB23_375
; %bb.368:
	v_mov_b32_e32 v70, 4
	s_mov_b32 s9, exec_lo
	v_cmpx_nle_f32_e64 0x3fe00000, |v69|
	s_cbranch_execz .LBB23_374
; %bb.369:
	v_mov_b32_e32 v70, 3
	s_mov_b32 s10, exec_lo
	v_cmpx_nle_f32_e64 0x3fa00000, |v69|
	s_cbranch_execz .LBB23_373
; %bb.370:
	v_mov_b32_e32 v70, 2
	s_mov_b32 s11, exec_lo
	v_cmpx_nle_f32_e64 0x3f400000, |v69|
; %bb.371:
	v_cmp_le_f32_e64 s12, 0x3e800000, |v69|
	s_delay_alu instid0(VALU_DEP_1)
	v_cndmask_b32_e64 v70, 0, 1, s12
; %bb.372:
	s_or_b32 exec_lo, exec_lo, s11
.LBB23_373:
	s_delay_alu instid0(SALU_CYCLE_1)
	s_or_b32 exec_lo, exec_lo, s10
.LBB23_374:
	s_delay_alu instid0(SALU_CYCLE_1)
	s_or_b32 exec_lo, exec_lo, s9
.LBB23_375:
	s_delay_alu instid0(SALU_CYCLE_1)
	s_or_b32 exec_lo, exec_lo, s6
.LBB23_376:
	s_delay_alu instid0(SALU_CYCLE_1)
	s_or_b32 exec_lo, exec_lo, s3
.LBB23_377:
	s_delay_alu instid0(SALU_CYCLE_1) | instskip(SKIP_2) | instid1(VALU_DEP_1)
	s_or_b32 exec_lo, exec_lo, s2
	v_mul_f32_e32 v68, v4, v3
	s_mov_b32 s2, exec_lo
	v_cmpx_nle_f32_e64 0x40a00000, |v68|
	s_cbranch_execz .LBB23_389
; %bb.378:
	v_mov_b32_e32 v18, 6
	s_mov_b32 s3, exec_lo
	v_cmpx_nle_f32_e64 0x40600000, |v68|
	s_cbranch_execz .LBB23_388
; %bb.379:
	v_mov_b32_e32 v18, 5
	s_mov_b32 s6, exec_lo
	v_cmpx_nle_f32_e64 0x40200000, |v68|
	s_cbranch_execz .LBB23_387
; %bb.380:
	v_mov_b32_e32 v18, 4
	s_mov_b32 s9, exec_lo
	v_cmpx_nle_f32_e64 0x3fe00000, |v68|
	s_cbranch_execz .LBB23_386
; %bb.381:
	v_mov_b32_e32 v18, 3
	s_mov_b32 s10, exec_lo
	v_cmpx_nle_f32_e64 0x3fa00000, |v68|
	s_cbranch_execz .LBB23_385
; %bb.382:
	v_mov_b32_e32 v18, 2
	s_mov_b32 s11, exec_lo
	v_cmpx_nle_f32_e64 0x3f400000, |v68|
; %bb.383:
	v_cmp_le_f32_e64 s12, 0x3e800000, |v68|
	s_delay_alu instid0(VALU_DEP_1)
	v_cndmask_b32_e64 v18, 0, 1, s12
; %bb.384:
	s_or_b32 exec_lo, exec_lo, s11
.LBB23_385:
	s_delay_alu instid0(SALU_CYCLE_1)
	s_or_b32 exec_lo, exec_lo, s10
.LBB23_386:
	s_delay_alu instid0(SALU_CYCLE_1)
	s_or_b32 exec_lo, exec_lo, s9
.LBB23_387:
	s_delay_alu instid0(SALU_CYCLE_1)
	s_or_b32 exec_lo, exec_lo, s6
.LBB23_388:
	s_delay_alu instid0(SALU_CYCLE_1)
	s_or_b32 exec_lo, exec_lo, s3
.LBB23_389:
	s_delay_alu instid0(SALU_CYCLE_1)
	s_or_b32 exec_lo, exec_lo, s2
	s_load_b64 s[2:3], s[0:1], 0x8
	v_lshrrev_b32_e32 v3, 2, v5
	s_bitcmp1_b32 s7, 0
	v_and_b32_e32 v71, 3, v5
	s_cselect_b32 s6, -1, 0
	s_lshr_b32 s9, s4, 31
	v_lshlrev_b32_e32 v72, 10, v3
	s_xor_b32 s6, s6, -1
	s_add_i32 s4, s4, s9
	s_mov_b32 s7, -1
	s_and_b32 vcc_lo, exec_lo, s6
	s_ashr_i32 s4, s4, 1
	s_cbranch_vccz .LBB23_391
; %bb.390:
	v_dual_mov_b32 v4, 0 :: v_dual_lshlrev_b32 v3, 4, v0
	v_and_b32_e32 v75, -16, v0
	s_ashr_i32 s7, s4, 31
	v_mul_lo_u32 v1, v1, s4
	s_delay_alu instid0(VALU_DEP_3) | instskip(NEXT) | instid1(VALU_DEP_3)
	v_and_b32_e32 v3, 0xf0, v3
	v_mul_lo_u32 v76, v75, s7
	s_delay_alu instid0(VALU_DEP_2) | instskip(SKIP_1) | instid1(VALU_DEP_2)
	v_mad_u64_u32 v[73:74], null, v75, s4, v[3:4]
	v_lshlrev_b32_e32 v3, 8, v71
	v_add3_u32 v1, v1, v74, v76
	s_delay_alu instid0(VALU_DEP_3) | instskip(NEXT) | instid1(VALU_DEP_2)
	v_add_co_u32 v4, vcc_lo, v73, v72
	v_add_co_ci_u32_e32 v1, vcc_lo, 0, v1, vcc_lo
	s_delay_alu instid0(VALU_DEP_2) | instskip(NEXT) | instid1(VALU_DEP_2)
	v_add_co_u32 v3, vcc_lo, v4, v3
	v_add_co_ci_u32_e32 v4, vcc_lo, 0, v1, vcc_lo
	s_cbranch_execz .LBB23_392
	s_branch .LBB23_393
.LBB23_391:
                                        ; implicit-def: $vgpr3_vgpr4
	s_and_not1_b32 vcc_lo, exec_lo, s7
	s_cbranch_vccnz .LBB23_393
.LBB23_392:
	s_ashr_i32 s7, s8, 1
	v_sub_nc_u32_e32 v4, 0, v0
	s_abs_i32 s9, s7
	s_ashr_i32 s4, s4, 6
	v_cvt_f32_u32_e32 v1, s9
	s_sub_i32 s10, 0, s9
	v_max_i32_e32 v4, v0, v4
	s_delay_alu instid0(VALU_DEP_2) | instskip(SKIP_2) | instid1(VALU_DEP_1)
	v_rcp_iflag_f32_e32 v1, v1
	s_waitcnt_depctr 0xfff
	v_mul_f32_e32 v1, 0x4f7ffffe, v1
	v_cvt_u32_f32_e32 v1, v1
	s_delay_alu instid0(VALU_DEP_1) | instskip(NEXT) | instid1(VALU_DEP_1)
	v_mul_lo_u32 v3, s10, v1
	v_mul_hi_u32 v3, v1, v3
	s_delay_alu instid0(VALU_DEP_1) | instskip(NEXT) | instid1(VALU_DEP_1)
	v_add_nc_u32_e32 v1, v1, v3
	v_mul_hi_u32 v1, v4, v1
	s_delay_alu instid0(VALU_DEP_1) | instskip(NEXT) | instid1(VALU_DEP_1)
	v_mul_lo_u32 v3, v1, s9
	v_sub_nc_u32_e32 v3, v4, v3
	v_add_nc_u32_e32 v4, 1, v1
	s_delay_alu instid0(VALU_DEP_2) | instskip(SKIP_1) | instid1(VALU_DEP_3)
	v_subrev_nc_u32_e32 v73, s9, v3
	v_cmp_le_u32_e32 vcc_lo, s9, v3
	v_cndmask_b32_e32 v1, v1, v4, vcc_lo
	s_delay_alu instid0(VALU_DEP_3) | instskip(SKIP_1) | instid1(VALU_DEP_3)
	v_cndmask_b32_e32 v3, v3, v73, vcc_lo
	v_xor_b32_e32 v4, s7, v0
	v_add_nc_u32_e32 v73, 1, v1
	s_delay_alu instid0(VALU_DEP_3) | instskip(NEXT) | instid1(VALU_DEP_3)
	v_cmp_le_u32_e32 vcc_lo, s9, v3
	v_ashrrev_i32_e32 v4, 31, v4
	v_lshl_or_b32 v3, v71, 8, v72
	s_delay_alu instid0(VALU_DEP_4) | instskip(NEXT) | instid1(VALU_DEP_1)
	v_cndmask_b32_e32 v1, v1, v73, vcc_lo
	v_xor_b32_e32 v1, v1, v4
	s_delay_alu instid0(VALU_DEP_1) | instskip(SKIP_1) | instid1(VALU_DEP_2)
	v_sub_nc_u32_e32 v1, v1, v4
	v_mov_b32_e32 v4, 0
	v_mul_lo_u32 v73, v1, s7
	s_lshl_b32 s7, s4, 10
	s_lshl_b32 s4, s4, 11
	s_delay_alu instid0(VALU_DEP_2) | instskip(NEXT) | instid1(VALU_DEP_2)
	v_mad_i64_i32 v[71:72], null, v1, s7, v[3:4]
	v_sub_nc_u32_e32 v73, v0, v73
	s_delay_alu instid0(VALU_DEP_1) | instskip(NEXT) | instid1(VALU_DEP_1)
	v_ashrrev_i32_e32 v1, 4, v73
	v_mad_i64_i32 v[3:4], null, v1, s4, v[71:72]
	v_lshlrev_b32_e32 v1, 4, v73
	s_delay_alu instid0(VALU_DEP_1)
	v_and_or_b32 v3, 0xf0, v1, v3
.LBB23_393:
	v_cmp_gt_f32_e32 vcc_lo, 0, v69
	v_lshlrev_b16 v9, 4, v9
	v_lshlrev_b16 v18, 4, v18
	;; [unrolled: 1-line block ×3, first 2 shown]
	s_load_b64 s[0:1], s[0:1], 0x10
	v_cndmask_b32_e64 v1, 0, 1, vcc_lo
	v_cmp_gt_f32_e32 vcc_lo, 0, v66
	s_delay_alu instid0(VALU_DEP_2) | instskip(SKIP_2) | instid1(VALU_DEP_3)
	v_lshlrev_b16 v1, 3, v1
	v_cndmask_b32_e64 v66, 0, 1, vcc_lo
	v_cmp_gt_f32_e32 vcc_lo, 0, v65
	v_or_b32_e32 v1, v1, v70
	s_delay_alu instid0(VALU_DEP_3) | instskip(SKIP_2) | instid1(VALU_DEP_3)
	v_lshlrev_b16 v66, 3, v66
	v_cndmask_b32_e64 v65, 0, 1, vcc_lo
	v_cmp_gt_f32_e32 vcc_lo, 0, v63
	v_or_b32_e32 v66, v66, v67
	s_delay_alu instid0(VALU_DEP_3) | instskip(SKIP_2) | instid1(VALU_DEP_3)
	;; [unrolled: 5-line block ×12, first 2 shown]
	v_lshlrev_b16 v23, 3, v23
	v_cndmask_b32_e64 v17, 0, 1, vcc_lo
	v_cmp_gt_f32_e32 vcc_lo, 0, v7
	v_or_b32_e32 v22, v23, v22
	s_delay_alu instid0(VALU_DEP_3) | instskip(SKIP_2) | instid1(VALU_DEP_2)
	v_lshlrev_b16 v17, 3, v17
	v_cndmask_b32_e64 v7, 0, 1, vcc_lo
	v_cmp_gt_f32_e32 vcc_lo, 0, v10
	v_lshlrev_b16 v7, 3, v7
	v_cndmask_b32_e64 v10, 0, 1, vcc_lo
	v_cmp_gt_f32_e32 vcc_lo, 0, v12
	s_delay_alu instid0(VALU_DEP_3) | instskip(NEXT) | instid1(VALU_DEP_3)
	v_or_b32_e32 v7, v7, v8
	v_lshlrev_b16 v10, 7, v10
	v_cndmask_b32_e64 v12, 0, 1, vcc_lo
	v_cmp_gt_f32_e32 vcc_lo, 0, v14
	v_lshlrev_b16 v14, 4, v21
	v_lshlrev_b16 v21, 4, v53
	v_or_b32_e32 v8, v10, v9
	v_lshlrev_b16 v12, 3, v12
	v_cndmask_b32_e64 v9, 0, 1, vcc_lo
	v_cmp_gt_f32_e32 vcc_lo, 0, v19
	v_or_b32_e32 v10, v17, v16
	v_or_b32_e32 v7, v8, v7
	v_lshlrev_b16 v8, 4, v11
	v_or_b32_e32 v12, v12, v13
	v_cndmask_b32_e64 v11, 0, 1, vcc_lo
	v_cmp_gt_f32_e32 vcc_lo, 0, v25
	v_lshlrev_b16 v9, 7, v9
	v_lshlrev_b16 v16, 4, v39
	;; [unrolled: 1-line block ×4, first 2 shown]
	v_cndmask_b32_e64 v13, 0, 1, vcc_lo
	v_cmp_gt_f32_e32 vcc_lo, 0, v31
	v_or_b32_e32 v8, v9, v8
	v_lshlrev_b16 v9, 4, v15
	s_delay_alu instid0(VALU_DEP_4) | instskip(SKIP_2) | instid1(VALU_DEP_4)
	v_lshlrev_b16 v13, 7, v13
	v_cndmask_b32_e64 v15, 0, 1, vcc_lo
	v_cmp_gt_f32_e32 vcc_lo, 0, v36
	v_or_b32_e32 v9, v11, v9
	v_or_b32_e32 v8, v8, v12
	v_or_b32_e32 v11, v13, v14
	v_lshlrev_b16 v12, 4, v27
	v_cndmask_b32_e64 v14, 0, 1, vcc_lo
	v_cmp_gt_f32_e32 vcc_lo, 0, v41
	v_lshlrev_b16 v13, 7, v15
	v_or_b32_e32 v9, v9, v10
	v_or_b32_e32 v10, v11, v22
	v_lshlrev_b16 v14, 7, v14
	v_cndmask_b32_e64 v15, 0, 1, vcc_lo
	v_or_b32_e32 v12, v13, v12
	v_lshlrev_b16 v13, 4, v33
	v_cmp_gt_f32_e32 vcc_lo, 0, v46
	v_lshlrev_b16 v22, 4, v34
	v_lshlrev_b16 v15, 7, v15
	v_or_b32_e32 v11, v12, v29
	v_or_b32_e32 v12, v14, v13
	v_lshlrev_b16 v14, 4, v45
	v_lshlrev_b16 v8, 8, v8
	v_or_b32_e32 v13, v15, v16
	v_cndmask_b32_e64 v15, 0, 1, vcc_lo
	v_cmp_gt_f32_e32 vcc_lo, 0, v52
	v_or_b32_e32 v12, v12, v35
	v_lshlrev_b16 v10, 8, v10
	v_or_b32_e32 v13, v13, v42
	v_lshlrev_b16 v15, 7, v15
	v_cndmask_b32_e64 v16, 0, 1, vcc_lo
	v_cmp_gt_f32_e32 vcc_lo, 0, v50
	v_lshlrev_b16 v12, 8, v12
	v_or_b32_e32 v7, v7, v8
	v_or_b32_e32 v14, v15, v14
	v_lshlrev_b16 v16, 7, v16
	v_cndmask_b32_e64 v17, 0, 1, vcc_lo
	v_cmp_gt_f32_e32 vcc_lo, 0, v44
	v_or_b32_e32 v11, v11, v12
	v_or_b32_e32 v14, v14, v48
	;; [unrolled: 1-line block ×3, first 2 shown]
	v_lshlrev_b16 v17, 7, v17
	v_lshlrev_b16 v19, 4, v47
	v_or_b32_e32 v8, v9, v10
	v_lshlrev_b16 v14, 8, v14
	v_or_b32_e32 v15, v15, v54
	v_or_b32_e32 v16, v17, v21
	v_cndmask_b32_e64 v17, 0, 1, vcc_lo
	v_cmp_gt_f32_e32 vcc_lo, 0, v26
	v_lshlrev_b16 v26, 4, v28
	v_lshlrev_b16 v21, 4, v40
	v_or_b32_e32 v16, v16, v56
	v_lshlrev_b16 v17, 7, v17
	v_cndmask_b32_e64 v23, 0, 1, vcc_lo
	v_cmp_gt_f32_e32 vcc_lo, 0, v32
	v_or_b32_e32 v12, v13, v14
	v_lshlrev_b16 v16, 8, v16
	v_or_b32_e32 v17, v17, v19
	v_lshlrev_b16 v23, 7, v23
	v_cndmask_b32_e64 v25, 0, 1, vcc_lo
	v_cmp_gt_f32_e32 vcc_lo, 0, v68
	v_or_b32_e32 v15, v15, v16
	v_or_b32_e32 v17, v17, v58
	v_or_b32_e32 v23, v23, v26
	v_lshlrev_b16 v25, 7, v25
	v_cndmask_b32_e64 v27, 0, 1, vcc_lo
	v_cmp_gt_f32_e32 vcc_lo, 0, v20
	v_and_b32_e32 v15, 0xffff, v15
	v_or_b32_e32 v23, v23, v64
	v_or_b32_e32 v22, v25, v22
	v_lshlrev_b16 v27, 7, v27
	v_cndmask_b32_e64 v20, 0, 1, vcc_lo
	v_cmp_gt_f32_e32 vcc_lo, 0, v38
	v_lshlrev_b16 v23, 8, v23
	v_or_b32_e32 v22, v22, v62
	v_or_b32_e32 v18, v27, v18
	v_lshlrev_b16 v20, 7, v20
	v_cndmask_b32_e64 v26, 0, 1, vcc_lo
	v_and_b32_e32 v11, 0xffff, v11
	v_or_b32_e32 v19, v22, v23
	v_or_b32_e32 v1, v18, v1
	;; [unrolled: 1-line block ×3, first 2 shown]
	v_lshlrev_b16 v18, 7, v26
	v_lshlrev_b32_e32 v12, 16, v12
	v_and_b32_e32 v7, 0xffff, v7
	v_lshlrev_b16 v1, 8, v1
	v_or_b32_e32 v20, v20, v66
	v_or_b32_e32 v18, v18, v21
	v_lshlrev_b32_e32 v13, 16, v8
	s_waitcnt lgkmcnt(0)
	v_add_co_u32 v3, vcc_lo, s2, v3
	v_or_b32_e32 v1, v20, v1
	v_or_b32_e32 v16, v18, v60
	v_and_b32_e32 v18, 0xffff, v19
	v_or_b32_e32 v8, v11, v12
	v_or_b32_e32 v7, v7, v13
	v_lshlrev_b32_e32 v1, 16, v1
	v_lshlrev_b16 v16, 8, v16
	v_add_co_ci_u32_e32 v4, vcc_lo, s3, v4, vcc_lo
	s_mov_b32 s2, 0
	s_delay_alu instid0(VALU_DEP_3) | instskip(NEXT) | instid1(VALU_DEP_3)
	v_or_b32_e32 v10, v18, v1
	v_or_b32_e32 v16, v17, v16
	s_and_b32 vcc_lo, exec_lo, s6
	s_delay_alu instid0(VALU_DEP_1) | instskip(NEXT) | instid1(VALU_DEP_1)
	v_lshlrev_b32_e32 v9, 16, v16
	v_or_b32_e32 v9, v15, v9
	global_store_b128 v[3:4], v[7:10], off
	s_cbranch_vccz .LBB23_395
; %bb.394:
	v_ashrrev_i32_e32 v1, 31, v0
	s_delay_alu instid0(VALU_DEP_1) | instskip(NEXT) | instid1(VALU_DEP_1)
	v_lshrrev_b32_e32 v1, 27, v1
	v_add_nc_u32_e32 v1, v0, v1
	s_delay_alu instid0(VALU_DEP_1) | instskip(NEXT) | instid1(VALU_DEP_1)
	v_and_b32_e32 v3, 0xffe0, v1
	v_sub_nc_u32_e32 v3, v0, v3
	s_delay_alu instid0(VALU_DEP_1) | instskip(NEXT) | instid1(VALU_DEP_1)
	v_bfe_i32 v4, v3, 0, 8
	v_lshrrev_b16 v4, 11, v4
	s_delay_alu instid0(VALU_DEP_1) | instskip(NEXT) | instid1(VALU_DEP_1)
	v_and_b32_e32 v4, 15, v4
	v_add_nc_u16 v3, v3, v4
	s_delay_alu instid0(VALU_DEP_1) | instskip(NEXT) | instid1(VALU_DEP_1)
	v_bfe_i32 v3, v3, 0, 8
	v_ashrrev_i16 v4, 4, v3
	v_ashrrev_i32_e32 v3, 5, v1
	s_delay_alu instid0(VALU_DEP_2)
	v_bfe_i32 v1, v4, 0, 16
	s_and_not1_b32 vcc_lo, exec_lo, s2
	s_cbranch_vccz .LBB23_396
	s_branch .LBB23_397
.LBB23_395:
                                        ; implicit-def: $vgpr3
                                        ; implicit-def: $vgpr1
.LBB23_396:
	s_lshr_b32 s2, s8, 31
	v_sub_nc_u32_e32 v4, 0, v0
	s_add_i32 s2, s8, s2
	s_delay_alu instid0(SALU_CYCLE_1) | instskip(NEXT) | instid1(VALU_DEP_1)
	s_ashr_i32 s2, s2, 1
	v_max_i32_e32 v4, v0, v4
	s_abs_i32 s3, s2
	s_delay_alu instid0(SALU_CYCLE_1) | instskip(SKIP_1) | instid1(VALU_DEP_1)
	v_cvt_f32_u32_e32 v1, s3
	s_sub_i32 s4, 0, s3
	v_rcp_iflag_f32_e32 v1, v1
	s_waitcnt_depctr 0xfff
	v_mul_f32_e32 v1, 0x4f7ffffe, v1
	s_delay_alu instid0(VALU_DEP_1) | instskip(NEXT) | instid1(VALU_DEP_1)
	v_cvt_u32_f32_e32 v1, v1
	v_mul_lo_u32 v3, s4, v1
	s_delay_alu instid0(VALU_DEP_1) | instskip(NEXT) | instid1(VALU_DEP_1)
	v_mul_hi_u32 v3, v1, v3
	v_add_nc_u32_e32 v1, v1, v3
	s_delay_alu instid0(VALU_DEP_1) | instskip(NEXT) | instid1(VALU_DEP_1)
	v_mul_hi_u32 v1, v4, v1
	v_mul_lo_u32 v3, v1, s3
	s_delay_alu instid0(VALU_DEP_1) | instskip(NEXT) | instid1(VALU_DEP_1)
	v_sub_nc_u32_e32 v3, v4, v3
	v_subrev_nc_u32_e32 v7, s3, v3
	v_cmp_le_u32_e32 vcc_lo, s3, v3
	s_delay_alu instid0(VALU_DEP_2) | instskip(NEXT) | instid1(VALU_DEP_1)
	v_dual_cndmask_b32 v3, v3, v7 :: v_dual_add_nc_u32 v4, 1, v1
	v_cndmask_b32_e32 v1, v1, v4, vcc_lo
	v_xor_b32_e32 v4, s2, v0
	s_delay_alu instid0(VALU_DEP_3) | instskip(NEXT) | instid1(VALU_DEP_3)
	v_cmp_le_u32_e32 vcc_lo, s3, v3
	v_add_nc_u32_e32 v7, 1, v1
	s_delay_alu instid0(VALU_DEP_3) | instskip(NEXT) | instid1(VALU_DEP_2)
	v_ashrrev_i32_e32 v4, 31, v4
	v_cndmask_b32_e32 v1, v1, v7, vcc_lo
	s_delay_alu instid0(VALU_DEP_1) | instskip(NEXT) | instid1(VALU_DEP_1)
	v_xor_b32_e32 v1, v1, v4
	v_sub_nc_u32_e32 v1, v1, v4
	s_delay_alu instid0(VALU_DEP_1) | instskip(NEXT) | instid1(VALU_DEP_1)
	v_mul_lo_u32 v3, v1, s2
	v_sub_nc_u32_e32 v0, v0, v3
	s_delay_alu instid0(VALU_DEP_1) | instskip(NEXT) | instid1(VALU_DEP_1)
	v_ashrrev_i32_e32 v3, 31, v0
	v_lshrrev_b32_e32 v3, 28, v3
	s_delay_alu instid0(VALU_DEP_1) | instskip(NEXT) | instid1(VALU_DEP_1)
	v_add_nc_u32_e32 v3, v0, v3
	v_ashrrev_i32_e32 v3, 4, v3
.LBB23_397:
	v_ashrrev_i32_e32 v4, 31, v0
	v_lshlrev_b32_e32 v7, 6, v5
	v_lshrrev_b32_e32 v5, 1, v5
	v_and_b32_e32 v2, 0x7fffff00, v2
	s_lshl_b32 s2, s5, 5
	v_lshrrev_b32_e32 v4, 28, v4
	v_and_b32_e32 v7, 0xc0, v7
	v_and_b32_e32 v5, 2, v5
	s_and_b32 s2, s2, 0x7fffff00
	s_delay_alu instid0(SALU_CYCLE_1) | instskip(SKIP_1) | instid1(VALU_DEP_3)
	v_mul_lo_u32 v3, v3, s2
	v_add_nc_u32_e32 v4, v0, v4
	v_or3_b32 v2, v7, v2, v5
	s_delay_alu instid0(VALU_DEP_2) | instskip(NEXT) | instid1(VALU_DEP_2)
	v_and_b32_e32 v4, 0x3ffffff0, v4
	v_add_nc_u32_e32 v1, v2, v1
	v_lshrrev_b32_e32 v2, 23, v6
	s_delay_alu instid0(VALU_DEP_3) | instskip(NEXT) | instid1(VALU_DEP_1)
	v_sub_nc_u32_e32 v0, v0, v4
	v_lshlrev_b32_e32 v0, 2, v0
	s_delay_alu instid0(VALU_DEP_1) | instskip(NEXT) | instid1(VALU_DEP_1)
	v_add3_u32 v0, v1, v0, v3
	v_ashrrev_i32_e32 v1, 31, v0
	v_add_co_u32 v0, vcc_lo, s0, v0
	s_delay_alu instid0(VALU_DEP_2)
	v_add_co_ci_u32_e32 v1, vcc_lo, s1, v1, vcc_lo
	global_store_b8 v[0:1], v2, off
.LBB23_398:
	s_nop 0
	s_sendmsg sendmsg(MSG_DEALLOC_VGPRS)
	s_endpgm
	.section	.rodata,"a",@progbits
	.p2align	6, 0x0
	.amdhsa_kernel _ZN5aiter18quant_mxfp4_kernelI12hip_bfloat16LNS_16MxScaleRoundModeE0ELb0ELb1ELb1EEEvPKT_PhPfliiib
		.amdhsa_group_segment_fixed_size 0
		.amdhsa_private_segment_fixed_size 0
		.amdhsa_kernarg_size 304
		.amdhsa_user_sgpr_count 15
		.amdhsa_user_sgpr_dispatch_ptr 0
		.amdhsa_user_sgpr_queue_ptr 0
		.amdhsa_user_sgpr_kernarg_segment_ptr 1
		.amdhsa_user_sgpr_dispatch_id 0
		.amdhsa_user_sgpr_private_segment_size 0
		.amdhsa_wavefront_size32 1
		.amdhsa_uses_dynamic_stack 0
		.amdhsa_enable_private_segment 0
		.amdhsa_system_sgpr_workgroup_id_x 1
		.amdhsa_system_sgpr_workgroup_id_y 0
		.amdhsa_system_sgpr_workgroup_id_z 0
		.amdhsa_system_sgpr_workgroup_info 0
		.amdhsa_system_vgpr_workitem_id 0
		.amdhsa_next_free_vgpr 77
		.amdhsa_next_free_sgpr 16
		.amdhsa_reserve_vcc 1
		.amdhsa_float_round_mode_32 0
		.amdhsa_float_round_mode_16_64 0
		.amdhsa_float_denorm_mode_32 3
		.amdhsa_float_denorm_mode_16_64 3
		.amdhsa_dx10_clamp 1
		.amdhsa_ieee_mode 1
		.amdhsa_fp16_overflow 0
		.amdhsa_workgroup_processor_mode 1
		.amdhsa_memory_ordered 1
		.amdhsa_forward_progress 0
		.amdhsa_shared_vgpr_count 0
		.amdhsa_exception_fp_ieee_invalid_op 0
		.amdhsa_exception_fp_denorm_src 0
		.amdhsa_exception_fp_ieee_div_zero 0
		.amdhsa_exception_fp_ieee_overflow 0
		.amdhsa_exception_fp_ieee_underflow 0
		.amdhsa_exception_fp_ieee_inexact 0
		.amdhsa_exception_int_div_zero 0
	.end_amdhsa_kernel
	.section	.text._ZN5aiter18quant_mxfp4_kernelI12hip_bfloat16LNS_16MxScaleRoundModeE0ELb0ELb1ELb1EEEvPKT_PhPfliiib,"axG",@progbits,_ZN5aiter18quant_mxfp4_kernelI12hip_bfloat16LNS_16MxScaleRoundModeE0ELb0ELb1ELb1EEEvPKT_PhPfliiib,comdat
.Lfunc_end23:
	.size	_ZN5aiter18quant_mxfp4_kernelI12hip_bfloat16LNS_16MxScaleRoundModeE0ELb0ELb1ELb1EEEvPKT_PhPfliiib, .Lfunc_end23-_ZN5aiter18quant_mxfp4_kernelI12hip_bfloat16LNS_16MxScaleRoundModeE0ELb0ELb1ELb1EEEvPKT_PhPfliiib
                                        ; -- End function
	.section	.AMDGPU.csdata,"",@progbits
; Kernel info:
; codeLenInByte = 10688
; NumSgprs: 18
; NumVgprs: 77
; ScratchSize: 0
; MemoryBound: 0
; FloatMode: 240
; IeeeMode: 1
; LDSByteSize: 0 bytes/workgroup (compile time only)
; SGPRBlocks: 2
; VGPRBlocks: 9
; NumSGPRsForWavesPerEU: 18
; NumVGPRsForWavesPerEU: 77
; Occupancy: 16
; WaveLimiterHint : 0
; COMPUTE_PGM_RSRC2:SCRATCH_EN: 0
; COMPUTE_PGM_RSRC2:USER_SGPR: 15
; COMPUTE_PGM_RSRC2:TRAP_HANDLER: 0
; COMPUTE_PGM_RSRC2:TGID_X_EN: 1
; COMPUTE_PGM_RSRC2:TGID_Y_EN: 0
; COMPUTE_PGM_RSRC2:TGID_Z_EN: 0
; COMPUTE_PGM_RSRC2:TIDIG_COMP_CNT: 0
	.section	.text._ZN5aiter18quant_mxfp4_kernelI12hip_bfloat16LNS_16MxScaleRoundModeE0ELb0ELb1ELb0EEEvPKT_PhPfliiib,"axG",@progbits,_ZN5aiter18quant_mxfp4_kernelI12hip_bfloat16LNS_16MxScaleRoundModeE0ELb0ELb1ELb0EEEvPKT_PhPfliiib,comdat
	.protected	_ZN5aiter18quant_mxfp4_kernelI12hip_bfloat16LNS_16MxScaleRoundModeE0ELb0ELb1ELb0EEEvPKT_PhPfliiib ; -- Begin function _ZN5aiter18quant_mxfp4_kernelI12hip_bfloat16LNS_16MxScaleRoundModeE0ELb0ELb1ELb0EEEvPKT_PhPfliiib
	.globl	_ZN5aiter18quant_mxfp4_kernelI12hip_bfloat16LNS_16MxScaleRoundModeE0ELb0ELb1ELb0EEEvPKT_PhPfliiib
	.p2align	8
	.type	_ZN5aiter18quant_mxfp4_kernelI12hip_bfloat16LNS_16MxScaleRoundModeE0ELb0ELb1ELb0EEEvPKT_PhPfliiib,@function
_ZN5aiter18quant_mxfp4_kernelI12hip_bfloat16LNS_16MxScaleRoundModeE0ELb0ELb1ELb0EEEvPKT_PhPfliiib: ; @_ZN5aiter18quant_mxfp4_kernelI12hip_bfloat16LNS_16MxScaleRoundModeE0ELb0ELb1ELb0EEEvPKT_PhPfliiib
; %bb.0:
	s_clause 0x1
	s_load_b32 s2, s[0:1], 0x3c
	s_load_b128 s[4:7], s[0:1], 0x20
	v_mov_b32_e32 v1, 0
	s_delay_alu instid0(VALU_DEP_1)
	v_mov_b32_e32 v4, v1
	s_waitcnt lgkmcnt(0)
	s_and_b32 s2, s2, 0xffff
	s_mov_b32 s3, s6
	v_mad_u64_u32 v[2:3], null, s2, s15, v[0:1]
	s_ashr_i32 s2, s6, 31
	s_mov_b32 s6, exec_lo
                                        ; implicit-def: $vgpr0_vgpr1
	s_delay_alu instid0(VALU_DEP_1) | instskip(NEXT) | instid1(VALU_DEP_1)
	v_or_b32_e32 v5, s2, v3
	v_cmpx_ne_u64_e32 0, v[4:5]
	s_xor_b32 s6, exec_lo, s6
	s_cbranch_execz .LBB24_2
; %bb.1:
	s_add_u32 s10, s3, s2
	s_mov_b32 s8, s2
	s_mov_b32 s9, s2
	s_addc_u32 s11, s2, s2
	s_delay_alu instid0(SALU_CYCLE_1) | instskip(NEXT) | instid1(SALU_CYCLE_1)
	s_xor_b64 s[10:11], s[10:11], s[8:9]
	v_cvt_f32_u32_e32 v0, s10
	v_cvt_f32_u32_e32 v1, s11
	s_sub_u32 s2, 0, s10
	s_subb_u32 s12, 0, s11
	s_delay_alu instid0(VALU_DEP_1) | instskip(NEXT) | instid1(VALU_DEP_1)
	v_fmamk_f32 v0, v1, 0x4f800000, v0
	v_rcp_f32_e32 v0, v0
	s_waitcnt_depctr 0xfff
	v_mul_f32_e32 v0, 0x5f7ffffc, v0
	s_delay_alu instid0(VALU_DEP_1) | instskip(NEXT) | instid1(VALU_DEP_1)
	v_mul_f32_e32 v1, 0x2f800000, v0
	v_trunc_f32_e32 v1, v1
	s_delay_alu instid0(VALU_DEP_1) | instskip(SKIP_1) | instid1(VALU_DEP_2)
	v_fmamk_f32 v0, v1, 0xcf800000, v0
	v_cvt_u32_f32_e32 v1, v1
	v_cvt_u32_f32_e32 v0, v0
	s_delay_alu instid0(VALU_DEP_2) | instskip(NEXT) | instid1(VALU_DEP_2)
	v_mul_lo_u32 v4, s2, v1
	v_mul_hi_u32 v5, s2, v0
	v_mul_lo_u32 v6, s12, v0
	s_delay_alu instid0(VALU_DEP_2) | instskip(SKIP_1) | instid1(VALU_DEP_2)
	v_add_nc_u32_e32 v4, v5, v4
	v_mul_lo_u32 v5, s2, v0
	v_add_nc_u32_e32 v4, v4, v6
	s_delay_alu instid0(VALU_DEP_2) | instskip(NEXT) | instid1(VALU_DEP_2)
	v_mul_hi_u32 v6, v0, v5
	v_mul_lo_u32 v7, v0, v4
	v_mul_hi_u32 v8, v0, v4
	v_mul_hi_u32 v9, v1, v5
	v_mul_lo_u32 v5, v1, v5
	v_mul_hi_u32 v10, v1, v4
	v_mul_lo_u32 v4, v1, v4
	v_add_co_u32 v6, vcc_lo, v6, v7
	v_add_co_ci_u32_e32 v7, vcc_lo, 0, v8, vcc_lo
	s_delay_alu instid0(VALU_DEP_2) | instskip(NEXT) | instid1(VALU_DEP_2)
	v_add_co_u32 v5, vcc_lo, v6, v5
	v_add_co_ci_u32_e32 v5, vcc_lo, v7, v9, vcc_lo
	v_add_co_ci_u32_e32 v6, vcc_lo, 0, v10, vcc_lo
	v_ashrrev_i32_e32 v9, 31, v3
	s_delay_alu instid0(VALU_DEP_3) | instskip(NEXT) | instid1(VALU_DEP_3)
	v_add_co_u32 v4, vcc_lo, v5, v4
	v_add_co_ci_u32_e32 v5, vcc_lo, 0, v6, vcc_lo
	s_delay_alu instid0(VALU_DEP_2) | instskip(NEXT) | instid1(VALU_DEP_2)
	v_add_co_u32 v0, vcc_lo, v0, v4
	v_add_co_ci_u32_e32 v1, vcc_lo, v1, v5, vcc_lo
	s_delay_alu instid0(VALU_DEP_2) | instskip(SKIP_1) | instid1(VALU_DEP_3)
	v_mul_hi_u32 v4, s2, v0
	v_mul_lo_u32 v6, s12, v0
	v_mul_lo_u32 v5, s2, v1
	s_delay_alu instid0(VALU_DEP_1) | instskip(SKIP_1) | instid1(VALU_DEP_2)
	v_add_nc_u32_e32 v4, v4, v5
	v_mul_lo_u32 v5, s2, v0
	v_add_nc_u32_e32 v4, v4, v6
	s_delay_alu instid0(VALU_DEP_2) | instskip(NEXT) | instid1(VALU_DEP_2)
	v_mul_hi_u32 v6, v0, v5
	v_mul_lo_u32 v7, v0, v4
	v_mul_hi_u32 v8, v0, v4
	v_mul_hi_u32 v10, v1, v5
	v_mul_lo_u32 v5, v1, v5
	v_mul_hi_u32 v11, v1, v4
	v_mul_lo_u32 v4, v1, v4
	v_add_co_u32 v6, vcc_lo, v6, v7
	v_add_co_ci_u32_e32 v7, vcc_lo, 0, v8, vcc_lo
	s_delay_alu instid0(VALU_DEP_2) | instskip(NEXT) | instid1(VALU_DEP_2)
	v_add_co_u32 v5, vcc_lo, v6, v5
	v_add_co_ci_u32_e32 v5, vcc_lo, v7, v10, vcc_lo
	v_add_co_ci_u32_e32 v6, vcc_lo, 0, v11, vcc_lo
	v_add_co_u32 v7, vcc_lo, v2, v9
	v_add_co_ci_u32_e32 v3, vcc_lo, v3, v9, vcc_lo
	s_delay_alu instid0(VALU_DEP_4) | instskip(NEXT) | instid1(VALU_DEP_4)
	v_add_co_u32 v4, vcc_lo, v5, v4
	v_add_co_ci_u32_e32 v5, vcc_lo, 0, v6, vcc_lo
	s_delay_alu instid0(VALU_DEP_4) | instskip(NEXT) | instid1(VALU_DEP_3)
	v_xor_b32_e32 v7, v7, v9
	v_add_co_u32 v6, vcc_lo, v0, v4
	s_delay_alu instid0(VALU_DEP_3) | instskip(SKIP_1) | instid1(VALU_DEP_3)
	v_add_co_ci_u32_e32 v8, vcc_lo, v1, v5, vcc_lo
	v_xor_b32_e32 v10, v3, v9
	v_mul_hi_u32 v11, v7, v6
	s_delay_alu instid0(VALU_DEP_3) | instskip(NEXT) | instid1(VALU_DEP_3)
	v_mad_u64_u32 v[0:1], null, v7, v8, 0
	v_mad_u64_u32 v[3:4], null, v10, v6, 0
	;; [unrolled: 1-line block ×3, first 2 shown]
	s_delay_alu instid0(VALU_DEP_3) | instskip(NEXT) | instid1(VALU_DEP_4)
	v_add_co_u32 v0, vcc_lo, v11, v0
	v_add_co_ci_u32_e32 v1, vcc_lo, 0, v1, vcc_lo
	s_delay_alu instid0(VALU_DEP_2) | instskip(NEXT) | instid1(VALU_DEP_2)
	v_add_co_u32 v0, vcc_lo, v0, v3
	v_add_co_ci_u32_e32 v0, vcc_lo, v1, v4, vcc_lo
	v_add_co_ci_u32_e32 v1, vcc_lo, 0, v6, vcc_lo
	s_delay_alu instid0(VALU_DEP_2) | instskip(NEXT) | instid1(VALU_DEP_2)
	v_add_co_u32 v3, vcc_lo, v0, v5
	v_add_co_ci_u32_e32 v4, vcc_lo, 0, v1, vcc_lo
	s_delay_alu instid0(VALU_DEP_2) | instskip(SKIP_1) | instid1(VALU_DEP_3)
	v_mul_lo_u32 v5, s11, v3
	v_mad_u64_u32 v[0:1], null, s10, v3, 0
	v_mul_lo_u32 v6, s10, v4
	s_delay_alu instid0(VALU_DEP_2) | instskip(NEXT) | instid1(VALU_DEP_2)
	v_sub_co_u32 v0, vcc_lo, v7, v0
	v_add3_u32 v1, v1, v6, v5
	s_delay_alu instid0(VALU_DEP_1) | instskip(NEXT) | instid1(VALU_DEP_1)
	v_sub_nc_u32_e32 v5, v10, v1
	v_subrev_co_ci_u32_e64 v5, s2, s11, v5, vcc_lo
	v_add_co_u32 v6, s2, v3, 2
	s_delay_alu instid0(VALU_DEP_1) | instskip(SKIP_3) | instid1(VALU_DEP_3)
	v_add_co_ci_u32_e64 v7, s2, 0, v4, s2
	v_sub_co_u32 v8, s2, v0, s10
	v_sub_co_ci_u32_e32 v1, vcc_lo, v10, v1, vcc_lo
	v_subrev_co_ci_u32_e64 v5, s2, 0, v5, s2
	v_cmp_le_u32_e32 vcc_lo, s10, v8
	s_delay_alu instid0(VALU_DEP_3) | instskip(SKIP_1) | instid1(VALU_DEP_4)
	v_cmp_eq_u32_e64 s2, s11, v1
	v_cndmask_b32_e64 v8, 0, -1, vcc_lo
	v_cmp_le_u32_e32 vcc_lo, s11, v5
	v_cndmask_b32_e64 v10, 0, -1, vcc_lo
	v_cmp_le_u32_e32 vcc_lo, s10, v0
	;; [unrolled: 2-line block ×3, first 2 shown]
	v_cndmask_b32_e64 v11, 0, -1, vcc_lo
	v_cmp_eq_u32_e32 vcc_lo, s11, v5
	s_delay_alu instid0(VALU_DEP_2) | instskip(SKIP_3) | instid1(VALU_DEP_3)
	v_cndmask_b32_e64 v0, v11, v0, s2
	v_cndmask_b32_e32 v5, v10, v8, vcc_lo
	v_add_co_u32 v8, vcc_lo, v3, 1
	v_add_co_ci_u32_e32 v10, vcc_lo, 0, v4, vcc_lo
	v_cmp_ne_u32_e32 vcc_lo, 0, v5
	s_delay_alu instid0(VALU_DEP_2) | instskip(NEXT) | instid1(VALU_DEP_4)
	v_cndmask_b32_e32 v1, v10, v7, vcc_lo
	v_cndmask_b32_e32 v5, v8, v6, vcc_lo
	v_cmp_ne_u32_e32 vcc_lo, 0, v0
	v_xor_b32_e32 v0, s8, v9
	s_delay_alu instid0(VALU_DEP_3) | instskip(SKIP_2) | instid1(VALU_DEP_3)
	v_cndmask_b32_e32 v3, v3, v5, vcc_lo
	v_cndmask_b32_e32 v1, v4, v1, vcc_lo
	v_xor_b32_e32 v4, s9, v9
	v_xor_b32_e32 v3, v3, v0
	s_delay_alu instid0(VALU_DEP_2) | instskip(NEXT) | instid1(VALU_DEP_2)
	v_xor_b32_e32 v1, v1, v4
	v_sub_co_u32 v0, vcc_lo, v3, v0
	s_delay_alu instid0(VALU_DEP_2)
	v_sub_co_ci_u32_e32 v1, vcc_lo, v1, v4, vcc_lo
.LBB24_2:
	s_and_not1_saveexec_b32 s2, s6
	s_cbranch_execz .LBB24_4
; %bb.3:
	v_cvt_f32_u32_e32 v0, s3
	s_sub_i32 s6, 0, s3
	s_delay_alu instid0(VALU_DEP_1) | instskip(SKIP_2) | instid1(VALU_DEP_1)
	v_rcp_iflag_f32_e32 v0, v0
	s_waitcnt_depctr 0xfff
	v_mul_f32_e32 v0, 0x4f7ffffe, v0
	v_cvt_u32_f32_e32 v0, v0
	s_delay_alu instid0(VALU_DEP_1) | instskip(NEXT) | instid1(VALU_DEP_1)
	v_mul_lo_u32 v1, s6, v0
	v_mul_hi_u32 v1, v0, v1
	s_delay_alu instid0(VALU_DEP_1) | instskip(NEXT) | instid1(VALU_DEP_1)
	v_add_nc_u32_e32 v0, v0, v1
	v_mul_hi_u32 v0, v2, v0
	s_delay_alu instid0(VALU_DEP_1) | instskip(SKIP_1) | instid1(VALU_DEP_2)
	v_mul_lo_u32 v1, v0, s3
	v_add_nc_u32_e32 v3, 1, v0
	v_sub_nc_u32_e32 v1, v2, v1
	s_delay_alu instid0(VALU_DEP_1) | instskip(SKIP_1) | instid1(VALU_DEP_2)
	v_subrev_nc_u32_e32 v4, s3, v1
	v_cmp_le_u32_e32 vcc_lo, s3, v1
	v_dual_cndmask_b32 v1, v1, v4 :: v_dual_cndmask_b32 v0, v0, v3
	s_delay_alu instid0(VALU_DEP_1) | instskip(NEXT) | instid1(VALU_DEP_2)
	v_cmp_le_u32_e32 vcc_lo, s3, v1
	v_add_nc_u32_e32 v3, 1, v0
	s_delay_alu instid0(VALU_DEP_1)
	v_dual_mov_b32 v1, 0 :: v_dual_cndmask_b32 v0, v0, v3
.LBB24_4:
	s_or_b32 exec_lo, exec_lo, s2
	s_load_b64 s[8:9], s[0:1], 0x18
	s_delay_alu instid0(VALU_DEP_1) | instskip(NEXT) | instid1(VALU_DEP_1)
	v_mad_u64_u32 v[3:4], null, v0, s3, 0
	v_sub_co_u32 v4, null, v2, v3
	s_delay_alu instid0(VALU_DEP_1) | instskip(SKIP_2) | instid1(VALU_DEP_2)
	v_cmp_gt_i32_e64 s2, s5, v4
	s_waitcnt lgkmcnt(0)
	v_cmp_gt_i64_e32 vcc_lo, s[8:9], v[0:1]
	s_and_b32 s2, vcc_lo, s2
	s_delay_alu instid0(SALU_CYCLE_1)
	s_and_saveexec_b32 s3, s2
	s_cbranch_execz .LBB24_394
; %bb.5:
	s_ashr_i32 s6, s4, 31
	s_load_b64 s[2:3], s[0:1], 0x0
	v_mul_lo_u32 v2, v1, s4
	v_mad_u64_u32 v[5:6], null, v0, s4, 0
	v_mul_lo_u32 v3, v0, s6
	s_delay_alu instid0(VALU_DEP_1) | instskip(SKIP_1) | instid1(VALU_DEP_2)
	v_add3_u32 v6, v6, v3, v2
	v_dual_mov_b32 v3, 0 :: v_dual_lshlrev_b32 v2, 5, v4
	v_lshlrev_b64 v[5:6], 1, v[5:6]
	s_delay_alu instid0(VALU_DEP_2) | instskip(SKIP_1) | instid1(VALU_DEP_2)
	v_lshlrev_b64 v[7:8], 1, v[2:3]
	s_waitcnt lgkmcnt(0)
	v_add_co_u32 v3, vcc_lo, s2, v5
	s_delay_alu instid0(VALU_DEP_3) | instskip(SKIP_1) | instid1(VALU_DEP_2)
	v_add_co_ci_u32_e32 v6, vcc_lo, s3, v6, vcc_lo
	s_mov_b32 s2, exec_lo
	v_add_co_u32 v5, vcc_lo, v3, v7
	s_delay_alu instid0(VALU_DEP_2)
	v_add_co_ci_u32_e32 v6, vcc_lo, v6, v8, vcc_lo
	s_clause 0x3
	global_load_b128 v[10:13], v[5:6], off
	global_load_b128 v[34:37], v[5:6], off offset:16
	global_load_b128 v[53:56], v[5:6], off offset:32
	;; [unrolled: 1-line block ×3, first 2 shown]
	s_waitcnt vmcnt(3)
	v_lshlrev_b32_e32 v5, 16, v10
	v_and_b32_e32 v8, 0xffff0000, v10
	v_lshlrev_b32_e32 v10, 16, v11
	v_and_b32_e32 v15, 0xffff0000, v11
	;; [unrolled: 2-line block ×3, first 2 shown]
	v_max3_f32 v3, |v5|, 0, |v8|
	v_lshlrev_b32_e32 v23, 16, v13
	v_and_b32_e32 v26, 0xffff0000, v13
	s_waitcnt vmcnt(2)
	v_lshlrev_b32_e32 v28, 16, v34
	v_and_b32_e32 v32, 0xffff0000, v34
	v_max3_f32 v3, v3, |v10|, |v15|
	v_lshlrev_b32_e32 v34, 16, v35
	v_and_b32_e32 v38, 0xffff0000, v35
	v_lshlrev_b32_e32 v40, 16, v36
	v_and_b32_e32 v42, 0xffff0000, v36
	v_max3_f32 v3, v3, |v17|, |v21|
	v_lshlrev_b32_e32 v46, 16, v37
	v_and_b32_e32 v48, 0xffff0000, v37
	s_waitcnt vmcnt(1)
	v_lshlrev_b32_e32 v52, 16, v53
	v_and_b32_e32 v53, 0xffff0000, v53
	v_max3_f32 v3, v3, |v23|, |v26|
	v_lshlrev_b32_e32 v50, 16, v54
	v_and_b32_e32 v47, 0xffff0000, v54
	v_lshlrev_b32_e32 v45, 16, v55
	v_and_b32_e32 v41, 0xffff0000, v55
	v_max3_f32 v3, v3, |v28|, |v32|
	;; [unrolled: 11-line block ×3, first 2 shown]
	v_lshlrev_b32_e32 v14, 16, v60
	v_and_b32_e32 v9, 0xffff0000, v60
	s_delay_alu instid0(VALU_DEP_3) | instskip(NEXT) | instid1(VALU_DEP_1)
	v_max3_f32 v3, v3, |v46|, |v48|
	v_max3_f32 v3, v3, |v52|, |v53|
	s_delay_alu instid0(VALU_DEP_1) | instskip(NEXT) | instid1(VALU_DEP_1)
	v_max3_f32 v3, v3, |v50|, |v47|
	v_max3_f32 v3, v3, |v45|, |v41|
	s_delay_alu instid0(VALU_DEP_1) | instskip(NEXT) | instid1(VALU_DEP_1)
	;; [unrolled: 3-line block ×4, first 2 shown]
	v_max3_f32 v3, v3, |v14|, |v9|
	v_mul_f32_e32 v3, 0x3e800000, v3
	s_delay_alu instid0(VALU_DEP_1) | instskip(NEXT) | instid1(VALU_DEP_1)
	v_and_b32_e32 v6, 0x7f800000, v3
	v_div_scale_f32 v7, null, v6, v6, 1.0
	v_div_scale_f32 v13, vcc_lo, 1.0, v6, 1.0
	s_delay_alu instid0(VALU_DEP_2) | instskip(SKIP_2) | instid1(VALU_DEP_1)
	v_rcp_f32_e32 v11, v7
	s_waitcnt_depctr 0xfff
	v_fma_f32 v12, -v7, v11, 1.0
	v_fmac_f32_e32 v11, v12, v11
	s_delay_alu instid0(VALU_DEP_1) | instskip(NEXT) | instid1(VALU_DEP_1)
	v_mul_f32_e32 v12, v13, v11
	v_fma_f32 v18, -v7, v12, v13
	s_delay_alu instid0(VALU_DEP_1) | instskip(NEXT) | instid1(VALU_DEP_1)
	v_fmac_f32_e32 v12, v18, v11
	v_fma_f32 v7, -v7, v12, v13
	s_delay_alu instid0(VALU_DEP_1) | instskip(SKIP_1) | instid1(VALU_DEP_2)
	v_div_fmas_f32 v7, v7, v11, v12
	v_cmp_neq_f32_e32 vcc_lo, 0, v6
	v_div_fixup_f32 v7, v7, v6, 1.0
	s_delay_alu instid0(VALU_DEP_1) | instskip(NEXT) | instid1(VALU_DEP_1)
	v_cndmask_b32_e32 v11, 0, v7, vcc_lo
	v_dual_mov_b32 v7, 7 :: v_dual_mul_f32 v6, v11, v5
	v_mov_b32_e32 v5, 7
	s_delay_alu instid0(VALU_DEP_2)
	v_cmpx_nle_f32_e64 0x40a00000, |v6|
	s_cbranch_execz .LBB24_17
; %bb.6:
	v_mov_b32_e32 v5, 6
	s_mov_b32 s3, exec_lo
	v_cmpx_nle_f32_e64 0x40600000, |v6|
	s_cbranch_execz .LBB24_16
; %bb.7:
	v_mov_b32_e32 v5, 5
	s_mov_b32 s6, exec_lo
	;; [unrolled: 5-line block ×5, first 2 shown]
	v_cmpx_nle_f32_e64 0x3f400000, |v6|
; %bb.11:
	v_cmp_le_f32_e64 s12, 0x3e800000, |v6|
	s_delay_alu instid0(VALU_DEP_1)
	v_cndmask_b32_e64 v5, 0, 1, s12
; %bb.12:
	s_or_b32 exec_lo, exec_lo, s11
.LBB24_13:
	s_delay_alu instid0(SALU_CYCLE_1)
	s_or_b32 exec_lo, exec_lo, s10
.LBB24_14:
	s_delay_alu instid0(SALU_CYCLE_1)
	s_or_b32 exec_lo, exec_lo, s9
.LBB24_15:
	s_delay_alu instid0(SALU_CYCLE_1)
	s_or_b32 exec_lo, exec_lo, s6
.LBB24_16:
	s_delay_alu instid0(SALU_CYCLE_1)
	s_or_b32 exec_lo, exec_lo, s3
.LBB24_17:
	s_delay_alu instid0(SALU_CYCLE_1) | instskip(SKIP_2) | instid1(VALU_DEP_1)
	s_or_b32 exec_lo, exec_lo, s2
	v_mul_f32_e32 v8, v11, v8
	s_mov_b32 s2, exec_lo
	v_cmpx_nle_f32_e64 0x40a00000, |v8|
	s_cbranch_execz .LBB24_29
; %bb.18:
	v_mov_b32_e32 v7, 6
	s_mov_b32 s3, exec_lo
	v_cmpx_nle_f32_e64 0x40600000, |v8|
	s_cbranch_execz .LBB24_28
; %bb.19:
	v_mov_b32_e32 v7, 5
	;; [unrolled: 5-line block ×5, first 2 shown]
	s_mov_b32 s11, exec_lo
	v_cmpx_nle_f32_e64 0x3f400000, |v8|
; %bb.23:
	v_cmp_le_f32_e64 s12, 0x3e800000, |v8|
	s_delay_alu instid0(VALU_DEP_1)
	v_cndmask_b32_e64 v7, 0, 1, s12
; %bb.24:
	s_or_b32 exec_lo, exec_lo, s11
.LBB24_25:
	s_delay_alu instid0(SALU_CYCLE_1)
	s_or_b32 exec_lo, exec_lo, s10
.LBB24_26:
	s_delay_alu instid0(SALU_CYCLE_1)
	s_or_b32 exec_lo, exec_lo, s9
.LBB24_27:
	s_delay_alu instid0(SALU_CYCLE_1)
	s_or_b32 exec_lo, exec_lo, s6
.LBB24_28:
	s_delay_alu instid0(SALU_CYCLE_1)
	s_or_b32 exec_lo, exec_lo, s3
.LBB24_29:
	s_delay_alu instid0(SALU_CYCLE_1) | instskip(SKIP_3) | instid1(VALU_DEP_2)
	s_or_b32 exec_lo, exec_lo, s2
	v_dual_mul_f32 v12, v11, v10 :: v_dual_mov_b32 v13, 7
	v_mov_b32_e32 v10, 7
	s_mov_b32 s2, exec_lo
	v_cmpx_nle_f32_e64 0x40a00000, |v12|
	s_cbranch_execz .LBB24_41
; %bb.30:
	v_mov_b32_e32 v13, 6
	s_mov_b32 s3, exec_lo
	v_cmpx_nle_f32_e64 0x40600000, |v12|
	s_cbranch_execz .LBB24_40
; %bb.31:
	;; [unrolled: 5-line block ×5, first 2 shown]
	v_mov_b32_e32 v13, 2
	s_mov_b32 s11, exec_lo
	v_cmpx_nle_f32_e64 0x3f400000, |v12|
; %bb.35:
	v_cmp_le_f32_e64 s12, 0x3e800000, |v12|
	s_delay_alu instid0(VALU_DEP_1)
	v_cndmask_b32_e64 v13, 0, 1, s12
; %bb.36:
	s_or_b32 exec_lo, exec_lo, s11
.LBB24_37:
	s_delay_alu instid0(SALU_CYCLE_1)
	s_or_b32 exec_lo, exec_lo, s10
.LBB24_38:
	s_delay_alu instid0(SALU_CYCLE_1)
	s_or_b32 exec_lo, exec_lo, s9
.LBB24_39:
	s_delay_alu instid0(SALU_CYCLE_1)
	s_or_b32 exec_lo, exec_lo, s6
.LBB24_40:
	s_delay_alu instid0(SALU_CYCLE_1)
	s_or_b32 exec_lo, exec_lo, s3
.LBB24_41:
	s_delay_alu instid0(SALU_CYCLE_1) | instskip(SKIP_2) | instid1(VALU_DEP_1)
	s_or_b32 exec_lo, exec_lo, s2
	v_mul_f32_e32 v15, v11, v15
	s_mov_b32 s2, exec_lo
	v_cmpx_nle_f32_e64 0x40a00000, |v15|
	s_cbranch_execz .LBB24_53
; %bb.42:
	v_mov_b32_e32 v10, 6
	s_mov_b32 s3, exec_lo
	v_cmpx_nle_f32_e64 0x40600000, |v15|
	s_cbranch_execz .LBB24_52
; %bb.43:
	v_mov_b32_e32 v10, 5
	s_mov_b32 s6, exec_lo
	v_cmpx_nle_f32_e64 0x40200000, |v15|
	s_cbranch_execz .LBB24_51
; %bb.44:
	v_mov_b32_e32 v10, 4
	s_mov_b32 s9, exec_lo
	v_cmpx_nle_f32_e64 0x3fe00000, |v15|
	s_cbranch_execz .LBB24_50
; %bb.45:
	v_mov_b32_e32 v10, 3
	s_mov_b32 s10, exec_lo
	v_cmpx_nle_f32_e64 0x3fa00000, |v15|
	s_cbranch_execz .LBB24_49
; %bb.46:
	v_mov_b32_e32 v10, 2
	s_mov_b32 s11, exec_lo
	v_cmpx_nle_f32_e64 0x3f400000, |v15|
; %bb.47:
	v_cmp_le_f32_e64 s12, 0x3e800000, |v15|
	s_delay_alu instid0(VALU_DEP_1)
	v_cndmask_b32_e64 v10, 0, 1, s12
; %bb.48:
	s_or_b32 exec_lo, exec_lo, s11
.LBB24_49:
	s_delay_alu instid0(SALU_CYCLE_1)
	s_or_b32 exec_lo, exec_lo, s10
.LBB24_50:
	s_delay_alu instid0(SALU_CYCLE_1)
	s_or_b32 exec_lo, exec_lo, s9
.LBB24_51:
	s_delay_alu instid0(SALU_CYCLE_1)
	s_or_b32 exec_lo, exec_lo, s6
.LBB24_52:
	s_delay_alu instid0(SALU_CYCLE_1)
	s_or_b32 exec_lo, exec_lo, s3
.LBB24_53:
	s_delay_alu instid0(SALU_CYCLE_1) | instskip(SKIP_3) | instid1(VALU_DEP_2)
	s_or_b32 exec_lo, exec_lo, s2
	v_dual_mul_f32 v19, v11, v17 :: v_dual_mov_b32 v18, 7
	v_mov_b32_e32 v17, 7
	s_mov_b32 s2, exec_lo
	v_cmpx_nle_f32_e64 0x40a00000, |v19|
	s_cbranch_execz .LBB24_65
; %bb.54:
	v_mov_b32_e32 v17, 6
	s_mov_b32 s3, exec_lo
	v_cmpx_nle_f32_e64 0x40600000, |v19|
	s_cbranch_execz .LBB24_64
; %bb.55:
	;; [unrolled: 5-line block ×5, first 2 shown]
	v_mov_b32_e32 v17, 2
	s_mov_b32 s11, exec_lo
	v_cmpx_nle_f32_e64 0x3f400000, |v19|
; %bb.59:
	v_cmp_le_f32_e64 s12, 0x3e800000, |v19|
	s_delay_alu instid0(VALU_DEP_1)
	v_cndmask_b32_e64 v17, 0, 1, s12
; %bb.60:
	s_or_b32 exec_lo, exec_lo, s11
.LBB24_61:
	s_delay_alu instid0(SALU_CYCLE_1)
	s_or_b32 exec_lo, exec_lo, s10
.LBB24_62:
	s_delay_alu instid0(SALU_CYCLE_1)
	s_or_b32 exec_lo, exec_lo, s9
.LBB24_63:
	s_delay_alu instid0(SALU_CYCLE_1)
	s_or_b32 exec_lo, exec_lo, s6
.LBB24_64:
	s_delay_alu instid0(SALU_CYCLE_1)
	s_or_b32 exec_lo, exec_lo, s3
.LBB24_65:
	s_delay_alu instid0(SALU_CYCLE_1) | instskip(SKIP_2) | instid1(VALU_DEP_1)
	s_or_b32 exec_lo, exec_lo, s2
	v_mul_f32_e32 v21, v11, v21
	s_mov_b32 s2, exec_lo
	v_cmpx_nle_f32_e64 0x40a00000, |v21|
	s_cbranch_execz .LBB24_77
; %bb.66:
	v_mov_b32_e32 v18, 6
	s_mov_b32 s3, exec_lo
	v_cmpx_nle_f32_e64 0x40600000, |v21|
	s_cbranch_execz .LBB24_76
; %bb.67:
	v_mov_b32_e32 v18, 5
	;; [unrolled: 5-line block ×5, first 2 shown]
	s_mov_b32 s11, exec_lo
	v_cmpx_nle_f32_e64 0x3f400000, |v21|
; %bb.71:
	v_cmp_le_f32_e64 s12, 0x3e800000, |v21|
	s_delay_alu instid0(VALU_DEP_1)
	v_cndmask_b32_e64 v18, 0, 1, s12
; %bb.72:
	s_or_b32 exec_lo, exec_lo, s11
.LBB24_73:
	s_delay_alu instid0(SALU_CYCLE_1)
	s_or_b32 exec_lo, exec_lo, s10
.LBB24_74:
	s_delay_alu instid0(SALU_CYCLE_1)
	s_or_b32 exec_lo, exec_lo, s9
.LBB24_75:
	s_delay_alu instid0(SALU_CYCLE_1)
	s_or_b32 exec_lo, exec_lo, s6
.LBB24_76:
	s_delay_alu instid0(SALU_CYCLE_1)
	s_or_b32 exec_lo, exec_lo, s3
.LBB24_77:
	s_delay_alu instid0(SALU_CYCLE_1) | instskip(SKIP_3) | instid1(VALU_DEP_2)
	s_or_b32 exec_lo, exec_lo, s2
	v_dual_mul_f32 v25, v11, v23 :: v_dual_mov_b32 v24, 7
	v_mov_b32_e32 v23, 7
	s_mov_b32 s2, exec_lo
	v_cmpx_nle_f32_e64 0x40a00000, |v25|
	s_cbranch_execz .LBB24_89
; %bb.78:
	v_mov_b32_e32 v24, 6
	s_mov_b32 s3, exec_lo
	v_cmpx_nle_f32_e64 0x40600000, |v25|
	s_cbranch_execz .LBB24_88
; %bb.79:
	;; [unrolled: 5-line block ×5, first 2 shown]
	v_mov_b32_e32 v24, 2
	s_mov_b32 s11, exec_lo
	v_cmpx_nle_f32_e64 0x3f400000, |v25|
; %bb.83:
	v_cmp_le_f32_e64 s12, 0x3e800000, |v25|
	s_delay_alu instid0(VALU_DEP_1)
	v_cndmask_b32_e64 v24, 0, 1, s12
; %bb.84:
	s_or_b32 exec_lo, exec_lo, s11
.LBB24_85:
	s_delay_alu instid0(SALU_CYCLE_1)
	s_or_b32 exec_lo, exec_lo, s10
.LBB24_86:
	s_delay_alu instid0(SALU_CYCLE_1)
	s_or_b32 exec_lo, exec_lo, s9
.LBB24_87:
	s_delay_alu instid0(SALU_CYCLE_1)
	s_or_b32 exec_lo, exec_lo, s6
.LBB24_88:
	s_delay_alu instid0(SALU_CYCLE_1)
	s_or_b32 exec_lo, exec_lo, s3
.LBB24_89:
	s_delay_alu instid0(SALU_CYCLE_1) | instskip(SKIP_2) | instid1(VALU_DEP_1)
	s_or_b32 exec_lo, exec_lo, s2
	v_mul_f32_e32 v26, v11, v26
	s_mov_b32 s2, exec_lo
	v_cmpx_nle_f32_e64 0x40a00000, |v26|
	s_cbranch_execz .LBB24_101
; %bb.90:
	v_mov_b32_e32 v23, 6
	s_mov_b32 s3, exec_lo
	v_cmpx_nle_f32_e64 0x40600000, |v26|
	s_cbranch_execz .LBB24_100
; %bb.91:
	v_mov_b32_e32 v23, 5
	;; [unrolled: 5-line block ×5, first 2 shown]
	s_mov_b32 s11, exec_lo
	v_cmpx_nle_f32_e64 0x3f400000, |v26|
; %bb.95:
	v_cmp_le_f32_e64 s12, 0x3e800000, |v26|
	s_delay_alu instid0(VALU_DEP_1)
	v_cndmask_b32_e64 v23, 0, 1, s12
; %bb.96:
	s_or_b32 exec_lo, exec_lo, s11
.LBB24_97:
	s_delay_alu instid0(SALU_CYCLE_1)
	s_or_b32 exec_lo, exec_lo, s10
.LBB24_98:
	s_delay_alu instid0(SALU_CYCLE_1)
	s_or_b32 exec_lo, exec_lo, s9
.LBB24_99:
	s_delay_alu instid0(SALU_CYCLE_1)
	s_or_b32 exec_lo, exec_lo, s6
.LBB24_100:
	s_delay_alu instid0(SALU_CYCLE_1)
	s_or_b32 exec_lo, exec_lo, s3
.LBB24_101:
	s_delay_alu instid0(SALU_CYCLE_1) | instskip(SKIP_3) | instid1(VALU_DEP_2)
	s_or_b32 exec_lo, exec_lo, s2
	v_dual_mul_f32 v31, v11, v28 :: v_dual_mov_b32 v28, 7
	v_mov_b32_e32 v30, 7
	s_mov_b32 s2, exec_lo
	v_cmpx_nle_f32_e64 0x40a00000, |v31|
	s_cbranch_execz .LBB24_113
; %bb.102:
	v_mov_b32_e32 v30, 6
	s_mov_b32 s3, exec_lo
	v_cmpx_nle_f32_e64 0x40600000, |v31|
	s_cbranch_execz .LBB24_112
; %bb.103:
	;; [unrolled: 5-line block ×5, first 2 shown]
	v_mov_b32_e32 v30, 2
	s_mov_b32 s11, exec_lo
	v_cmpx_nle_f32_e64 0x3f400000, |v31|
; %bb.107:
	v_cmp_le_f32_e64 s12, 0x3e800000, |v31|
	s_delay_alu instid0(VALU_DEP_1)
	v_cndmask_b32_e64 v30, 0, 1, s12
; %bb.108:
	s_or_b32 exec_lo, exec_lo, s11
.LBB24_109:
	s_delay_alu instid0(SALU_CYCLE_1)
	s_or_b32 exec_lo, exec_lo, s10
.LBB24_110:
	s_delay_alu instid0(SALU_CYCLE_1)
	s_or_b32 exec_lo, exec_lo, s9
.LBB24_111:
	s_delay_alu instid0(SALU_CYCLE_1)
	s_or_b32 exec_lo, exec_lo, s6
.LBB24_112:
	s_delay_alu instid0(SALU_CYCLE_1)
	s_or_b32 exec_lo, exec_lo, s3
.LBB24_113:
	s_delay_alu instid0(SALU_CYCLE_1) | instskip(SKIP_2) | instid1(VALU_DEP_1)
	s_or_b32 exec_lo, exec_lo, s2
	v_mul_f32_e32 v32, v11, v32
	s_mov_b32 s2, exec_lo
	v_cmpx_nle_f32_e64 0x40a00000, |v32|
	s_cbranch_execz .LBB24_125
; %bb.114:
	v_mov_b32_e32 v28, 6
	s_mov_b32 s3, exec_lo
	v_cmpx_nle_f32_e64 0x40600000, |v32|
	s_cbranch_execz .LBB24_124
; %bb.115:
	v_mov_b32_e32 v28, 5
	;; [unrolled: 5-line block ×5, first 2 shown]
	s_mov_b32 s11, exec_lo
	v_cmpx_nle_f32_e64 0x3f400000, |v32|
; %bb.119:
	v_cmp_le_f32_e64 s12, 0x3e800000, |v32|
	s_delay_alu instid0(VALU_DEP_1)
	v_cndmask_b32_e64 v28, 0, 1, s12
; %bb.120:
	s_or_b32 exec_lo, exec_lo, s11
.LBB24_121:
	s_delay_alu instid0(SALU_CYCLE_1)
	s_or_b32 exec_lo, exec_lo, s10
.LBB24_122:
	s_delay_alu instid0(SALU_CYCLE_1)
	s_or_b32 exec_lo, exec_lo, s9
.LBB24_123:
	s_delay_alu instid0(SALU_CYCLE_1)
	s_or_b32 exec_lo, exec_lo, s6
.LBB24_124:
	s_delay_alu instid0(SALU_CYCLE_1)
	s_or_b32 exec_lo, exec_lo, s3
.LBB24_125:
	s_delay_alu instid0(SALU_CYCLE_1) | instskip(SKIP_3) | instid1(VALU_DEP_2)
	s_or_b32 exec_lo, exec_lo, s2
	v_dual_mul_f32 v37, v11, v34 :: v_dual_mov_b32 v34, 7
	v_mov_b32_e32 v36, 7
	s_mov_b32 s2, exec_lo
	v_cmpx_nle_f32_e64 0x40a00000, |v37|
	s_cbranch_execz .LBB24_137
; %bb.126:
	v_mov_b32_e32 v36, 6
	s_mov_b32 s3, exec_lo
	v_cmpx_nle_f32_e64 0x40600000, |v37|
	s_cbranch_execz .LBB24_136
; %bb.127:
	;; [unrolled: 5-line block ×5, first 2 shown]
	v_mov_b32_e32 v36, 2
	s_mov_b32 s11, exec_lo
	v_cmpx_nle_f32_e64 0x3f400000, |v37|
; %bb.131:
	v_cmp_le_f32_e64 s12, 0x3e800000, |v37|
	s_delay_alu instid0(VALU_DEP_1)
	v_cndmask_b32_e64 v36, 0, 1, s12
; %bb.132:
	s_or_b32 exec_lo, exec_lo, s11
.LBB24_133:
	s_delay_alu instid0(SALU_CYCLE_1)
	s_or_b32 exec_lo, exec_lo, s10
.LBB24_134:
	s_delay_alu instid0(SALU_CYCLE_1)
	s_or_b32 exec_lo, exec_lo, s9
.LBB24_135:
	s_delay_alu instid0(SALU_CYCLE_1)
	s_or_b32 exec_lo, exec_lo, s6
.LBB24_136:
	s_delay_alu instid0(SALU_CYCLE_1)
	s_or_b32 exec_lo, exec_lo, s3
.LBB24_137:
	s_delay_alu instid0(SALU_CYCLE_1) | instskip(SKIP_2) | instid1(VALU_DEP_1)
	s_or_b32 exec_lo, exec_lo, s2
	v_mul_f32_e32 v38, v11, v38
	s_mov_b32 s2, exec_lo
	v_cmpx_nle_f32_e64 0x40a00000, |v38|
	s_cbranch_execz .LBB24_149
; %bb.138:
	v_mov_b32_e32 v34, 6
	s_mov_b32 s3, exec_lo
	v_cmpx_nle_f32_e64 0x40600000, |v38|
	s_cbranch_execz .LBB24_148
; %bb.139:
	v_mov_b32_e32 v34, 5
	;; [unrolled: 5-line block ×5, first 2 shown]
	s_mov_b32 s11, exec_lo
	v_cmpx_nle_f32_e64 0x3f400000, |v38|
; %bb.143:
	v_cmp_le_f32_e64 s12, 0x3e800000, |v38|
	s_delay_alu instid0(VALU_DEP_1)
	v_cndmask_b32_e64 v34, 0, 1, s12
; %bb.144:
	s_or_b32 exec_lo, exec_lo, s11
.LBB24_145:
	s_delay_alu instid0(SALU_CYCLE_1)
	s_or_b32 exec_lo, exec_lo, s10
.LBB24_146:
	s_delay_alu instid0(SALU_CYCLE_1)
	s_or_b32 exec_lo, exec_lo, s9
.LBB24_147:
	s_delay_alu instid0(SALU_CYCLE_1)
	s_or_b32 exec_lo, exec_lo, s6
.LBB24_148:
	s_delay_alu instid0(SALU_CYCLE_1)
	s_or_b32 exec_lo, exec_lo, s3
.LBB24_149:
	s_delay_alu instid0(SALU_CYCLE_1) | instskip(SKIP_3) | instid1(VALU_DEP_2)
	s_or_b32 exec_lo, exec_lo, s2
	v_dual_mul_f32 v43, v11, v40 :: v_dual_mov_b32 v40, 7
	v_mov_b32_e32 v44, 7
	s_mov_b32 s2, exec_lo
	v_cmpx_nle_f32_e64 0x40a00000, |v43|
	s_cbranch_execz .LBB24_161
; %bb.150:
	v_mov_b32_e32 v44, 6
	s_mov_b32 s3, exec_lo
	v_cmpx_nle_f32_e64 0x40600000, |v43|
	s_cbranch_execz .LBB24_160
; %bb.151:
	;; [unrolled: 5-line block ×5, first 2 shown]
	v_mov_b32_e32 v44, 2
	s_mov_b32 s11, exec_lo
	v_cmpx_nle_f32_e64 0x3f400000, |v43|
; %bb.155:
	v_cmp_le_f32_e64 s12, 0x3e800000, |v43|
	s_delay_alu instid0(VALU_DEP_1)
	v_cndmask_b32_e64 v44, 0, 1, s12
; %bb.156:
	s_or_b32 exec_lo, exec_lo, s11
.LBB24_157:
	s_delay_alu instid0(SALU_CYCLE_1)
	s_or_b32 exec_lo, exec_lo, s10
.LBB24_158:
	s_delay_alu instid0(SALU_CYCLE_1)
	s_or_b32 exec_lo, exec_lo, s9
.LBB24_159:
	s_delay_alu instid0(SALU_CYCLE_1)
	s_or_b32 exec_lo, exec_lo, s6
.LBB24_160:
	s_delay_alu instid0(SALU_CYCLE_1)
	s_or_b32 exec_lo, exec_lo, s3
.LBB24_161:
	s_delay_alu instid0(SALU_CYCLE_1) | instskip(SKIP_2) | instid1(VALU_DEP_1)
	s_or_b32 exec_lo, exec_lo, s2
	v_mul_f32_e32 v42, v11, v42
	s_mov_b32 s2, exec_lo
	v_cmpx_nle_f32_e64 0x40a00000, |v42|
	s_cbranch_execz .LBB24_173
; %bb.162:
	v_mov_b32_e32 v40, 6
	s_mov_b32 s3, exec_lo
	v_cmpx_nle_f32_e64 0x40600000, |v42|
	s_cbranch_execz .LBB24_172
; %bb.163:
	v_mov_b32_e32 v40, 5
	;; [unrolled: 5-line block ×5, first 2 shown]
	s_mov_b32 s11, exec_lo
	v_cmpx_nle_f32_e64 0x3f400000, |v42|
; %bb.167:
	v_cmp_le_f32_e64 s12, 0x3e800000, |v42|
	s_delay_alu instid0(VALU_DEP_1)
	v_cndmask_b32_e64 v40, 0, 1, s12
; %bb.168:
	s_or_b32 exec_lo, exec_lo, s11
.LBB24_169:
	s_delay_alu instid0(SALU_CYCLE_1)
	s_or_b32 exec_lo, exec_lo, s10
.LBB24_170:
	s_delay_alu instid0(SALU_CYCLE_1)
	s_or_b32 exec_lo, exec_lo, s9
.LBB24_171:
	s_delay_alu instid0(SALU_CYCLE_1)
	s_or_b32 exec_lo, exec_lo, s6
.LBB24_172:
	s_delay_alu instid0(SALU_CYCLE_1)
	s_or_b32 exec_lo, exec_lo, s3
.LBB24_173:
	s_delay_alu instid0(SALU_CYCLE_1) | instskip(SKIP_3) | instid1(VALU_DEP_2)
	s_or_b32 exec_lo, exec_lo, s2
	v_dual_mul_f32 v51, v11, v46 :: v_dual_mov_b32 v46, 7
	v_mov_b32_e32 v49, 7
	s_mov_b32 s2, exec_lo
	v_cmpx_nle_f32_e64 0x40a00000, |v51|
	s_cbranch_execz .LBB24_185
; %bb.174:
	v_mov_b32_e32 v49, 6
	s_mov_b32 s3, exec_lo
	v_cmpx_nle_f32_e64 0x40600000, |v51|
	s_cbranch_execz .LBB24_184
; %bb.175:
	;; [unrolled: 5-line block ×5, first 2 shown]
	v_mov_b32_e32 v49, 2
	s_mov_b32 s11, exec_lo
	v_cmpx_nle_f32_e64 0x3f400000, |v51|
; %bb.179:
	v_cmp_le_f32_e64 s12, 0x3e800000, |v51|
	s_delay_alu instid0(VALU_DEP_1)
	v_cndmask_b32_e64 v49, 0, 1, s12
; %bb.180:
	s_or_b32 exec_lo, exec_lo, s11
.LBB24_181:
	s_delay_alu instid0(SALU_CYCLE_1)
	s_or_b32 exec_lo, exec_lo, s10
.LBB24_182:
	s_delay_alu instid0(SALU_CYCLE_1)
	s_or_b32 exec_lo, exec_lo, s9
.LBB24_183:
	s_delay_alu instid0(SALU_CYCLE_1)
	s_or_b32 exec_lo, exec_lo, s6
.LBB24_184:
	s_delay_alu instid0(SALU_CYCLE_1)
	s_or_b32 exec_lo, exec_lo, s3
.LBB24_185:
	s_delay_alu instid0(SALU_CYCLE_1) | instskip(SKIP_2) | instid1(VALU_DEP_1)
	s_or_b32 exec_lo, exec_lo, s2
	v_mul_f32_e32 v48, v11, v48
	s_mov_b32 s2, exec_lo
	v_cmpx_nle_f32_e64 0x40a00000, |v48|
	s_cbranch_execz .LBB24_197
; %bb.186:
	v_mov_b32_e32 v46, 6
	s_mov_b32 s3, exec_lo
	v_cmpx_nle_f32_e64 0x40600000, |v48|
	s_cbranch_execz .LBB24_196
; %bb.187:
	v_mov_b32_e32 v46, 5
	;; [unrolled: 5-line block ×5, first 2 shown]
	s_mov_b32 s11, exec_lo
	v_cmpx_nle_f32_e64 0x3f400000, |v48|
; %bb.191:
	v_cmp_le_f32_e64 s12, 0x3e800000, |v48|
	s_delay_alu instid0(VALU_DEP_1)
	v_cndmask_b32_e64 v46, 0, 1, s12
; %bb.192:
	s_or_b32 exec_lo, exec_lo, s11
.LBB24_193:
	s_delay_alu instid0(SALU_CYCLE_1)
	s_or_b32 exec_lo, exec_lo, s10
.LBB24_194:
	s_delay_alu instid0(SALU_CYCLE_1)
	s_or_b32 exec_lo, exec_lo, s9
.LBB24_195:
	s_delay_alu instid0(SALU_CYCLE_1)
	s_or_b32 exec_lo, exec_lo, s6
.LBB24_196:
	s_delay_alu instid0(SALU_CYCLE_1)
	s_or_b32 exec_lo, exec_lo, s3
.LBB24_197:
	s_delay_alu instid0(SALU_CYCLE_1) | instskip(SKIP_3) | instid1(VALU_DEP_2)
	s_or_b32 exec_lo, exec_lo, s2
	v_dual_mul_f32 v55, v11, v52 :: v_dual_mov_b32 v52, 7
	v_mov_b32_e32 v54, 7
	s_mov_b32 s2, exec_lo
	v_cmpx_nle_f32_e64 0x40a00000, |v55|
	s_cbranch_execz .LBB24_209
; %bb.198:
	v_mov_b32_e32 v54, 6
	s_mov_b32 s3, exec_lo
	v_cmpx_nle_f32_e64 0x40600000, |v55|
	s_cbranch_execz .LBB24_208
; %bb.199:
	;; [unrolled: 5-line block ×5, first 2 shown]
	v_mov_b32_e32 v54, 2
	s_mov_b32 s11, exec_lo
	v_cmpx_nle_f32_e64 0x3f400000, |v55|
; %bb.203:
	v_cmp_le_f32_e64 s12, 0x3e800000, |v55|
	s_delay_alu instid0(VALU_DEP_1)
	v_cndmask_b32_e64 v54, 0, 1, s12
; %bb.204:
	s_or_b32 exec_lo, exec_lo, s11
.LBB24_205:
	s_delay_alu instid0(SALU_CYCLE_1)
	s_or_b32 exec_lo, exec_lo, s10
.LBB24_206:
	s_delay_alu instid0(SALU_CYCLE_1)
	s_or_b32 exec_lo, exec_lo, s9
.LBB24_207:
	s_delay_alu instid0(SALU_CYCLE_1)
	s_or_b32 exec_lo, exec_lo, s6
.LBB24_208:
	s_delay_alu instid0(SALU_CYCLE_1)
	s_or_b32 exec_lo, exec_lo, s3
.LBB24_209:
	s_delay_alu instid0(SALU_CYCLE_1) | instskip(SKIP_2) | instid1(VALU_DEP_1)
	s_or_b32 exec_lo, exec_lo, s2
	v_mul_f32_e32 v53, v11, v53
	s_mov_b32 s2, exec_lo
	v_cmpx_nle_f32_e64 0x40a00000, |v53|
	s_cbranch_execz .LBB24_221
; %bb.210:
	v_mov_b32_e32 v52, 6
	s_mov_b32 s3, exec_lo
	v_cmpx_nle_f32_e64 0x40600000, |v53|
	s_cbranch_execz .LBB24_220
; %bb.211:
	v_mov_b32_e32 v52, 5
	;; [unrolled: 5-line block ×5, first 2 shown]
	s_mov_b32 s11, exec_lo
	v_cmpx_nle_f32_e64 0x3f400000, |v53|
; %bb.215:
	v_cmp_le_f32_e64 s12, 0x3e800000, |v53|
	s_delay_alu instid0(VALU_DEP_1)
	v_cndmask_b32_e64 v52, 0, 1, s12
; %bb.216:
	s_or_b32 exec_lo, exec_lo, s11
.LBB24_217:
	s_delay_alu instid0(SALU_CYCLE_1)
	s_or_b32 exec_lo, exec_lo, s10
.LBB24_218:
	s_delay_alu instid0(SALU_CYCLE_1)
	s_or_b32 exec_lo, exec_lo, s9
.LBB24_219:
	s_delay_alu instid0(SALU_CYCLE_1)
	s_or_b32 exec_lo, exec_lo, s6
.LBB24_220:
	s_delay_alu instid0(SALU_CYCLE_1)
	s_or_b32 exec_lo, exec_lo, s3
.LBB24_221:
	s_delay_alu instid0(SALU_CYCLE_1) | instskip(SKIP_3) | instid1(VALU_DEP_2)
	s_or_b32 exec_lo, exec_lo, s2
	v_dual_mul_f32 v57, v11, v50 :: v_dual_mov_b32 v50, 7
	v_mov_b32_e32 v56, 7
	s_mov_b32 s2, exec_lo
	v_cmpx_nle_f32_e64 0x40a00000, |v57|
	s_cbranch_execz .LBB24_233
; %bb.222:
	v_mov_b32_e32 v56, 6
	s_mov_b32 s3, exec_lo
	v_cmpx_nle_f32_e64 0x40600000, |v57|
	s_cbranch_execz .LBB24_232
; %bb.223:
	;; [unrolled: 5-line block ×5, first 2 shown]
	v_mov_b32_e32 v56, 2
	s_mov_b32 s11, exec_lo
	v_cmpx_nle_f32_e64 0x3f400000, |v57|
; %bb.227:
	v_cmp_le_f32_e64 s12, 0x3e800000, |v57|
	s_delay_alu instid0(VALU_DEP_1)
	v_cndmask_b32_e64 v56, 0, 1, s12
; %bb.228:
	s_or_b32 exec_lo, exec_lo, s11
.LBB24_229:
	s_delay_alu instid0(SALU_CYCLE_1)
	s_or_b32 exec_lo, exec_lo, s10
.LBB24_230:
	s_delay_alu instid0(SALU_CYCLE_1)
	s_or_b32 exec_lo, exec_lo, s9
.LBB24_231:
	s_delay_alu instid0(SALU_CYCLE_1)
	s_or_b32 exec_lo, exec_lo, s6
.LBB24_232:
	s_delay_alu instid0(SALU_CYCLE_1)
	s_or_b32 exec_lo, exec_lo, s3
.LBB24_233:
	s_delay_alu instid0(SALU_CYCLE_1) | instskip(SKIP_2) | instid1(VALU_DEP_1)
	s_or_b32 exec_lo, exec_lo, s2
	v_mul_f32_e32 v47, v11, v47
	s_mov_b32 s2, exec_lo
	v_cmpx_nle_f32_e64 0x40a00000, |v47|
	s_cbranch_execz .LBB24_245
; %bb.234:
	v_mov_b32_e32 v50, 6
	s_mov_b32 s3, exec_lo
	v_cmpx_nle_f32_e64 0x40600000, |v47|
	s_cbranch_execz .LBB24_244
; %bb.235:
	v_mov_b32_e32 v50, 5
	;; [unrolled: 5-line block ×5, first 2 shown]
	s_mov_b32 s11, exec_lo
	v_cmpx_nle_f32_e64 0x3f400000, |v47|
; %bb.239:
	v_cmp_le_f32_e64 s12, 0x3e800000, |v47|
	s_delay_alu instid0(VALU_DEP_1)
	v_cndmask_b32_e64 v50, 0, 1, s12
; %bb.240:
	s_or_b32 exec_lo, exec_lo, s11
.LBB24_241:
	s_delay_alu instid0(SALU_CYCLE_1)
	s_or_b32 exec_lo, exec_lo, s10
.LBB24_242:
	s_delay_alu instid0(SALU_CYCLE_1)
	s_or_b32 exec_lo, exec_lo, s9
.LBB24_243:
	s_delay_alu instid0(SALU_CYCLE_1)
	s_or_b32 exec_lo, exec_lo, s6
.LBB24_244:
	s_delay_alu instid0(SALU_CYCLE_1)
	s_or_b32 exec_lo, exec_lo, s3
.LBB24_245:
	s_delay_alu instid0(SALU_CYCLE_1) | instskip(SKIP_3) | instid1(VALU_DEP_2)
	s_or_b32 exec_lo, exec_lo, s2
	v_dual_mul_f32 v59, v11, v45 :: v_dual_mov_b32 v58, 7
	v_mov_b32_e32 v45, 7
	s_mov_b32 s2, exec_lo
	v_cmpx_nle_f32_e64 0x40a00000, |v59|
	s_cbranch_execz .LBB24_257
; %bb.246:
	v_mov_b32_e32 v58, 6
	s_mov_b32 s3, exec_lo
	v_cmpx_nle_f32_e64 0x40600000, |v59|
	s_cbranch_execz .LBB24_256
; %bb.247:
	;; [unrolled: 5-line block ×5, first 2 shown]
	v_mov_b32_e32 v58, 2
	s_mov_b32 s11, exec_lo
	v_cmpx_nle_f32_e64 0x3f400000, |v59|
; %bb.251:
	v_cmp_le_f32_e64 s12, 0x3e800000, |v59|
	s_delay_alu instid0(VALU_DEP_1)
	v_cndmask_b32_e64 v58, 0, 1, s12
; %bb.252:
	s_or_b32 exec_lo, exec_lo, s11
.LBB24_253:
	s_delay_alu instid0(SALU_CYCLE_1)
	s_or_b32 exec_lo, exec_lo, s10
.LBB24_254:
	s_delay_alu instid0(SALU_CYCLE_1)
	s_or_b32 exec_lo, exec_lo, s9
.LBB24_255:
	s_delay_alu instid0(SALU_CYCLE_1)
	s_or_b32 exec_lo, exec_lo, s6
.LBB24_256:
	s_delay_alu instid0(SALU_CYCLE_1)
	s_or_b32 exec_lo, exec_lo, s3
.LBB24_257:
	s_delay_alu instid0(SALU_CYCLE_1) | instskip(SKIP_2) | instid1(VALU_DEP_1)
	s_or_b32 exec_lo, exec_lo, s2
	v_mul_f32_e32 v41, v11, v41
	s_mov_b32 s2, exec_lo
	v_cmpx_nle_f32_e64 0x40a00000, |v41|
	s_cbranch_execz .LBB24_269
; %bb.258:
	v_mov_b32_e32 v45, 6
	s_mov_b32 s3, exec_lo
	v_cmpx_nle_f32_e64 0x40600000, |v41|
	s_cbranch_execz .LBB24_268
; %bb.259:
	v_mov_b32_e32 v45, 5
	;; [unrolled: 5-line block ×5, first 2 shown]
	s_mov_b32 s11, exec_lo
	v_cmpx_nle_f32_e64 0x3f400000, |v41|
; %bb.263:
	v_cmp_le_f32_e64 s12, 0x3e800000, |v41|
	s_delay_alu instid0(VALU_DEP_1)
	v_cndmask_b32_e64 v45, 0, 1, s12
; %bb.264:
	s_or_b32 exec_lo, exec_lo, s11
.LBB24_265:
	s_delay_alu instid0(SALU_CYCLE_1)
	s_or_b32 exec_lo, exec_lo, s10
.LBB24_266:
	s_delay_alu instid0(SALU_CYCLE_1)
	s_or_b32 exec_lo, exec_lo, s9
.LBB24_267:
	s_delay_alu instid0(SALU_CYCLE_1)
	s_or_b32 exec_lo, exec_lo, s6
.LBB24_268:
	s_delay_alu instid0(SALU_CYCLE_1)
	s_or_b32 exec_lo, exec_lo, s3
.LBB24_269:
	s_delay_alu instid0(SALU_CYCLE_1) | instskip(SKIP_3) | instid1(VALU_DEP_2)
	s_or_b32 exec_lo, exec_lo, s2
	v_dual_mul_f32 v60, v11, v39 :: v_dual_mov_b32 v39, 7
	v_mov_b32_e32 v61, 7
	s_mov_b32 s2, exec_lo
	v_cmpx_nle_f32_e64 0x40a00000, |v60|
	s_cbranch_execz .LBB24_281
; %bb.270:
	v_mov_b32_e32 v61, 6
	s_mov_b32 s3, exec_lo
	v_cmpx_nle_f32_e64 0x40600000, |v60|
	s_cbranch_execz .LBB24_280
; %bb.271:
	;; [unrolled: 5-line block ×5, first 2 shown]
	v_mov_b32_e32 v61, 2
	s_mov_b32 s11, exec_lo
	v_cmpx_nle_f32_e64 0x3f400000, |v60|
; %bb.275:
	v_cmp_le_f32_e64 s12, 0x3e800000, |v60|
	s_delay_alu instid0(VALU_DEP_1)
	v_cndmask_b32_e64 v61, 0, 1, s12
; %bb.276:
	s_or_b32 exec_lo, exec_lo, s11
.LBB24_277:
	s_delay_alu instid0(SALU_CYCLE_1)
	s_or_b32 exec_lo, exec_lo, s10
.LBB24_278:
	s_delay_alu instid0(SALU_CYCLE_1)
	s_or_b32 exec_lo, exec_lo, s9
.LBB24_279:
	s_delay_alu instid0(SALU_CYCLE_1)
	s_or_b32 exec_lo, exec_lo, s6
.LBB24_280:
	s_delay_alu instid0(SALU_CYCLE_1)
	s_or_b32 exec_lo, exec_lo, s3
.LBB24_281:
	s_delay_alu instid0(SALU_CYCLE_1) | instskip(SKIP_2) | instid1(VALU_DEP_1)
	s_or_b32 exec_lo, exec_lo, s2
	v_mul_f32_e32 v35, v11, v35
	s_mov_b32 s2, exec_lo
	v_cmpx_nle_f32_e64 0x40a00000, |v35|
	s_cbranch_execz .LBB24_293
; %bb.282:
	v_mov_b32_e32 v39, 6
	s_mov_b32 s3, exec_lo
	v_cmpx_nle_f32_e64 0x40600000, |v35|
	s_cbranch_execz .LBB24_292
; %bb.283:
	v_mov_b32_e32 v39, 5
	;; [unrolled: 5-line block ×5, first 2 shown]
	s_mov_b32 s11, exec_lo
	v_cmpx_nle_f32_e64 0x3f400000, |v35|
; %bb.287:
	v_cmp_le_f32_e64 s12, 0x3e800000, |v35|
	s_delay_alu instid0(VALU_DEP_1)
	v_cndmask_b32_e64 v39, 0, 1, s12
; %bb.288:
	s_or_b32 exec_lo, exec_lo, s11
.LBB24_289:
	s_delay_alu instid0(SALU_CYCLE_1)
	s_or_b32 exec_lo, exec_lo, s10
.LBB24_290:
	s_delay_alu instid0(SALU_CYCLE_1)
	s_or_b32 exec_lo, exec_lo, s9
.LBB24_291:
	s_delay_alu instid0(SALU_CYCLE_1)
	s_or_b32 exec_lo, exec_lo, s6
.LBB24_292:
	s_delay_alu instid0(SALU_CYCLE_1)
	s_or_b32 exec_lo, exec_lo, s3
.LBB24_293:
	s_delay_alu instid0(SALU_CYCLE_1) | instskip(SKIP_3) | instid1(VALU_DEP_2)
	s_or_b32 exec_lo, exec_lo, s2
	v_dual_mul_f32 v63, v11, v33 :: v_dual_mov_b32 v62, 7
	v_mov_b32_e32 v33, 7
	s_mov_b32 s2, exec_lo
	v_cmpx_nle_f32_e64 0x40a00000, |v63|
	s_cbranch_execz .LBB24_305
; %bb.294:
	v_mov_b32_e32 v62, 6
	s_mov_b32 s3, exec_lo
	v_cmpx_nle_f32_e64 0x40600000, |v63|
	s_cbranch_execz .LBB24_304
; %bb.295:
	;; [unrolled: 5-line block ×5, first 2 shown]
	v_mov_b32_e32 v62, 2
	s_mov_b32 s11, exec_lo
	v_cmpx_nle_f32_e64 0x3f400000, |v63|
; %bb.299:
	v_cmp_le_f32_e64 s12, 0x3e800000, |v63|
	s_delay_alu instid0(VALU_DEP_1)
	v_cndmask_b32_e64 v62, 0, 1, s12
; %bb.300:
	s_or_b32 exec_lo, exec_lo, s11
.LBB24_301:
	s_delay_alu instid0(SALU_CYCLE_1)
	s_or_b32 exec_lo, exec_lo, s10
.LBB24_302:
	s_delay_alu instid0(SALU_CYCLE_1)
	s_or_b32 exec_lo, exec_lo, s9
.LBB24_303:
	s_delay_alu instid0(SALU_CYCLE_1)
	s_or_b32 exec_lo, exec_lo, s6
.LBB24_304:
	s_delay_alu instid0(SALU_CYCLE_1)
	s_or_b32 exec_lo, exec_lo, s3
.LBB24_305:
	s_delay_alu instid0(SALU_CYCLE_1) | instskip(SKIP_2) | instid1(VALU_DEP_1)
	s_or_b32 exec_lo, exec_lo, s2
	v_mul_f32_e32 v29, v11, v29
	s_mov_b32 s2, exec_lo
	v_cmpx_nle_f32_e64 0x40a00000, |v29|
	s_cbranch_execz .LBB24_317
; %bb.306:
	v_mov_b32_e32 v33, 6
	s_mov_b32 s3, exec_lo
	v_cmpx_nle_f32_e64 0x40600000, |v29|
	s_cbranch_execz .LBB24_316
; %bb.307:
	v_mov_b32_e32 v33, 5
	;; [unrolled: 5-line block ×5, first 2 shown]
	s_mov_b32 s11, exec_lo
	v_cmpx_nle_f32_e64 0x3f400000, |v29|
; %bb.311:
	v_cmp_le_f32_e64 s12, 0x3e800000, |v29|
	s_delay_alu instid0(VALU_DEP_1)
	v_cndmask_b32_e64 v33, 0, 1, s12
; %bb.312:
	s_or_b32 exec_lo, exec_lo, s11
.LBB24_313:
	s_delay_alu instid0(SALU_CYCLE_1)
	s_or_b32 exec_lo, exec_lo, s10
.LBB24_314:
	s_delay_alu instid0(SALU_CYCLE_1)
	s_or_b32 exec_lo, exec_lo, s9
.LBB24_315:
	s_delay_alu instid0(SALU_CYCLE_1)
	s_or_b32 exec_lo, exec_lo, s6
.LBB24_316:
	s_delay_alu instid0(SALU_CYCLE_1)
	s_or_b32 exec_lo, exec_lo, s3
.LBB24_317:
	s_delay_alu instid0(SALU_CYCLE_1) | instskip(SKIP_3) | instid1(VALU_DEP_2)
	s_or_b32 exec_lo, exec_lo, s2
	v_dual_mul_f32 v65, v11, v27 :: v_dual_mov_b32 v64, 7
	v_mov_b32_e32 v27, 7
	s_mov_b32 s2, exec_lo
	v_cmpx_nle_f32_e64 0x40a00000, |v65|
	s_cbranch_execz .LBB24_329
; %bb.318:
	v_mov_b32_e32 v64, 6
	s_mov_b32 s3, exec_lo
	v_cmpx_nle_f32_e64 0x40600000, |v65|
	s_cbranch_execz .LBB24_328
; %bb.319:
	;; [unrolled: 5-line block ×5, first 2 shown]
	v_mov_b32_e32 v64, 2
	s_mov_b32 s11, exec_lo
	v_cmpx_nle_f32_e64 0x3f400000, |v65|
; %bb.323:
	v_cmp_le_f32_e64 s12, 0x3e800000, |v65|
	s_delay_alu instid0(VALU_DEP_1)
	v_cndmask_b32_e64 v64, 0, 1, s12
; %bb.324:
	s_or_b32 exec_lo, exec_lo, s11
.LBB24_325:
	s_delay_alu instid0(SALU_CYCLE_1)
	s_or_b32 exec_lo, exec_lo, s10
.LBB24_326:
	s_delay_alu instid0(SALU_CYCLE_1)
	s_or_b32 exec_lo, exec_lo, s9
.LBB24_327:
	s_delay_alu instid0(SALU_CYCLE_1)
	s_or_b32 exec_lo, exec_lo, s6
.LBB24_328:
	s_delay_alu instid0(SALU_CYCLE_1)
	s_or_b32 exec_lo, exec_lo, s3
.LBB24_329:
	s_delay_alu instid0(SALU_CYCLE_1) | instskip(SKIP_2) | instid1(VALU_DEP_1)
	s_or_b32 exec_lo, exec_lo, s2
	v_mul_f32_e32 v22, v11, v22
	s_mov_b32 s2, exec_lo
	v_cmpx_nle_f32_e64 0x40a00000, |v22|
	s_cbranch_execz .LBB24_341
; %bb.330:
	v_mov_b32_e32 v27, 6
	s_mov_b32 s3, exec_lo
	v_cmpx_nle_f32_e64 0x40600000, |v22|
	s_cbranch_execz .LBB24_340
; %bb.331:
	v_mov_b32_e32 v27, 5
	;; [unrolled: 5-line block ×5, first 2 shown]
	s_mov_b32 s11, exec_lo
	v_cmpx_nle_f32_e64 0x3f400000, |v22|
; %bb.335:
	v_cmp_le_f32_e64 s12, 0x3e800000, |v22|
	s_delay_alu instid0(VALU_DEP_1)
	v_cndmask_b32_e64 v27, 0, 1, s12
; %bb.336:
	s_or_b32 exec_lo, exec_lo, s11
.LBB24_337:
	s_delay_alu instid0(SALU_CYCLE_1)
	s_or_b32 exec_lo, exec_lo, s10
.LBB24_338:
	s_delay_alu instid0(SALU_CYCLE_1)
	s_or_b32 exec_lo, exec_lo, s9
.LBB24_339:
	s_delay_alu instid0(SALU_CYCLE_1)
	s_or_b32 exec_lo, exec_lo, s6
.LBB24_340:
	s_delay_alu instid0(SALU_CYCLE_1)
	s_or_b32 exec_lo, exec_lo, s3
.LBB24_341:
	s_delay_alu instid0(SALU_CYCLE_1) | instskip(SKIP_3) | instid1(VALU_DEP_2)
	s_or_b32 exec_lo, exec_lo, s2
	v_dual_mul_f32 v67, v11, v20 :: v_dual_mov_b32 v20, 7
	v_mov_b32_e32 v66, 7
	s_mov_b32 s2, exec_lo
	v_cmpx_nle_f32_e64 0x40a00000, |v67|
	s_cbranch_execz .LBB24_353
; %bb.342:
	v_mov_b32_e32 v66, 6
	s_mov_b32 s3, exec_lo
	v_cmpx_nle_f32_e64 0x40600000, |v67|
	s_cbranch_execz .LBB24_352
; %bb.343:
	v_mov_b32_e32 v66, 5
	s_mov_b32 s6, exec_lo
	v_cmpx_nle_f32_e64 0x40200000, |v67|
	s_cbranch_execz .LBB24_351
; %bb.344:
	v_mov_b32_e32 v66, 4
	s_mov_b32 s9, exec_lo
	v_cmpx_nle_f32_e64 0x3fe00000, |v67|
	s_cbranch_execz .LBB24_350
; %bb.345:
	v_mov_b32_e32 v66, 3
	s_mov_b32 s10, exec_lo
	v_cmpx_nle_f32_e64 0x3fa00000, |v67|
	s_cbranch_execz .LBB24_349
; %bb.346:
	v_mov_b32_e32 v66, 2
	s_mov_b32 s11, exec_lo
	v_cmpx_nle_f32_e64 0x3f400000, |v67|
; %bb.347:
	v_cmp_le_f32_e64 s12, 0x3e800000, |v67|
	s_delay_alu instid0(VALU_DEP_1)
	v_cndmask_b32_e64 v66, 0, 1, s12
; %bb.348:
	s_or_b32 exec_lo, exec_lo, s11
.LBB24_349:
	s_delay_alu instid0(SALU_CYCLE_1)
	s_or_b32 exec_lo, exec_lo, s10
.LBB24_350:
	s_delay_alu instid0(SALU_CYCLE_1)
	s_or_b32 exec_lo, exec_lo, s9
.LBB24_351:
	s_delay_alu instid0(SALU_CYCLE_1)
	s_or_b32 exec_lo, exec_lo, s6
.LBB24_352:
	s_delay_alu instid0(SALU_CYCLE_1)
	s_or_b32 exec_lo, exec_lo, s3
.LBB24_353:
	s_delay_alu instid0(SALU_CYCLE_1) | instskip(SKIP_2) | instid1(VALU_DEP_1)
	s_or_b32 exec_lo, exec_lo, s2
	v_mul_f32_e32 v16, v11, v16
	s_mov_b32 s2, exec_lo
	v_cmpx_nle_f32_e64 0x40a00000, |v16|
	s_cbranch_execz .LBB24_365
; %bb.354:
	v_mov_b32_e32 v20, 6
	s_mov_b32 s3, exec_lo
	v_cmpx_nle_f32_e64 0x40600000, |v16|
	s_cbranch_execz .LBB24_364
; %bb.355:
	v_mov_b32_e32 v20, 5
	;; [unrolled: 5-line block ×5, first 2 shown]
	s_mov_b32 s11, exec_lo
	v_cmpx_nle_f32_e64 0x3f400000, |v16|
; %bb.359:
	v_cmp_le_f32_e64 s12, 0x3e800000, |v16|
	s_delay_alu instid0(VALU_DEP_1)
	v_cndmask_b32_e64 v20, 0, 1, s12
; %bb.360:
	s_or_b32 exec_lo, exec_lo, s11
.LBB24_361:
	s_delay_alu instid0(SALU_CYCLE_1)
	s_or_b32 exec_lo, exec_lo, s10
.LBB24_362:
	s_delay_alu instid0(SALU_CYCLE_1)
	s_or_b32 exec_lo, exec_lo, s9
.LBB24_363:
	s_delay_alu instid0(SALU_CYCLE_1)
	s_or_b32 exec_lo, exec_lo, s6
.LBB24_364:
	s_delay_alu instid0(SALU_CYCLE_1)
	s_or_b32 exec_lo, exec_lo, s3
.LBB24_365:
	s_delay_alu instid0(SALU_CYCLE_1) | instskip(SKIP_3) | instid1(VALU_DEP_2)
	s_or_b32 exec_lo, exec_lo, s2
	v_dual_mul_f32 v69, v11, v14 :: v_dual_mov_b32 v14, 7
	v_mov_b32_e32 v68, 7
	s_mov_b32 s2, exec_lo
	v_cmpx_nle_f32_e64 0x40a00000, |v69|
	s_cbranch_execz .LBB24_377
; %bb.366:
	v_mov_b32_e32 v68, 6
	s_mov_b32 s3, exec_lo
	v_cmpx_nle_f32_e64 0x40600000, |v69|
	s_cbranch_execz .LBB24_376
; %bb.367:
	;; [unrolled: 5-line block ×5, first 2 shown]
	v_mov_b32_e32 v68, 2
	s_mov_b32 s11, exec_lo
	v_cmpx_nle_f32_e64 0x3f400000, |v69|
; %bb.371:
	v_cmp_le_f32_e64 s12, 0x3e800000, |v69|
	s_delay_alu instid0(VALU_DEP_1)
	v_cndmask_b32_e64 v68, 0, 1, s12
; %bb.372:
	s_or_b32 exec_lo, exec_lo, s11
.LBB24_373:
	s_delay_alu instid0(SALU_CYCLE_1)
	s_or_b32 exec_lo, exec_lo, s10
.LBB24_374:
	s_delay_alu instid0(SALU_CYCLE_1)
	s_or_b32 exec_lo, exec_lo, s9
.LBB24_375:
	s_delay_alu instid0(SALU_CYCLE_1)
	s_or_b32 exec_lo, exec_lo, s6
.LBB24_376:
	s_delay_alu instid0(SALU_CYCLE_1)
	s_or_b32 exec_lo, exec_lo, s3
.LBB24_377:
	s_delay_alu instid0(SALU_CYCLE_1) | instskip(SKIP_3) | instid1(VALU_DEP_1)
	s_or_b32 exec_lo, exec_lo, s2
	s_load_b64 s[2:3], s[0:1], 0x8
	v_mul_f32_e32 v9, v11, v9
	s_mov_b32 s6, exec_lo
	v_cmpx_nle_f32_e64 0x40a00000, |v9|
	s_cbranch_execz .LBB24_389
; %bb.378:
	v_mov_b32_e32 v14, 6
	s_mov_b32 s9, exec_lo
	v_cmpx_nle_f32_e64 0x40600000, |v9|
	s_cbranch_execz .LBB24_388
; %bb.379:
	v_mov_b32_e32 v14, 5
	;; [unrolled: 5-line block ×5, first 2 shown]
	s_mov_b32 s13, exec_lo
	v_cmpx_nle_f32_e64 0x3f400000, |v9|
; %bb.383:
	v_cmp_le_f32_e64 s14, 0x3e800000, |v9|
	s_delay_alu instid0(VALU_DEP_1)
	v_cndmask_b32_e64 v14, 0, 1, s14
; %bb.384:
	s_or_b32 exec_lo, exec_lo, s13
.LBB24_385:
	s_delay_alu instid0(SALU_CYCLE_1)
	s_or_b32 exec_lo, exec_lo, s12
.LBB24_386:
	s_delay_alu instid0(SALU_CYCLE_1)
	s_or_b32 exec_lo, exec_lo, s11
.LBB24_387:
	s_delay_alu instid0(SALU_CYCLE_1)
	s_or_b32 exec_lo, exec_lo, s10
.LBB24_388:
	s_delay_alu instid0(SALU_CYCLE_1)
	s_or_b32 exec_lo, exec_lo, s9
.LBB24_389:
	s_delay_alu instid0(SALU_CYCLE_1)
	s_or_b32 exec_lo, exec_lo, s6
	v_cmp_gt_f32_e32 vcc_lo, 0, v69
	v_lshlrev_b16 v7, 4, v7
	v_lshlrev_b16 v10, 4, v10
	;; [unrolled: 1-line block ×4, first 2 shown]
	v_cndmask_b32_e64 v11, 0, 1, vcc_lo
	v_cmp_gt_f32_e32 vcc_lo, 0, v67
	s_lshr_b32 s6, s4, 31
	s_load_b64 s[0:1], s[0:1], 0x10
	s_add_i32 s4, s4, s6
	v_lshlrev_b16 v11, 3, v11
	v_cndmask_b32_e64 v67, 0, 1, vcc_lo
	v_cmp_gt_f32_e32 vcc_lo, 0, v65
	s_ashr_i32 s4, s4, 1
	s_delay_alu instid0(SALU_CYCLE_1) | instskip(NEXT) | instid1(VALU_DEP_2)
	s_ashr_i32 s6, s4, 31
	v_lshlrev_b16 v67, 3, v67
	v_cndmask_b32_e64 v65, 0, 1, vcc_lo
	v_cmp_gt_f32_e32 vcc_lo, 0, v63
	v_or_b32_e32 v11, v11, v68
	v_mul_lo_u32 v1, v1, s4
	v_or_b32_e32 v66, v67, v66
	v_lshlrev_b16 v65, 3, v65
	v_cndmask_b32_e64 v63, 0, 1, vcc_lo
	v_cmp_gt_f32_e32 vcc_lo, 0, v60
	s_delay_alu instid0(VALU_DEP_3) | instskip(NEXT) | instid1(VALU_DEP_3)
	v_or_b32_e32 v64, v65, v64
	v_lshlrev_b16 v63, 3, v63
	v_cndmask_b32_e64 v60, 0, 1, vcc_lo
	v_cmp_gt_f32_e32 vcc_lo, 0, v59
	s_delay_alu instid0(VALU_DEP_3) | instskip(NEXT) | instid1(VALU_DEP_3)
	;; [unrolled: 5-line block ×11, first 2 shown]
	v_or_b32_e32 v12, v12, v13
	v_lshlrev_b16 v25, 3, v25
	v_cndmask_b32_e64 v19, 0, 1, vcc_lo
	v_cmp_gt_f32_e32 vcc_lo, 0, v6
	s_delay_alu instid0(VALU_DEP_2) | instskip(SKIP_2) | instid1(VALU_DEP_2)
	v_lshlrev_b16 v19, 3, v19
	v_cndmask_b32_e64 v6, 0, 1, vcc_lo
	v_cmp_gt_f32_e32 vcc_lo, 0, v8
	v_lshlrev_b16 v6, 3, v6
	v_cndmask_b32_e64 v8, 0, 1, vcc_lo
	v_cmp_gt_f32_e32 vcc_lo, 0, v15
	s_delay_alu instid0(VALU_DEP_3) | instskip(NEXT) | instid1(VALU_DEP_3)
	v_or_b32_e32 v5, v6, v5
	v_lshlrev_b16 v8, 7, v8
	v_cndmask_b32_e64 v13, 0, 1, vcc_lo
	v_cmp_gt_f32_e32 vcc_lo, 0, v21
	s_delay_alu instid0(VALU_DEP_3) | instskip(NEXT) | instid1(VALU_DEP_3)
	v_or_b32_e32 v6, v8, v7
	v_lshlrev_b16 v13, 7, v13
	v_cndmask_b32_e64 v15, 0, 1, vcc_lo
	v_lshlrev_b16 v8, 4, v18
	v_cmp_gt_f32_e32 vcc_lo, 0, v26
	v_or_b32_e32 v5, v6, v5
	v_or_b32_e32 v7, v13, v10
	v_lshlrev_b16 v10, 7, v15
	v_or_b32_e32 v15, v19, v17
	v_lshlrev_b16 v18, 4, v28
	v_lshlrev_b16 v19, 4, v34
	v_or_b32_e32 v6, v7, v12
	v_or_b32_e32 v7, v10, v8
	v_cndmask_b32_e64 v10, 0, 1, vcc_lo
	v_cmp_gt_f32_e32 vcc_lo, 0, v32
	v_lshlrev_b16 v8, 4, v23
	v_or_b32_e32 v13, v25, v24
	v_or_b32_e32 v7, v7, v15
	v_lshlrev_b16 v10, 7, v10
	v_cndmask_b32_e64 v12, 0, 1, vcc_lo
	v_cmp_gt_f32_e32 vcc_lo, 0, v38
	v_lshlrev_b16 v23, 4, v50
	v_lshlrev_b16 v24, 4, v45
	v_or_b32_e32 v8, v10, v8
	v_lshlrev_b16 v12, 7, v12
	v_cndmask_b32_e64 v17, 0, 1, vcc_lo
	v_cmp_gt_f32_e32 vcc_lo, 0, v42
	v_lshlrev_b16 v25, 4, v46
	v_or_b32_e32 v13, v8, v13
	v_or_b32_e32 v10, v12, v18
	v_lshlrev_b16 v17, 7, v17
	v_cndmask_b32_e64 v21, 0, 1, vcc_lo
	v_cmp_gt_f32_e32 vcc_lo, 0, v48
	v_lshlrev_b16 v6, 8, v6
	v_or_b32_e32 v10, v10, v30
	v_or_b32_e32 v12, v17, v19
	v_lshlrev_b16 v17, 4, v40
	v_lshlrev_b16 v18, 7, v21
	v_cndmask_b32_e64 v15, 0, 1, vcc_lo
	v_cmp_gt_f32_e32 vcc_lo, 0, v53
	v_or_b32_e32 v12, v12, v36
	v_lshlrev_b16 v13, 8, v13
	v_or_b32_e32 v8, v18, v17
	v_lshlrev_b16 v17, 4, v52
	v_cndmask_b32_e64 v18, 0, 1, vcc_lo
	v_cmp_gt_f32_e32 vcc_lo, 0, v47
	v_lshlrev_b16 v15, 7, v15
	v_or_b32_e32 v5, v5, v6
	v_or_b32_e32 v6, v7, v13
	v_lshlrev_b16 v18, 7, v18
	v_cndmask_b32_e64 v19, 0, 1, vcc_lo
	v_cmp_gt_f32_e32 vcc_lo, 0, v41
	v_mul_lo_u32 v13, v0, s6
	v_and_b32_e32 v5, 0xffff, v5
	v_or_b32_e32 v17, v18, v17
	v_lshlrev_b16 v19, 7, v19
	v_cndmask_b32_e64 v21, 0, 1, vcc_lo
	v_cmp_gt_f32_e32 vcc_lo, 0, v22
	s_delay_alu instid0(VALU_DEP_3) | instskip(NEXT) | instid1(VALU_DEP_3)
	v_or_b32_e32 v18, v19, v23
	v_lshlrev_b16 v21, 7, v21
	v_cndmask_b32_e64 v22, 0, 1, vcc_lo
	v_cmp_gt_f32_e32 vcc_lo, 0, v29
	v_lshlrev_b16 v23, 4, v33
	s_delay_alu instid0(VALU_DEP_4)
	v_or_b32_e32 v19, v21, v24
	v_or_b32_e32 v21, v8, v43
	v_cndmask_b32_e64 v24, 0, 1, vcc_lo
	v_cmp_gt_f32_e32 vcc_lo, 0, v9
	v_or_b32_e32 v8, v15, v25
	v_lshlrev_b16 v25, 4, v27
	v_lshlrev_b16 v22, 7, v22
	;; [unrolled: 1-line block ×3, first 2 shown]
	v_cndmask_b32_e64 v9, 0, 1, vcc_lo
	v_cmp_gt_f32_e32 vcc_lo, 0, v16
	v_or_b32_e32 v15, v17, v54
	v_or_b32_e32 v22, v22, v25
	v_or_b32_e32 v17, v18, v56
	v_lshlrev_b16 v9, 7, v9
	v_cndmask_b32_e64 v16, 0, 1, vcc_lo
	v_cmp_gt_f32_e32 vcc_lo, 0, v35
	v_or_b32_e32 v18, v19, v58
	v_lshlrev_b16 v19, 4, v39
	v_or_b32_e32 v9, v9, v14
	v_lshlrev_b16 v16, 7, v16
	v_cndmask_b32_e64 v14, 0, 1, vcc_lo
	v_or_b32_e32 v23, v24, v23
	s_delay_alu instid0(VALU_DEP_4) | instskip(NEXT) | instid1(VALU_DEP_4)
	v_or_b32_e32 v9, v9, v11
	v_or_b32_e32 v16, v16, v20
	;; [unrolled: 1-line block ×3, first 2 shown]
	v_lshlrev_b16 v11, 7, v14
	v_or_b32_e32 v14, v23, v62
	v_lshlrev_b16 v9, 8, v9
	v_or_b32_e32 v16, v16, v66
	;; [unrolled: 2-line block ×3, first 2 shown]
	s_delay_alu instid0(VALU_DEP_3) | instskip(NEXT) | instid1(VALU_DEP_3)
	v_or_b32_e32 v9, v16, v9
	v_or_b32_e32 v14, v14, v20
	s_delay_alu instid0(VALU_DEP_3) | instskip(SKIP_1) | instid1(VALU_DEP_4)
	v_or_b32_e32 v11, v11, v60
	v_lshlrev_b16 v16, 8, v17
	v_lshlrev_b32_e32 v9, 16, v9
	s_delay_alu instid0(VALU_DEP_4) | instskip(NEXT) | instid1(VALU_DEP_4)
	v_and_b32_e32 v14, 0xffff, v14
	v_lshlrev_b16 v11, 8, v11
	s_delay_alu instid0(VALU_DEP_4) | instskip(SKIP_1) | instid1(VALU_DEP_4)
	v_or_b32_e32 v15, v15, v16
	v_or_b32_e32 v16, v8, v49
	;; [unrolled: 1-line block ×3, first 2 shown]
	s_delay_alu instid0(VALU_DEP_4) | instskip(SKIP_1) | instid1(VALU_DEP_4)
	v_or_b32_e32 v9, v18, v11
	v_lshlrev_b16 v11, 8, v12
	v_lshlrev_b16 v12, 8, v16
	v_and_b32_e32 v14, 0xffff, v15
	v_lshlrev_b32_e32 v16, 16, v6
	v_lshlrev_b32_e32 v15, 16, v9
	v_or_b32_e32 v11, v10, v11
	s_waitcnt lgkmcnt(0)
	v_mad_u64_u32 v[9:10], null, v0, s4, s[2:3]
	v_or_b32_e32 v12, v21, v12
	v_or_b32_e32 v7, v14, v15
	v_lshlrev_b32_e32 v14, 4, v4
	v_and_b32_e32 v11, 0xffff, v11
	v_or_b32_e32 v5, v5, v16
	v_lshlrev_b32_e32 v12, 16, v12
	v_add3_u32 v1, v1, v10, v13
	v_add_co_u32 v9, vcc_lo, v9, v14
	s_and_b32 s2, s7, 1
	s_delay_alu instid0(VALU_DEP_3) | instskip(NEXT) | instid1(VALU_DEP_3)
	v_or_b32_e32 v6, v11, v12
	v_add_co_ci_u32_e32 v10, vcc_lo, 0, v1, vcc_lo
	s_cmp_eq_u32 s2, 0
	s_mov_b32 s2, 0
	global_store_b128 v[9:10], v[5:8], off
	s_cbranch_scc0 .LBB24_391
; %bb.390:
	v_ashrrev_i32_e32 v1, 31, v0
	s_delay_alu instid0(VALU_DEP_1) | instskip(NEXT) | instid1(VALU_DEP_1)
	v_lshrrev_b32_e32 v1, 27, v1
	v_add_nc_u32_e32 v1, v0, v1
	s_delay_alu instid0(VALU_DEP_1) | instskip(NEXT) | instid1(VALU_DEP_1)
	v_and_b32_e32 v5, 0xffe0, v1
	v_sub_nc_u32_e32 v5, v0, v5
	s_delay_alu instid0(VALU_DEP_1) | instskip(NEXT) | instid1(VALU_DEP_1)
	v_bfe_i32 v6, v5, 0, 8
	v_lshrrev_b16 v6, 11, v6
	s_delay_alu instid0(VALU_DEP_1) | instskip(NEXT) | instid1(VALU_DEP_1)
	v_and_b32_e32 v6, 15, v6
	v_add_nc_u16 v5, v5, v6
	s_delay_alu instid0(VALU_DEP_1) | instskip(NEXT) | instid1(VALU_DEP_1)
	v_bfe_i32 v5, v5, 0, 8
	v_ashrrev_i16 v6, 4, v5
	v_ashrrev_i32_e32 v5, 5, v1
	s_delay_alu instid0(VALU_DEP_2)
	v_bfe_i32 v1, v6, 0, 16
	s_and_not1_b32 vcc_lo, exec_lo, s2
	s_cbranch_vccz .LBB24_392
	s_branch .LBB24_393
.LBB24_391:
                                        ; implicit-def: $vgpr5
                                        ; implicit-def: $vgpr1
.LBB24_392:
	s_lshr_b32 s2, s8, 31
	v_sub_nc_u32_e32 v6, 0, v0
	s_add_i32 s2, s8, s2
	s_delay_alu instid0(SALU_CYCLE_1) | instskip(NEXT) | instid1(VALU_DEP_1)
	s_ashr_i32 s2, s2, 1
	v_max_i32_e32 v6, v0, v6
	s_abs_i32 s3, s2
	s_delay_alu instid0(SALU_CYCLE_1) | instskip(SKIP_1) | instid1(VALU_DEP_1)
	v_cvt_f32_u32_e32 v1, s3
	s_sub_i32 s4, 0, s3
	v_rcp_iflag_f32_e32 v1, v1
	s_waitcnt_depctr 0xfff
	v_mul_f32_e32 v1, 0x4f7ffffe, v1
	s_delay_alu instid0(VALU_DEP_1) | instskip(NEXT) | instid1(VALU_DEP_1)
	v_cvt_u32_f32_e32 v1, v1
	v_mul_lo_u32 v5, s4, v1
	s_delay_alu instid0(VALU_DEP_1) | instskip(NEXT) | instid1(VALU_DEP_1)
	v_mul_hi_u32 v5, v1, v5
	v_add_nc_u32_e32 v1, v1, v5
	s_delay_alu instid0(VALU_DEP_1) | instskip(NEXT) | instid1(VALU_DEP_1)
	v_mul_hi_u32 v1, v6, v1
	v_mul_lo_u32 v5, v1, s3
	s_delay_alu instid0(VALU_DEP_1) | instskip(NEXT) | instid1(VALU_DEP_1)
	v_sub_nc_u32_e32 v5, v6, v5
	v_subrev_nc_u32_e32 v7, s3, v5
	v_cmp_le_u32_e32 vcc_lo, s3, v5
	s_delay_alu instid0(VALU_DEP_2) | instskip(NEXT) | instid1(VALU_DEP_1)
	v_dual_cndmask_b32 v5, v5, v7 :: v_dual_add_nc_u32 v6, 1, v1
	v_cndmask_b32_e32 v1, v1, v6, vcc_lo
	v_xor_b32_e32 v6, s2, v0
	s_delay_alu instid0(VALU_DEP_3) | instskip(NEXT) | instid1(VALU_DEP_3)
	v_cmp_le_u32_e32 vcc_lo, s3, v5
	v_add_nc_u32_e32 v7, 1, v1
	s_delay_alu instid0(VALU_DEP_3) | instskip(NEXT) | instid1(VALU_DEP_2)
	v_ashrrev_i32_e32 v6, 31, v6
	v_cndmask_b32_e32 v1, v1, v7, vcc_lo
	s_delay_alu instid0(VALU_DEP_1) | instskip(NEXT) | instid1(VALU_DEP_1)
	v_xor_b32_e32 v1, v1, v6
	v_sub_nc_u32_e32 v1, v1, v6
	s_delay_alu instid0(VALU_DEP_1) | instskip(NEXT) | instid1(VALU_DEP_1)
	v_mul_lo_u32 v5, v1, s2
	v_sub_nc_u32_e32 v0, v0, v5
	s_delay_alu instid0(VALU_DEP_1) | instskip(NEXT) | instid1(VALU_DEP_1)
	v_ashrrev_i32_e32 v5, 31, v0
	v_lshrrev_b32_e32 v5, 28, v5
	s_delay_alu instid0(VALU_DEP_1) | instskip(NEXT) | instid1(VALU_DEP_1)
	v_add_nc_u32_e32 v5, v0, v5
	v_ashrrev_i32_e32 v5, 4, v5
.LBB24_393:
	v_ashrrev_i32_e32 v6, 31, v0
	v_lshlrev_b32_e32 v7, 6, v4
	v_lshrrev_b32_e32 v4, 1, v4
	v_and_b32_e32 v2, 0x7fffff00, v2
	s_lshl_b32 s2, s5, 5
	v_lshrrev_b32_e32 v6, 28, v6
	v_and_b32_e32 v7, 0xc0, v7
	v_and_b32_e32 v4, 2, v4
	s_and_b32 s2, s2, 0x7fffff00
	s_delay_alu instid0(VALU_DEP_3) | instskip(NEXT) | instid1(VALU_DEP_2)
	v_add_nc_u32_e32 v6, v0, v6
	v_or3_b32 v2, v7, v2, v4
	v_mul_lo_u32 v4, v5, s2
	s_delay_alu instid0(VALU_DEP_3) | instskip(NEXT) | instid1(VALU_DEP_3)
	v_and_b32_e32 v6, 0x3ffffff0, v6
	v_add_nc_u32_e32 v1, v2, v1
	v_lshrrev_b32_e32 v2, 23, v3
	s_delay_alu instid0(VALU_DEP_3) | instskip(NEXT) | instid1(VALU_DEP_1)
	v_sub_nc_u32_e32 v0, v0, v6
	v_lshlrev_b32_e32 v0, 2, v0
	s_delay_alu instid0(VALU_DEP_1) | instskip(NEXT) | instid1(VALU_DEP_1)
	v_add3_u32 v0, v1, v0, v4
	v_ashrrev_i32_e32 v1, 31, v0
	v_add_co_u32 v0, vcc_lo, s0, v0
	s_delay_alu instid0(VALU_DEP_2)
	v_add_co_ci_u32_e32 v1, vcc_lo, s1, v1, vcc_lo
	global_store_b8 v[0:1], v2, off
.LBB24_394:
	s_nop 0
	s_sendmsg sendmsg(MSG_DEALLOC_VGPRS)
	s_endpgm
	.section	.rodata,"a",@progbits
	.p2align	6, 0x0
	.amdhsa_kernel _ZN5aiter18quant_mxfp4_kernelI12hip_bfloat16LNS_16MxScaleRoundModeE0ELb0ELb1ELb0EEEvPKT_PhPfliiib
		.amdhsa_group_segment_fixed_size 0
		.amdhsa_private_segment_fixed_size 0
		.amdhsa_kernarg_size 304
		.amdhsa_user_sgpr_count 15
		.amdhsa_user_sgpr_dispatch_ptr 0
		.amdhsa_user_sgpr_queue_ptr 0
		.amdhsa_user_sgpr_kernarg_segment_ptr 1
		.amdhsa_user_sgpr_dispatch_id 0
		.amdhsa_user_sgpr_private_segment_size 0
		.amdhsa_wavefront_size32 1
		.amdhsa_uses_dynamic_stack 0
		.amdhsa_enable_private_segment 0
		.amdhsa_system_sgpr_workgroup_id_x 1
		.amdhsa_system_sgpr_workgroup_id_y 0
		.amdhsa_system_sgpr_workgroup_id_z 0
		.amdhsa_system_sgpr_workgroup_info 0
		.amdhsa_system_vgpr_workitem_id 0
		.amdhsa_next_free_vgpr 70
		.amdhsa_next_free_sgpr 16
		.amdhsa_reserve_vcc 1
		.amdhsa_float_round_mode_32 0
		.amdhsa_float_round_mode_16_64 0
		.amdhsa_float_denorm_mode_32 3
		.amdhsa_float_denorm_mode_16_64 3
		.amdhsa_dx10_clamp 1
		.amdhsa_ieee_mode 1
		.amdhsa_fp16_overflow 0
		.amdhsa_workgroup_processor_mode 1
		.amdhsa_memory_ordered 1
		.amdhsa_forward_progress 0
		.amdhsa_shared_vgpr_count 0
		.amdhsa_exception_fp_ieee_invalid_op 0
		.amdhsa_exception_fp_denorm_src 0
		.amdhsa_exception_fp_ieee_div_zero 0
		.amdhsa_exception_fp_ieee_overflow 0
		.amdhsa_exception_fp_ieee_underflow 0
		.amdhsa_exception_fp_ieee_inexact 0
		.amdhsa_exception_int_div_zero 0
	.end_amdhsa_kernel
	.section	.text._ZN5aiter18quant_mxfp4_kernelI12hip_bfloat16LNS_16MxScaleRoundModeE0ELb0ELb1ELb0EEEvPKT_PhPfliiib,"axG",@progbits,_ZN5aiter18quant_mxfp4_kernelI12hip_bfloat16LNS_16MxScaleRoundModeE0ELb0ELb1ELb0EEEvPKT_PhPfliiib,comdat
.Lfunc_end24:
	.size	_ZN5aiter18quant_mxfp4_kernelI12hip_bfloat16LNS_16MxScaleRoundModeE0ELb0ELb1ELb0EEEvPKT_PhPfliiib, .Lfunc_end24-_ZN5aiter18quant_mxfp4_kernelI12hip_bfloat16LNS_16MxScaleRoundModeE0ELb0ELb1ELb0EEEvPKT_PhPfliiib
                                        ; -- End function
	.section	.AMDGPU.csdata,"",@progbits
; Kernel info:
; codeLenInByte = 10352
; NumSgprs: 18
; NumVgprs: 70
; ScratchSize: 0
; MemoryBound: 0
; FloatMode: 240
; IeeeMode: 1
; LDSByteSize: 0 bytes/workgroup (compile time only)
; SGPRBlocks: 2
; VGPRBlocks: 8
; NumSGPRsForWavesPerEU: 18
; NumVGPRsForWavesPerEU: 70
; Occupancy: 16
; WaveLimiterHint : 0
; COMPUTE_PGM_RSRC2:SCRATCH_EN: 0
; COMPUTE_PGM_RSRC2:USER_SGPR: 15
; COMPUTE_PGM_RSRC2:TRAP_HANDLER: 0
; COMPUTE_PGM_RSRC2:TGID_X_EN: 1
; COMPUTE_PGM_RSRC2:TGID_Y_EN: 0
; COMPUTE_PGM_RSRC2:TGID_Z_EN: 0
; COMPUTE_PGM_RSRC2:TIDIG_COMP_CNT: 0
	.section	.text._ZN5aiter18quant_mxfp4_kernelI12hip_bfloat16LNS_16MxScaleRoundModeE0ELb0ELb0ELb0EEEvPKT_PhPfliiib,"axG",@progbits,_ZN5aiter18quant_mxfp4_kernelI12hip_bfloat16LNS_16MxScaleRoundModeE0ELb0ELb0ELb0EEEvPKT_PhPfliiib,comdat
	.protected	_ZN5aiter18quant_mxfp4_kernelI12hip_bfloat16LNS_16MxScaleRoundModeE0ELb0ELb0ELb0EEEvPKT_PhPfliiib ; -- Begin function _ZN5aiter18quant_mxfp4_kernelI12hip_bfloat16LNS_16MxScaleRoundModeE0ELb0ELb0ELb0EEEvPKT_PhPfliiib
	.globl	_ZN5aiter18quant_mxfp4_kernelI12hip_bfloat16LNS_16MxScaleRoundModeE0ELb0ELb0ELb0EEEvPKT_PhPfliiib
	.p2align	8
	.type	_ZN5aiter18quant_mxfp4_kernelI12hip_bfloat16LNS_16MxScaleRoundModeE0ELb0ELb0ELb0EEEvPKT_PhPfliiib,@function
_ZN5aiter18quant_mxfp4_kernelI12hip_bfloat16LNS_16MxScaleRoundModeE0ELb0ELb0ELb0EEEvPKT_PhPfliiib: ; @_ZN5aiter18quant_mxfp4_kernelI12hip_bfloat16LNS_16MxScaleRoundModeE0ELb0ELb0ELb0EEEvPKT_PhPfliiib
; %bb.0:
	s_clause 0x1
	s_load_b32 s2, s[0:1], 0x3c
	s_load_b128 s[4:7], s[0:1], 0x20
	v_mov_b32_e32 v1, 0
	s_mov_b32 s3, exec_lo
	s_delay_alu instid0(VALU_DEP_1) | instskip(SKIP_2) | instid1(SALU_CYCLE_1)
	v_mov_b32_e32 v4, v1
	s_waitcnt lgkmcnt(0)
	s_and_b32 s2, s2, 0xffff
	v_mad_u64_u32 v[2:3], null, s2, s15, v[0:1]
	s_ashr_i32 s2, s6, 31
                                        ; implicit-def: $vgpr0_vgpr1
	s_delay_alu instid0(VALU_DEP_1) | instid1(SALU_CYCLE_1)
	v_or_b32_e32 v5, s2, v3
	s_delay_alu instid0(VALU_DEP_1)
	v_cmpx_ne_u64_e32 0, v[4:5]
	s_xor_b32 s3, exec_lo, s3
	s_cbranch_execz .LBB25_2
; %bb.1:
	s_add_u32 s10, s6, s2
	s_mov_b32 s8, s2
	s_mov_b32 s9, s2
	s_addc_u32 s11, s2, s2
	s_delay_alu instid0(SALU_CYCLE_1) | instskip(NEXT) | instid1(SALU_CYCLE_1)
	s_xor_b64 s[10:11], s[10:11], s[8:9]
	v_cvt_f32_u32_e32 v0, s10
	v_cvt_f32_u32_e32 v1, s11
	s_sub_u32 s2, 0, s10
	s_subb_u32 s7, 0, s11
	s_delay_alu instid0(VALU_DEP_1) | instskip(NEXT) | instid1(VALU_DEP_1)
	v_fmamk_f32 v0, v1, 0x4f800000, v0
	v_rcp_f32_e32 v0, v0
	s_waitcnt_depctr 0xfff
	v_mul_f32_e32 v0, 0x5f7ffffc, v0
	s_delay_alu instid0(VALU_DEP_1) | instskip(NEXT) | instid1(VALU_DEP_1)
	v_mul_f32_e32 v1, 0x2f800000, v0
	v_trunc_f32_e32 v1, v1
	s_delay_alu instid0(VALU_DEP_1) | instskip(SKIP_1) | instid1(VALU_DEP_2)
	v_fmamk_f32 v0, v1, 0xcf800000, v0
	v_cvt_u32_f32_e32 v1, v1
	v_cvt_u32_f32_e32 v0, v0
	s_delay_alu instid0(VALU_DEP_2) | instskip(NEXT) | instid1(VALU_DEP_2)
	v_mul_lo_u32 v4, s2, v1
	v_mul_hi_u32 v5, s2, v0
	v_mul_lo_u32 v6, s7, v0
	s_delay_alu instid0(VALU_DEP_2) | instskip(SKIP_1) | instid1(VALU_DEP_2)
	v_add_nc_u32_e32 v4, v5, v4
	v_mul_lo_u32 v5, s2, v0
	v_add_nc_u32_e32 v4, v4, v6
	s_delay_alu instid0(VALU_DEP_2) | instskip(NEXT) | instid1(VALU_DEP_2)
	v_mul_hi_u32 v6, v0, v5
	v_mul_lo_u32 v7, v0, v4
	v_mul_hi_u32 v8, v0, v4
	v_mul_hi_u32 v9, v1, v5
	v_mul_lo_u32 v5, v1, v5
	v_mul_hi_u32 v10, v1, v4
	v_mul_lo_u32 v4, v1, v4
	v_add_co_u32 v6, vcc_lo, v6, v7
	v_add_co_ci_u32_e32 v7, vcc_lo, 0, v8, vcc_lo
	s_delay_alu instid0(VALU_DEP_2) | instskip(NEXT) | instid1(VALU_DEP_2)
	v_add_co_u32 v5, vcc_lo, v6, v5
	v_add_co_ci_u32_e32 v5, vcc_lo, v7, v9, vcc_lo
	v_add_co_ci_u32_e32 v6, vcc_lo, 0, v10, vcc_lo
	v_ashrrev_i32_e32 v9, 31, v3
	s_delay_alu instid0(VALU_DEP_3) | instskip(NEXT) | instid1(VALU_DEP_3)
	v_add_co_u32 v4, vcc_lo, v5, v4
	v_add_co_ci_u32_e32 v5, vcc_lo, 0, v6, vcc_lo
	s_delay_alu instid0(VALU_DEP_2) | instskip(NEXT) | instid1(VALU_DEP_2)
	v_add_co_u32 v0, vcc_lo, v0, v4
	v_add_co_ci_u32_e32 v1, vcc_lo, v1, v5, vcc_lo
	s_delay_alu instid0(VALU_DEP_2) | instskip(SKIP_1) | instid1(VALU_DEP_3)
	v_mul_hi_u32 v4, s2, v0
	v_mul_lo_u32 v6, s7, v0
	v_mul_lo_u32 v5, s2, v1
	s_delay_alu instid0(VALU_DEP_1) | instskip(SKIP_1) | instid1(VALU_DEP_2)
	v_add_nc_u32_e32 v4, v4, v5
	v_mul_lo_u32 v5, s2, v0
	v_add_nc_u32_e32 v4, v4, v6
	s_delay_alu instid0(VALU_DEP_2) | instskip(NEXT) | instid1(VALU_DEP_2)
	v_mul_hi_u32 v6, v0, v5
	v_mul_lo_u32 v7, v0, v4
	v_mul_hi_u32 v8, v0, v4
	v_mul_hi_u32 v10, v1, v5
	v_mul_lo_u32 v5, v1, v5
	v_mul_hi_u32 v11, v1, v4
	v_mul_lo_u32 v4, v1, v4
	v_add_co_u32 v6, vcc_lo, v6, v7
	v_add_co_ci_u32_e32 v7, vcc_lo, 0, v8, vcc_lo
	s_delay_alu instid0(VALU_DEP_2) | instskip(NEXT) | instid1(VALU_DEP_2)
	v_add_co_u32 v5, vcc_lo, v6, v5
	v_add_co_ci_u32_e32 v5, vcc_lo, v7, v10, vcc_lo
	v_add_co_ci_u32_e32 v6, vcc_lo, 0, v11, vcc_lo
	v_add_co_u32 v7, vcc_lo, v2, v9
	v_add_co_ci_u32_e32 v3, vcc_lo, v3, v9, vcc_lo
	s_delay_alu instid0(VALU_DEP_4) | instskip(NEXT) | instid1(VALU_DEP_4)
	v_add_co_u32 v4, vcc_lo, v5, v4
	v_add_co_ci_u32_e32 v5, vcc_lo, 0, v6, vcc_lo
	s_delay_alu instid0(VALU_DEP_4) | instskip(NEXT) | instid1(VALU_DEP_3)
	v_xor_b32_e32 v7, v7, v9
	v_add_co_u32 v6, vcc_lo, v0, v4
	s_delay_alu instid0(VALU_DEP_3) | instskip(SKIP_1) | instid1(VALU_DEP_3)
	v_add_co_ci_u32_e32 v8, vcc_lo, v1, v5, vcc_lo
	v_xor_b32_e32 v10, v3, v9
	v_mul_hi_u32 v11, v7, v6
	s_delay_alu instid0(VALU_DEP_3) | instskip(NEXT) | instid1(VALU_DEP_3)
	v_mad_u64_u32 v[0:1], null, v7, v8, 0
	v_mad_u64_u32 v[3:4], null, v10, v6, 0
	;; [unrolled: 1-line block ×3, first 2 shown]
	s_delay_alu instid0(VALU_DEP_3) | instskip(NEXT) | instid1(VALU_DEP_4)
	v_add_co_u32 v0, vcc_lo, v11, v0
	v_add_co_ci_u32_e32 v1, vcc_lo, 0, v1, vcc_lo
	s_delay_alu instid0(VALU_DEP_2) | instskip(NEXT) | instid1(VALU_DEP_2)
	v_add_co_u32 v0, vcc_lo, v0, v3
	v_add_co_ci_u32_e32 v0, vcc_lo, v1, v4, vcc_lo
	v_add_co_ci_u32_e32 v1, vcc_lo, 0, v6, vcc_lo
	s_delay_alu instid0(VALU_DEP_2) | instskip(NEXT) | instid1(VALU_DEP_2)
	v_add_co_u32 v3, vcc_lo, v0, v5
	v_add_co_ci_u32_e32 v4, vcc_lo, 0, v1, vcc_lo
	s_delay_alu instid0(VALU_DEP_2) | instskip(SKIP_1) | instid1(VALU_DEP_3)
	v_mul_lo_u32 v5, s11, v3
	v_mad_u64_u32 v[0:1], null, s10, v3, 0
	v_mul_lo_u32 v6, s10, v4
	s_delay_alu instid0(VALU_DEP_2) | instskip(NEXT) | instid1(VALU_DEP_2)
	v_sub_co_u32 v0, vcc_lo, v7, v0
	v_add3_u32 v1, v1, v6, v5
	s_delay_alu instid0(VALU_DEP_1) | instskip(NEXT) | instid1(VALU_DEP_1)
	v_sub_nc_u32_e32 v5, v10, v1
	v_subrev_co_ci_u32_e64 v5, s2, s11, v5, vcc_lo
	v_add_co_u32 v6, s2, v3, 2
	s_delay_alu instid0(VALU_DEP_1) | instskip(SKIP_3) | instid1(VALU_DEP_3)
	v_add_co_ci_u32_e64 v7, s2, 0, v4, s2
	v_sub_co_u32 v8, s2, v0, s10
	v_sub_co_ci_u32_e32 v1, vcc_lo, v10, v1, vcc_lo
	v_subrev_co_ci_u32_e64 v5, s2, 0, v5, s2
	v_cmp_le_u32_e32 vcc_lo, s10, v8
	s_delay_alu instid0(VALU_DEP_3) | instskip(SKIP_1) | instid1(VALU_DEP_4)
	v_cmp_eq_u32_e64 s2, s11, v1
	v_cndmask_b32_e64 v8, 0, -1, vcc_lo
	v_cmp_le_u32_e32 vcc_lo, s11, v5
	v_cndmask_b32_e64 v10, 0, -1, vcc_lo
	v_cmp_le_u32_e32 vcc_lo, s10, v0
	;; [unrolled: 2-line block ×3, first 2 shown]
	v_cndmask_b32_e64 v11, 0, -1, vcc_lo
	v_cmp_eq_u32_e32 vcc_lo, s11, v5
	s_delay_alu instid0(VALU_DEP_2) | instskip(SKIP_3) | instid1(VALU_DEP_3)
	v_cndmask_b32_e64 v0, v11, v0, s2
	v_cndmask_b32_e32 v5, v10, v8, vcc_lo
	v_add_co_u32 v8, vcc_lo, v3, 1
	v_add_co_ci_u32_e32 v10, vcc_lo, 0, v4, vcc_lo
	v_cmp_ne_u32_e32 vcc_lo, 0, v5
	s_delay_alu instid0(VALU_DEP_2) | instskip(NEXT) | instid1(VALU_DEP_4)
	v_cndmask_b32_e32 v1, v10, v7, vcc_lo
	v_cndmask_b32_e32 v5, v8, v6, vcc_lo
	v_cmp_ne_u32_e32 vcc_lo, 0, v0
	v_xor_b32_e32 v0, s8, v9
	s_delay_alu instid0(VALU_DEP_3) | instskip(SKIP_2) | instid1(VALU_DEP_3)
	v_cndmask_b32_e32 v3, v3, v5, vcc_lo
	v_cndmask_b32_e32 v1, v4, v1, vcc_lo
	v_xor_b32_e32 v4, s9, v9
	v_xor_b32_e32 v3, v3, v0
	s_delay_alu instid0(VALU_DEP_2) | instskip(NEXT) | instid1(VALU_DEP_2)
	v_xor_b32_e32 v1, v1, v4
	v_sub_co_u32 v0, vcc_lo, v3, v0
	s_delay_alu instid0(VALU_DEP_2)
	v_sub_co_ci_u32_e32 v1, vcc_lo, v1, v4, vcc_lo
.LBB25_2:
	s_and_not1_saveexec_b32 s2, s3
	s_cbranch_execz .LBB25_4
; %bb.3:
	v_cvt_f32_u32_e32 v0, s6
	s_sub_i32 s3, 0, s6
	s_delay_alu instid0(VALU_DEP_1) | instskip(SKIP_2) | instid1(VALU_DEP_1)
	v_rcp_iflag_f32_e32 v0, v0
	s_waitcnt_depctr 0xfff
	v_mul_f32_e32 v0, 0x4f7ffffe, v0
	v_cvt_u32_f32_e32 v0, v0
	s_delay_alu instid0(VALU_DEP_1) | instskip(NEXT) | instid1(VALU_DEP_1)
	v_mul_lo_u32 v1, s3, v0
	v_mul_hi_u32 v1, v0, v1
	s_delay_alu instid0(VALU_DEP_1) | instskip(NEXT) | instid1(VALU_DEP_1)
	v_add_nc_u32_e32 v0, v0, v1
	v_mul_hi_u32 v0, v2, v0
	s_delay_alu instid0(VALU_DEP_1) | instskip(SKIP_1) | instid1(VALU_DEP_2)
	v_mul_lo_u32 v1, v0, s6
	v_add_nc_u32_e32 v3, 1, v0
	v_sub_nc_u32_e32 v1, v2, v1
	s_delay_alu instid0(VALU_DEP_1) | instskip(SKIP_1) | instid1(VALU_DEP_2)
	v_subrev_nc_u32_e32 v4, s6, v1
	v_cmp_le_u32_e32 vcc_lo, s6, v1
	v_dual_cndmask_b32 v1, v1, v4 :: v_dual_cndmask_b32 v0, v0, v3
	s_delay_alu instid0(VALU_DEP_1) | instskip(NEXT) | instid1(VALU_DEP_2)
	v_cmp_le_u32_e32 vcc_lo, s6, v1
	v_add_nc_u32_e32 v3, 1, v0
	s_delay_alu instid0(VALU_DEP_1)
	v_dual_mov_b32 v1, 0 :: v_dual_cndmask_b32 v0, v0, v3
.LBB25_4:
	s_or_b32 exec_lo, exec_lo, s2
	s_load_b64 s[2:3], s[0:1], 0x18
	s_delay_alu instid0(VALU_DEP_1) | instskip(NEXT) | instid1(VALU_DEP_1)
	v_mad_u64_u32 v[3:4], null, v0, s6, 0
	v_sub_co_u32 v2, null, v2, v3
	s_waitcnt lgkmcnt(0)
	v_cmp_gt_i64_e32 vcc_lo, s[2:3], v[0:1]
	s_delay_alu instid0(VALU_DEP_2) | instskip(NEXT) | instid1(VALU_DEP_1)
	v_cmp_gt_i32_e64 s2, s5, v2
	s_and_b32 s2, vcc_lo, s2
	s_delay_alu instid0(SALU_CYCLE_1)
	s_and_saveexec_b32 s3, s2
	s_cbranch_execz .LBB25_390
; %bb.5:
	s_ashr_i32 s6, s4, 31
	s_load_b64 s[2:3], s[0:1], 0x0
	v_mul_lo_u32 v5, v1, s4
	v_mad_u64_u32 v[3:4], null, v0, s4, 0
	v_mul_lo_u32 v6, v0, s6
	s_delay_alu instid0(VALU_DEP_1) | instskip(SKIP_1) | instid1(VALU_DEP_2)
	v_add3_u32 v4, v4, v6, v5
	v_dual_mov_b32 v6, 0 :: v_dual_lshlrev_b32 v5, 5, v2
	v_lshlrev_b64 v[3:4], 1, v[3:4]
	s_delay_alu instid0(VALU_DEP_2) | instskip(SKIP_1) | instid1(VALU_DEP_2)
	v_lshlrev_b64 v[5:6], 1, v[5:6]
	s_waitcnt lgkmcnt(0)
	v_add_co_u32 v3, vcc_lo, s2, v3
	s_delay_alu instid0(VALU_DEP_3) | instskip(SKIP_1) | instid1(VALU_DEP_2)
	v_add_co_ci_u32_e32 v4, vcc_lo, s3, v4, vcc_lo
	s_mov_b32 s2, exec_lo
	v_add_co_u32 v7, vcc_lo, v3, v5
	s_delay_alu instid0(VALU_DEP_2)
	v_add_co_ci_u32_e32 v8, vcc_lo, v4, v6, vcc_lo
	s_clause 0x3
	global_load_b128 v[3:6], v[7:8], off
	global_load_b128 v[10:13], v[7:8], off offset:16
	global_load_b128 v[52:55], v[7:8], off offset:32
	;; [unrolled: 1-line block ×3, first 2 shown]
	s_waitcnt vmcnt(3)
	v_lshlrev_b32_e32 v17, 16, v3
	v_and_b32_e32 v7, 0xffff0000, v3
	v_lshlrev_b32_e32 v9, 16, v4
	v_and_b32_e32 v14, 0xffff0000, v4
	;; [unrolled: 2-line block ×3, first 2 shown]
	v_max3_f32 v3, |v17|, 0, |v7|
	v_lshlrev_b32_e32 v22, 16, v6
	v_and_b32_e32 v25, 0xffff0000, v6
	s_waitcnt vmcnt(2)
	v_lshlrev_b32_e32 v27, 16, v10
	v_and_b32_e32 v31, 0xffff0000, v10
	v_max3_f32 v3, v3, |v9|, |v14|
	v_lshlrev_b32_e32 v33, 16, v11
	v_and_b32_e32 v37, 0xffff0000, v11
	v_lshlrev_b32_e32 v39, 16, v12
	v_and_b32_e32 v41, 0xffff0000, v12
	v_max3_f32 v3, v3, |v16|, |v20|
	v_lshlrev_b32_e32 v45, 16, v13
	v_and_b32_e32 v47, 0xffff0000, v13
	s_waitcnt vmcnt(1)
	v_lshlrev_b32_e32 v51, 16, v52
	v_and_b32_e32 v52, 0xffff0000, v52
	v_max3_f32 v3, v3, |v22|, |v25|
	v_lshlrev_b32_e32 v48, 16, v53
	v_and_b32_e32 v46, 0xffff0000, v53
	v_lshlrev_b32_e32 v44, 16, v54
	v_and_b32_e32 v40, 0xffff0000, v54
	v_max3_f32 v3, v3, |v27|, |v31|
	;; [unrolled: 11-line block ×3, first 2 shown]
	v_lshlrev_b32_e32 v13, 16, v59
	v_and_b32_e32 v8, 0xffff0000, v59
	s_delay_alu instid0(VALU_DEP_3) | instskip(NEXT) | instid1(VALU_DEP_1)
	v_max3_f32 v3, v3, |v45|, |v47|
	v_max3_f32 v3, v3, |v51|, |v52|
	s_delay_alu instid0(VALU_DEP_1) | instskip(NEXT) | instid1(VALU_DEP_1)
	v_max3_f32 v3, v3, |v48|, |v46|
	v_max3_f32 v3, v3, |v44|, |v40|
	s_delay_alu instid0(VALU_DEP_1) | instskip(NEXT) | instid1(VALU_DEP_1)
	;; [unrolled: 3-line block ×4, first 2 shown]
	v_max3_f32 v3, v3, |v13|, |v8|
	v_mul_f32_e32 v3, 0x3e800000, v3
	s_delay_alu instid0(VALU_DEP_1) | instskip(NEXT) | instid1(VALU_DEP_1)
	v_and_b32_e32 v4, 0x7f800000, v3
	v_div_scale_f32 v5, null, v4, v4, 1.0
	v_div_scale_f32 v11, vcc_lo, 1.0, v4, 1.0
	s_delay_alu instid0(VALU_DEP_2) | instskip(SKIP_2) | instid1(VALU_DEP_1)
	v_rcp_f32_e32 v6, v5
	s_waitcnt_depctr 0xfff
	v_fma_f32 v10, -v5, v6, 1.0
	v_fmac_f32_e32 v6, v10, v6
	s_delay_alu instid0(VALU_DEP_1) | instskip(NEXT) | instid1(VALU_DEP_1)
	v_mul_f32_e32 v10, v11, v6
	v_fma_f32 v12, -v5, v10, v11
	s_delay_alu instid0(VALU_DEP_1) | instskip(NEXT) | instid1(VALU_DEP_1)
	v_fmac_f32_e32 v10, v12, v6
	v_fma_f32 v5, -v5, v10, v11
	s_delay_alu instid0(VALU_DEP_1) | instskip(SKIP_2) | instid1(VALU_DEP_3)
	v_div_fmas_f32 v5, v5, v6, v10
	v_cmp_neq_f32_e32 vcc_lo, 0, v4
	v_mov_b32_e32 v6, 7
	v_div_fixup_f32 v5, v5, v4, 1.0
	v_mov_b32_e32 v4, 7
	s_delay_alu instid0(VALU_DEP_2) | instskip(NEXT) | instid1(VALU_DEP_1)
	v_cndmask_b32_e32 v10, 0, v5, vcc_lo
	v_mul_f32_e32 v5, v10, v17
	s_delay_alu instid0(VALU_DEP_1)
	v_cmpx_nle_f32_e64 0x40a00000, |v5|
	s_cbranch_execz .LBB25_17
; %bb.6:
	v_mov_b32_e32 v4, 6
	s_mov_b32 s3, exec_lo
	v_cmpx_nle_f32_e64 0x40600000, |v5|
	s_cbranch_execz .LBB25_16
; %bb.7:
	v_mov_b32_e32 v4, 5
	s_mov_b32 s6, exec_lo
	;; [unrolled: 5-line block ×5, first 2 shown]
	v_cmpx_nle_f32_e64 0x3f400000, |v5|
; %bb.11:
	v_cmp_le_f32_e64 s10, 0x3e800000, |v5|
	s_delay_alu instid0(VALU_DEP_1)
	v_cndmask_b32_e64 v4, 0, 1, s10
; %bb.12:
	s_or_b32 exec_lo, exec_lo, s9
.LBB25_13:
	s_delay_alu instid0(SALU_CYCLE_1)
	s_or_b32 exec_lo, exec_lo, s8
.LBB25_14:
	s_delay_alu instid0(SALU_CYCLE_1)
	s_or_b32 exec_lo, exec_lo, s7
.LBB25_15:
	s_delay_alu instid0(SALU_CYCLE_1)
	s_or_b32 exec_lo, exec_lo, s6
.LBB25_16:
	s_delay_alu instid0(SALU_CYCLE_1)
	s_or_b32 exec_lo, exec_lo, s3
.LBB25_17:
	s_delay_alu instid0(SALU_CYCLE_1) | instskip(SKIP_2) | instid1(VALU_DEP_1)
	s_or_b32 exec_lo, exec_lo, s2
	v_mul_f32_e32 v7, v10, v7
	s_mov_b32 s2, exec_lo
	v_cmpx_nle_f32_e64 0x40a00000, |v7|
	s_cbranch_execz .LBB25_29
; %bb.18:
	v_mov_b32_e32 v6, 6
	s_mov_b32 s3, exec_lo
	v_cmpx_nle_f32_e64 0x40600000, |v7|
	s_cbranch_execz .LBB25_28
; %bb.19:
	v_mov_b32_e32 v6, 5
	;; [unrolled: 5-line block ×5, first 2 shown]
	s_mov_b32 s9, exec_lo
	v_cmpx_nle_f32_e64 0x3f400000, |v7|
; %bb.23:
	v_cmp_le_f32_e64 s10, 0x3e800000, |v7|
	s_delay_alu instid0(VALU_DEP_1)
	v_cndmask_b32_e64 v6, 0, 1, s10
; %bb.24:
	s_or_b32 exec_lo, exec_lo, s9
.LBB25_25:
	s_delay_alu instid0(SALU_CYCLE_1)
	s_or_b32 exec_lo, exec_lo, s8
.LBB25_26:
	s_delay_alu instid0(SALU_CYCLE_1)
	s_or_b32 exec_lo, exec_lo, s7
.LBB25_27:
	s_delay_alu instid0(SALU_CYCLE_1)
	s_or_b32 exec_lo, exec_lo, s6
.LBB25_28:
	s_delay_alu instid0(SALU_CYCLE_1)
	s_or_b32 exec_lo, exec_lo, s3
.LBB25_29:
	s_delay_alu instid0(SALU_CYCLE_1) | instskip(SKIP_3) | instid1(VALU_DEP_2)
	s_or_b32 exec_lo, exec_lo, s2
	v_dual_mul_f32 v11, v10, v9 :: v_dual_mov_b32 v12, 7
	v_mov_b32_e32 v9, 7
	s_mov_b32 s2, exec_lo
	v_cmpx_nle_f32_e64 0x40a00000, |v11|
	s_cbranch_execz .LBB25_41
; %bb.30:
	v_mov_b32_e32 v12, 6
	s_mov_b32 s3, exec_lo
	v_cmpx_nle_f32_e64 0x40600000, |v11|
	s_cbranch_execz .LBB25_40
; %bb.31:
	;; [unrolled: 5-line block ×5, first 2 shown]
	v_mov_b32_e32 v12, 2
	s_mov_b32 s9, exec_lo
	v_cmpx_nle_f32_e64 0x3f400000, |v11|
; %bb.35:
	v_cmp_le_f32_e64 s10, 0x3e800000, |v11|
	s_delay_alu instid0(VALU_DEP_1)
	v_cndmask_b32_e64 v12, 0, 1, s10
; %bb.36:
	s_or_b32 exec_lo, exec_lo, s9
.LBB25_37:
	s_delay_alu instid0(SALU_CYCLE_1)
	s_or_b32 exec_lo, exec_lo, s8
.LBB25_38:
	s_delay_alu instid0(SALU_CYCLE_1)
	s_or_b32 exec_lo, exec_lo, s7
.LBB25_39:
	s_delay_alu instid0(SALU_CYCLE_1)
	s_or_b32 exec_lo, exec_lo, s6
.LBB25_40:
	s_delay_alu instid0(SALU_CYCLE_1)
	s_or_b32 exec_lo, exec_lo, s3
.LBB25_41:
	s_delay_alu instid0(SALU_CYCLE_1) | instskip(SKIP_2) | instid1(VALU_DEP_1)
	s_or_b32 exec_lo, exec_lo, s2
	v_mul_f32_e32 v14, v10, v14
	s_mov_b32 s2, exec_lo
	v_cmpx_nle_f32_e64 0x40a00000, |v14|
	s_cbranch_execz .LBB25_53
; %bb.42:
	v_mov_b32_e32 v9, 6
	s_mov_b32 s3, exec_lo
	v_cmpx_nle_f32_e64 0x40600000, |v14|
	s_cbranch_execz .LBB25_52
; %bb.43:
	v_mov_b32_e32 v9, 5
	;; [unrolled: 5-line block ×5, first 2 shown]
	s_mov_b32 s9, exec_lo
	v_cmpx_nle_f32_e64 0x3f400000, |v14|
; %bb.47:
	v_cmp_le_f32_e64 s10, 0x3e800000, |v14|
	s_delay_alu instid0(VALU_DEP_1)
	v_cndmask_b32_e64 v9, 0, 1, s10
; %bb.48:
	s_or_b32 exec_lo, exec_lo, s9
.LBB25_49:
	s_delay_alu instid0(SALU_CYCLE_1)
	s_or_b32 exec_lo, exec_lo, s8
.LBB25_50:
	s_delay_alu instid0(SALU_CYCLE_1)
	s_or_b32 exec_lo, exec_lo, s7
.LBB25_51:
	s_delay_alu instid0(SALU_CYCLE_1)
	s_or_b32 exec_lo, exec_lo, s6
.LBB25_52:
	s_delay_alu instid0(SALU_CYCLE_1)
	s_or_b32 exec_lo, exec_lo, s3
.LBB25_53:
	s_delay_alu instid0(SALU_CYCLE_1) | instskip(SKIP_3) | instid1(VALU_DEP_2)
	s_or_b32 exec_lo, exec_lo, s2
	v_dual_mul_f32 v18, v10, v16 :: v_dual_mov_b32 v17, 7
	v_mov_b32_e32 v16, 7
	s_mov_b32 s2, exec_lo
	v_cmpx_nle_f32_e64 0x40a00000, |v18|
	s_cbranch_execz .LBB25_65
; %bb.54:
	v_mov_b32_e32 v16, 6
	s_mov_b32 s3, exec_lo
	v_cmpx_nle_f32_e64 0x40600000, |v18|
	s_cbranch_execz .LBB25_64
; %bb.55:
	;; [unrolled: 5-line block ×5, first 2 shown]
	v_mov_b32_e32 v16, 2
	s_mov_b32 s9, exec_lo
	v_cmpx_nle_f32_e64 0x3f400000, |v18|
; %bb.59:
	v_cmp_le_f32_e64 s10, 0x3e800000, |v18|
	s_delay_alu instid0(VALU_DEP_1)
	v_cndmask_b32_e64 v16, 0, 1, s10
; %bb.60:
	s_or_b32 exec_lo, exec_lo, s9
.LBB25_61:
	s_delay_alu instid0(SALU_CYCLE_1)
	s_or_b32 exec_lo, exec_lo, s8
.LBB25_62:
	s_delay_alu instid0(SALU_CYCLE_1)
	s_or_b32 exec_lo, exec_lo, s7
.LBB25_63:
	s_delay_alu instid0(SALU_CYCLE_1)
	s_or_b32 exec_lo, exec_lo, s6
.LBB25_64:
	s_delay_alu instid0(SALU_CYCLE_1)
	s_or_b32 exec_lo, exec_lo, s3
.LBB25_65:
	s_delay_alu instid0(SALU_CYCLE_1) | instskip(SKIP_2) | instid1(VALU_DEP_1)
	s_or_b32 exec_lo, exec_lo, s2
	v_mul_f32_e32 v20, v10, v20
	s_mov_b32 s2, exec_lo
	v_cmpx_nle_f32_e64 0x40a00000, |v20|
	s_cbranch_execz .LBB25_77
; %bb.66:
	v_mov_b32_e32 v17, 6
	s_mov_b32 s3, exec_lo
	v_cmpx_nle_f32_e64 0x40600000, |v20|
	s_cbranch_execz .LBB25_76
; %bb.67:
	v_mov_b32_e32 v17, 5
	;; [unrolled: 5-line block ×5, first 2 shown]
	s_mov_b32 s9, exec_lo
	v_cmpx_nle_f32_e64 0x3f400000, |v20|
; %bb.71:
	v_cmp_le_f32_e64 s10, 0x3e800000, |v20|
	s_delay_alu instid0(VALU_DEP_1)
	v_cndmask_b32_e64 v17, 0, 1, s10
; %bb.72:
	s_or_b32 exec_lo, exec_lo, s9
.LBB25_73:
	s_delay_alu instid0(SALU_CYCLE_1)
	s_or_b32 exec_lo, exec_lo, s8
.LBB25_74:
	s_delay_alu instid0(SALU_CYCLE_1)
	s_or_b32 exec_lo, exec_lo, s7
.LBB25_75:
	s_delay_alu instid0(SALU_CYCLE_1)
	s_or_b32 exec_lo, exec_lo, s6
.LBB25_76:
	s_delay_alu instid0(SALU_CYCLE_1)
	s_or_b32 exec_lo, exec_lo, s3
.LBB25_77:
	s_delay_alu instid0(SALU_CYCLE_1) | instskip(SKIP_3) | instid1(VALU_DEP_2)
	s_or_b32 exec_lo, exec_lo, s2
	v_dual_mul_f32 v24, v10, v22 :: v_dual_mov_b32 v23, 7
	v_mov_b32_e32 v22, 7
	s_mov_b32 s2, exec_lo
	v_cmpx_nle_f32_e64 0x40a00000, |v24|
	s_cbranch_execz .LBB25_89
; %bb.78:
	v_mov_b32_e32 v23, 6
	s_mov_b32 s3, exec_lo
	v_cmpx_nle_f32_e64 0x40600000, |v24|
	s_cbranch_execz .LBB25_88
; %bb.79:
	;; [unrolled: 5-line block ×5, first 2 shown]
	v_mov_b32_e32 v23, 2
	s_mov_b32 s9, exec_lo
	v_cmpx_nle_f32_e64 0x3f400000, |v24|
; %bb.83:
	v_cmp_le_f32_e64 s10, 0x3e800000, |v24|
	s_delay_alu instid0(VALU_DEP_1)
	v_cndmask_b32_e64 v23, 0, 1, s10
; %bb.84:
	s_or_b32 exec_lo, exec_lo, s9
.LBB25_85:
	s_delay_alu instid0(SALU_CYCLE_1)
	s_or_b32 exec_lo, exec_lo, s8
.LBB25_86:
	s_delay_alu instid0(SALU_CYCLE_1)
	s_or_b32 exec_lo, exec_lo, s7
.LBB25_87:
	s_delay_alu instid0(SALU_CYCLE_1)
	s_or_b32 exec_lo, exec_lo, s6
.LBB25_88:
	s_delay_alu instid0(SALU_CYCLE_1)
	s_or_b32 exec_lo, exec_lo, s3
.LBB25_89:
	s_delay_alu instid0(SALU_CYCLE_1) | instskip(SKIP_2) | instid1(VALU_DEP_1)
	s_or_b32 exec_lo, exec_lo, s2
	v_mul_f32_e32 v25, v10, v25
	s_mov_b32 s2, exec_lo
	v_cmpx_nle_f32_e64 0x40a00000, |v25|
	s_cbranch_execz .LBB25_101
; %bb.90:
	v_mov_b32_e32 v22, 6
	s_mov_b32 s3, exec_lo
	v_cmpx_nle_f32_e64 0x40600000, |v25|
	s_cbranch_execz .LBB25_100
; %bb.91:
	v_mov_b32_e32 v22, 5
	;; [unrolled: 5-line block ×5, first 2 shown]
	s_mov_b32 s9, exec_lo
	v_cmpx_nle_f32_e64 0x3f400000, |v25|
; %bb.95:
	v_cmp_le_f32_e64 s10, 0x3e800000, |v25|
	s_delay_alu instid0(VALU_DEP_1)
	v_cndmask_b32_e64 v22, 0, 1, s10
; %bb.96:
	s_or_b32 exec_lo, exec_lo, s9
.LBB25_97:
	s_delay_alu instid0(SALU_CYCLE_1)
	s_or_b32 exec_lo, exec_lo, s8
.LBB25_98:
	s_delay_alu instid0(SALU_CYCLE_1)
	s_or_b32 exec_lo, exec_lo, s7
.LBB25_99:
	s_delay_alu instid0(SALU_CYCLE_1)
	s_or_b32 exec_lo, exec_lo, s6
.LBB25_100:
	s_delay_alu instid0(SALU_CYCLE_1)
	s_or_b32 exec_lo, exec_lo, s3
.LBB25_101:
	s_delay_alu instid0(SALU_CYCLE_1) | instskip(SKIP_3) | instid1(VALU_DEP_2)
	s_or_b32 exec_lo, exec_lo, s2
	v_dual_mul_f32 v30, v10, v27 :: v_dual_mov_b32 v27, 7
	v_mov_b32_e32 v29, 7
	s_mov_b32 s2, exec_lo
	v_cmpx_nle_f32_e64 0x40a00000, |v30|
	s_cbranch_execz .LBB25_113
; %bb.102:
	v_mov_b32_e32 v29, 6
	s_mov_b32 s3, exec_lo
	v_cmpx_nle_f32_e64 0x40600000, |v30|
	s_cbranch_execz .LBB25_112
; %bb.103:
	;; [unrolled: 5-line block ×5, first 2 shown]
	v_mov_b32_e32 v29, 2
	s_mov_b32 s9, exec_lo
	v_cmpx_nle_f32_e64 0x3f400000, |v30|
; %bb.107:
	v_cmp_le_f32_e64 s10, 0x3e800000, |v30|
	s_delay_alu instid0(VALU_DEP_1)
	v_cndmask_b32_e64 v29, 0, 1, s10
; %bb.108:
	s_or_b32 exec_lo, exec_lo, s9
.LBB25_109:
	s_delay_alu instid0(SALU_CYCLE_1)
	s_or_b32 exec_lo, exec_lo, s8
.LBB25_110:
	s_delay_alu instid0(SALU_CYCLE_1)
	s_or_b32 exec_lo, exec_lo, s7
.LBB25_111:
	s_delay_alu instid0(SALU_CYCLE_1)
	s_or_b32 exec_lo, exec_lo, s6
.LBB25_112:
	s_delay_alu instid0(SALU_CYCLE_1)
	s_or_b32 exec_lo, exec_lo, s3
.LBB25_113:
	s_delay_alu instid0(SALU_CYCLE_1) | instskip(SKIP_2) | instid1(VALU_DEP_1)
	s_or_b32 exec_lo, exec_lo, s2
	v_mul_f32_e32 v31, v10, v31
	s_mov_b32 s2, exec_lo
	v_cmpx_nle_f32_e64 0x40a00000, |v31|
	s_cbranch_execz .LBB25_125
; %bb.114:
	v_mov_b32_e32 v27, 6
	s_mov_b32 s3, exec_lo
	v_cmpx_nle_f32_e64 0x40600000, |v31|
	s_cbranch_execz .LBB25_124
; %bb.115:
	v_mov_b32_e32 v27, 5
	;; [unrolled: 5-line block ×5, first 2 shown]
	s_mov_b32 s9, exec_lo
	v_cmpx_nle_f32_e64 0x3f400000, |v31|
; %bb.119:
	v_cmp_le_f32_e64 s10, 0x3e800000, |v31|
	s_delay_alu instid0(VALU_DEP_1)
	v_cndmask_b32_e64 v27, 0, 1, s10
; %bb.120:
	s_or_b32 exec_lo, exec_lo, s9
.LBB25_121:
	s_delay_alu instid0(SALU_CYCLE_1)
	s_or_b32 exec_lo, exec_lo, s8
.LBB25_122:
	s_delay_alu instid0(SALU_CYCLE_1)
	s_or_b32 exec_lo, exec_lo, s7
.LBB25_123:
	s_delay_alu instid0(SALU_CYCLE_1)
	s_or_b32 exec_lo, exec_lo, s6
.LBB25_124:
	s_delay_alu instid0(SALU_CYCLE_1)
	s_or_b32 exec_lo, exec_lo, s3
.LBB25_125:
	s_delay_alu instid0(SALU_CYCLE_1) | instskip(SKIP_3) | instid1(VALU_DEP_2)
	s_or_b32 exec_lo, exec_lo, s2
	v_dual_mul_f32 v36, v10, v33 :: v_dual_mov_b32 v33, 7
	v_mov_b32_e32 v35, 7
	s_mov_b32 s2, exec_lo
	v_cmpx_nle_f32_e64 0x40a00000, |v36|
	s_cbranch_execz .LBB25_137
; %bb.126:
	v_mov_b32_e32 v35, 6
	s_mov_b32 s3, exec_lo
	v_cmpx_nle_f32_e64 0x40600000, |v36|
	s_cbranch_execz .LBB25_136
; %bb.127:
	;; [unrolled: 5-line block ×5, first 2 shown]
	v_mov_b32_e32 v35, 2
	s_mov_b32 s9, exec_lo
	v_cmpx_nle_f32_e64 0x3f400000, |v36|
; %bb.131:
	v_cmp_le_f32_e64 s10, 0x3e800000, |v36|
	s_delay_alu instid0(VALU_DEP_1)
	v_cndmask_b32_e64 v35, 0, 1, s10
; %bb.132:
	s_or_b32 exec_lo, exec_lo, s9
.LBB25_133:
	s_delay_alu instid0(SALU_CYCLE_1)
	s_or_b32 exec_lo, exec_lo, s8
.LBB25_134:
	s_delay_alu instid0(SALU_CYCLE_1)
	s_or_b32 exec_lo, exec_lo, s7
.LBB25_135:
	s_delay_alu instid0(SALU_CYCLE_1)
	s_or_b32 exec_lo, exec_lo, s6
.LBB25_136:
	s_delay_alu instid0(SALU_CYCLE_1)
	s_or_b32 exec_lo, exec_lo, s3
.LBB25_137:
	s_delay_alu instid0(SALU_CYCLE_1) | instskip(SKIP_2) | instid1(VALU_DEP_1)
	s_or_b32 exec_lo, exec_lo, s2
	v_mul_f32_e32 v37, v10, v37
	s_mov_b32 s2, exec_lo
	v_cmpx_nle_f32_e64 0x40a00000, |v37|
	s_cbranch_execz .LBB25_149
; %bb.138:
	v_mov_b32_e32 v33, 6
	s_mov_b32 s3, exec_lo
	v_cmpx_nle_f32_e64 0x40600000, |v37|
	s_cbranch_execz .LBB25_148
; %bb.139:
	v_mov_b32_e32 v33, 5
	;; [unrolled: 5-line block ×5, first 2 shown]
	s_mov_b32 s9, exec_lo
	v_cmpx_nle_f32_e64 0x3f400000, |v37|
; %bb.143:
	v_cmp_le_f32_e64 s10, 0x3e800000, |v37|
	s_delay_alu instid0(VALU_DEP_1)
	v_cndmask_b32_e64 v33, 0, 1, s10
; %bb.144:
	s_or_b32 exec_lo, exec_lo, s9
.LBB25_145:
	s_delay_alu instid0(SALU_CYCLE_1)
	s_or_b32 exec_lo, exec_lo, s8
.LBB25_146:
	s_delay_alu instid0(SALU_CYCLE_1)
	s_or_b32 exec_lo, exec_lo, s7
.LBB25_147:
	s_delay_alu instid0(SALU_CYCLE_1)
	s_or_b32 exec_lo, exec_lo, s6
.LBB25_148:
	s_delay_alu instid0(SALU_CYCLE_1)
	s_or_b32 exec_lo, exec_lo, s3
.LBB25_149:
	s_delay_alu instid0(SALU_CYCLE_1) | instskip(SKIP_3) | instid1(VALU_DEP_2)
	s_or_b32 exec_lo, exec_lo, s2
	v_dual_mul_f32 v42, v10, v39 :: v_dual_mov_b32 v39, 7
	v_mov_b32_e32 v43, 7
	s_mov_b32 s2, exec_lo
	v_cmpx_nle_f32_e64 0x40a00000, |v42|
	s_cbranch_execz .LBB25_161
; %bb.150:
	v_mov_b32_e32 v43, 6
	s_mov_b32 s3, exec_lo
	v_cmpx_nle_f32_e64 0x40600000, |v42|
	s_cbranch_execz .LBB25_160
; %bb.151:
	;; [unrolled: 5-line block ×5, first 2 shown]
	v_mov_b32_e32 v43, 2
	s_mov_b32 s9, exec_lo
	v_cmpx_nle_f32_e64 0x3f400000, |v42|
; %bb.155:
	v_cmp_le_f32_e64 s10, 0x3e800000, |v42|
	s_delay_alu instid0(VALU_DEP_1)
	v_cndmask_b32_e64 v43, 0, 1, s10
; %bb.156:
	s_or_b32 exec_lo, exec_lo, s9
.LBB25_157:
	s_delay_alu instid0(SALU_CYCLE_1)
	s_or_b32 exec_lo, exec_lo, s8
.LBB25_158:
	s_delay_alu instid0(SALU_CYCLE_1)
	s_or_b32 exec_lo, exec_lo, s7
.LBB25_159:
	s_delay_alu instid0(SALU_CYCLE_1)
	s_or_b32 exec_lo, exec_lo, s6
.LBB25_160:
	s_delay_alu instid0(SALU_CYCLE_1)
	s_or_b32 exec_lo, exec_lo, s3
.LBB25_161:
	s_delay_alu instid0(SALU_CYCLE_1) | instskip(SKIP_2) | instid1(VALU_DEP_1)
	s_or_b32 exec_lo, exec_lo, s2
	v_mul_f32_e32 v41, v10, v41
	s_mov_b32 s2, exec_lo
	v_cmpx_nle_f32_e64 0x40a00000, |v41|
	s_cbranch_execz .LBB25_173
; %bb.162:
	v_mov_b32_e32 v39, 6
	s_mov_b32 s3, exec_lo
	v_cmpx_nle_f32_e64 0x40600000, |v41|
	s_cbranch_execz .LBB25_172
; %bb.163:
	v_mov_b32_e32 v39, 5
	;; [unrolled: 5-line block ×5, first 2 shown]
	s_mov_b32 s9, exec_lo
	v_cmpx_nle_f32_e64 0x3f400000, |v41|
; %bb.167:
	v_cmp_le_f32_e64 s10, 0x3e800000, |v41|
	s_delay_alu instid0(VALU_DEP_1)
	v_cndmask_b32_e64 v39, 0, 1, s10
; %bb.168:
	s_or_b32 exec_lo, exec_lo, s9
.LBB25_169:
	s_delay_alu instid0(SALU_CYCLE_1)
	s_or_b32 exec_lo, exec_lo, s8
.LBB25_170:
	s_delay_alu instid0(SALU_CYCLE_1)
	s_or_b32 exec_lo, exec_lo, s7
.LBB25_171:
	s_delay_alu instid0(SALU_CYCLE_1)
	s_or_b32 exec_lo, exec_lo, s6
.LBB25_172:
	s_delay_alu instid0(SALU_CYCLE_1)
	s_or_b32 exec_lo, exec_lo, s3
.LBB25_173:
	s_delay_alu instid0(SALU_CYCLE_1) | instskip(SKIP_3) | instid1(VALU_DEP_2)
	s_or_b32 exec_lo, exec_lo, s2
	v_dual_mul_f32 v50, v10, v45 :: v_dual_mov_b32 v45, 7
	v_mov_b32_e32 v49, 7
	s_mov_b32 s2, exec_lo
	v_cmpx_nle_f32_e64 0x40a00000, |v50|
	s_cbranch_execz .LBB25_185
; %bb.174:
	v_mov_b32_e32 v49, 6
	s_mov_b32 s3, exec_lo
	v_cmpx_nle_f32_e64 0x40600000, |v50|
	s_cbranch_execz .LBB25_184
; %bb.175:
	;; [unrolled: 5-line block ×5, first 2 shown]
	v_mov_b32_e32 v49, 2
	s_mov_b32 s9, exec_lo
	v_cmpx_nle_f32_e64 0x3f400000, |v50|
; %bb.179:
	v_cmp_le_f32_e64 s10, 0x3e800000, |v50|
	s_delay_alu instid0(VALU_DEP_1)
	v_cndmask_b32_e64 v49, 0, 1, s10
; %bb.180:
	s_or_b32 exec_lo, exec_lo, s9
.LBB25_181:
	s_delay_alu instid0(SALU_CYCLE_1)
	s_or_b32 exec_lo, exec_lo, s8
.LBB25_182:
	s_delay_alu instid0(SALU_CYCLE_1)
	s_or_b32 exec_lo, exec_lo, s7
.LBB25_183:
	s_delay_alu instid0(SALU_CYCLE_1)
	s_or_b32 exec_lo, exec_lo, s6
.LBB25_184:
	s_delay_alu instid0(SALU_CYCLE_1)
	s_or_b32 exec_lo, exec_lo, s3
.LBB25_185:
	s_delay_alu instid0(SALU_CYCLE_1) | instskip(SKIP_2) | instid1(VALU_DEP_1)
	s_or_b32 exec_lo, exec_lo, s2
	v_mul_f32_e32 v47, v10, v47
	s_mov_b32 s2, exec_lo
	v_cmpx_nle_f32_e64 0x40a00000, |v47|
	s_cbranch_execz .LBB25_197
; %bb.186:
	v_mov_b32_e32 v45, 6
	s_mov_b32 s3, exec_lo
	v_cmpx_nle_f32_e64 0x40600000, |v47|
	s_cbranch_execz .LBB25_196
; %bb.187:
	v_mov_b32_e32 v45, 5
	;; [unrolled: 5-line block ×5, first 2 shown]
	s_mov_b32 s9, exec_lo
	v_cmpx_nle_f32_e64 0x3f400000, |v47|
; %bb.191:
	v_cmp_le_f32_e64 s10, 0x3e800000, |v47|
	s_delay_alu instid0(VALU_DEP_1)
	v_cndmask_b32_e64 v45, 0, 1, s10
; %bb.192:
	s_or_b32 exec_lo, exec_lo, s9
.LBB25_193:
	s_delay_alu instid0(SALU_CYCLE_1)
	s_or_b32 exec_lo, exec_lo, s8
.LBB25_194:
	s_delay_alu instid0(SALU_CYCLE_1)
	s_or_b32 exec_lo, exec_lo, s7
.LBB25_195:
	s_delay_alu instid0(SALU_CYCLE_1)
	s_or_b32 exec_lo, exec_lo, s6
.LBB25_196:
	s_delay_alu instid0(SALU_CYCLE_1)
	s_or_b32 exec_lo, exec_lo, s3
.LBB25_197:
	s_delay_alu instid0(SALU_CYCLE_1) | instskip(SKIP_3) | instid1(VALU_DEP_2)
	s_or_b32 exec_lo, exec_lo, s2
	v_dual_mul_f32 v54, v10, v51 :: v_dual_mov_b32 v51, 7
	v_mov_b32_e32 v53, 7
	s_mov_b32 s2, exec_lo
	v_cmpx_nle_f32_e64 0x40a00000, |v54|
	s_cbranch_execz .LBB25_209
; %bb.198:
	v_mov_b32_e32 v53, 6
	s_mov_b32 s3, exec_lo
	v_cmpx_nle_f32_e64 0x40600000, |v54|
	s_cbranch_execz .LBB25_208
; %bb.199:
	v_mov_b32_e32 v53, 5
	s_mov_b32 s6, exec_lo
	v_cmpx_nle_f32_e64 0x40200000, |v54|
	s_cbranch_execz .LBB25_207
; %bb.200:
	v_mov_b32_e32 v53, 4
	s_mov_b32 s7, exec_lo
	v_cmpx_nle_f32_e64 0x3fe00000, |v54|
	s_cbranch_execz .LBB25_206
; %bb.201:
	v_mov_b32_e32 v53, 3
	s_mov_b32 s8, exec_lo
	v_cmpx_nle_f32_e64 0x3fa00000, |v54|
	s_cbranch_execz .LBB25_205
; %bb.202:
	v_mov_b32_e32 v53, 2
	s_mov_b32 s9, exec_lo
	v_cmpx_nle_f32_e64 0x3f400000, |v54|
; %bb.203:
	v_cmp_le_f32_e64 s10, 0x3e800000, |v54|
	s_delay_alu instid0(VALU_DEP_1)
	v_cndmask_b32_e64 v53, 0, 1, s10
; %bb.204:
	s_or_b32 exec_lo, exec_lo, s9
.LBB25_205:
	s_delay_alu instid0(SALU_CYCLE_1)
	s_or_b32 exec_lo, exec_lo, s8
.LBB25_206:
	s_delay_alu instid0(SALU_CYCLE_1)
	s_or_b32 exec_lo, exec_lo, s7
.LBB25_207:
	s_delay_alu instid0(SALU_CYCLE_1)
	s_or_b32 exec_lo, exec_lo, s6
.LBB25_208:
	s_delay_alu instid0(SALU_CYCLE_1)
	s_or_b32 exec_lo, exec_lo, s3
.LBB25_209:
	s_delay_alu instid0(SALU_CYCLE_1) | instskip(SKIP_2) | instid1(VALU_DEP_1)
	s_or_b32 exec_lo, exec_lo, s2
	v_mul_f32_e32 v52, v10, v52
	s_mov_b32 s2, exec_lo
	v_cmpx_nle_f32_e64 0x40a00000, |v52|
	s_cbranch_execz .LBB25_221
; %bb.210:
	v_mov_b32_e32 v51, 6
	s_mov_b32 s3, exec_lo
	v_cmpx_nle_f32_e64 0x40600000, |v52|
	s_cbranch_execz .LBB25_220
; %bb.211:
	v_mov_b32_e32 v51, 5
	;; [unrolled: 5-line block ×5, first 2 shown]
	s_mov_b32 s9, exec_lo
	v_cmpx_nle_f32_e64 0x3f400000, |v52|
; %bb.215:
	v_cmp_le_f32_e64 s10, 0x3e800000, |v52|
	s_delay_alu instid0(VALU_DEP_1)
	v_cndmask_b32_e64 v51, 0, 1, s10
; %bb.216:
	s_or_b32 exec_lo, exec_lo, s9
.LBB25_217:
	s_delay_alu instid0(SALU_CYCLE_1)
	s_or_b32 exec_lo, exec_lo, s8
.LBB25_218:
	s_delay_alu instid0(SALU_CYCLE_1)
	s_or_b32 exec_lo, exec_lo, s7
.LBB25_219:
	s_delay_alu instid0(SALU_CYCLE_1)
	s_or_b32 exec_lo, exec_lo, s6
.LBB25_220:
	s_delay_alu instid0(SALU_CYCLE_1)
	s_or_b32 exec_lo, exec_lo, s3
.LBB25_221:
	s_delay_alu instid0(SALU_CYCLE_1) | instskip(SKIP_3) | instid1(VALU_DEP_2)
	s_or_b32 exec_lo, exec_lo, s2
	v_dual_mul_f32 v56, v10, v48 :: v_dual_mov_b32 v55, 7
	v_mov_b32_e32 v48, 7
	s_mov_b32 s2, exec_lo
	v_cmpx_nle_f32_e64 0x40a00000, |v56|
	s_cbranch_execz .LBB25_233
; %bb.222:
	v_mov_b32_e32 v55, 6
	s_mov_b32 s3, exec_lo
	v_cmpx_nle_f32_e64 0x40600000, |v56|
	s_cbranch_execz .LBB25_232
; %bb.223:
	;; [unrolled: 5-line block ×5, first 2 shown]
	v_mov_b32_e32 v55, 2
	s_mov_b32 s9, exec_lo
	v_cmpx_nle_f32_e64 0x3f400000, |v56|
; %bb.227:
	v_cmp_le_f32_e64 s10, 0x3e800000, |v56|
	s_delay_alu instid0(VALU_DEP_1)
	v_cndmask_b32_e64 v55, 0, 1, s10
; %bb.228:
	s_or_b32 exec_lo, exec_lo, s9
.LBB25_229:
	s_delay_alu instid0(SALU_CYCLE_1)
	s_or_b32 exec_lo, exec_lo, s8
.LBB25_230:
	s_delay_alu instid0(SALU_CYCLE_1)
	s_or_b32 exec_lo, exec_lo, s7
.LBB25_231:
	s_delay_alu instid0(SALU_CYCLE_1)
	s_or_b32 exec_lo, exec_lo, s6
.LBB25_232:
	s_delay_alu instid0(SALU_CYCLE_1)
	s_or_b32 exec_lo, exec_lo, s3
.LBB25_233:
	s_delay_alu instid0(SALU_CYCLE_1) | instskip(SKIP_2) | instid1(VALU_DEP_1)
	s_or_b32 exec_lo, exec_lo, s2
	v_mul_f32_e32 v46, v10, v46
	s_mov_b32 s2, exec_lo
	v_cmpx_nle_f32_e64 0x40a00000, |v46|
	s_cbranch_execz .LBB25_245
; %bb.234:
	v_mov_b32_e32 v48, 6
	s_mov_b32 s3, exec_lo
	v_cmpx_nle_f32_e64 0x40600000, |v46|
	s_cbranch_execz .LBB25_244
; %bb.235:
	v_mov_b32_e32 v48, 5
	;; [unrolled: 5-line block ×5, first 2 shown]
	s_mov_b32 s9, exec_lo
	v_cmpx_nle_f32_e64 0x3f400000, |v46|
; %bb.239:
	v_cmp_le_f32_e64 s10, 0x3e800000, |v46|
	s_delay_alu instid0(VALU_DEP_1)
	v_cndmask_b32_e64 v48, 0, 1, s10
; %bb.240:
	s_or_b32 exec_lo, exec_lo, s9
.LBB25_241:
	s_delay_alu instid0(SALU_CYCLE_1)
	s_or_b32 exec_lo, exec_lo, s8
.LBB25_242:
	s_delay_alu instid0(SALU_CYCLE_1)
	s_or_b32 exec_lo, exec_lo, s7
.LBB25_243:
	s_delay_alu instid0(SALU_CYCLE_1)
	s_or_b32 exec_lo, exec_lo, s6
.LBB25_244:
	s_delay_alu instid0(SALU_CYCLE_1)
	s_or_b32 exec_lo, exec_lo, s3
.LBB25_245:
	s_delay_alu instid0(SALU_CYCLE_1) | instskip(SKIP_3) | instid1(VALU_DEP_2)
	s_or_b32 exec_lo, exec_lo, s2
	v_dual_mul_f32 v58, v10, v44 :: v_dual_mov_b32 v57, 7
	v_mov_b32_e32 v44, 7
	s_mov_b32 s2, exec_lo
	v_cmpx_nle_f32_e64 0x40a00000, |v58|
	s_cbranch_execz .LBB25_257
; %bb.246:
	v_mov_b32_e32 v57, 6
	s_mov_b32 s3, exec_lo
	v_cmpx_nle_f32_e64 0x40600000, |v58|
	s_cbranch_execz .LBB25_256
; %bb.247:
	;; [unrolled: 5-line block ×5, first 2 shown]
	v_mov_b32_e32 v57, 2
	s_mov_b32 s9, exec_lo
	v_cmpx_nle_f32_e64 0x3f400000, |v58|
; %bb.251:
	v_cmp_le_f32_e64 s10, 0x3e800000, |v58|
	s_delay_alu instid0(VALU_DEP_1)
	v_cndmask_b32_e64 v57, 0, 1, s10
; %bb.252:
	s_or_b32 exec_lo, exec_lo, s9
.LBB25_253:
	s_delay_alu instid0(SALU_CYCLE_1)
	s_or_b32 exec_lo, exec_lo, s8
.LBB25_254:
	s_delay_alu instid0(SALU_CYCLE_1)
	s_or_b32 exec_lo, exec_lo, s7
.LBB25_255:
	s_delay_alu instid0(SALU_CYCLE_1)
	s_or_b32 exec_lo, exec_lo, s6
.LBB25_256:
	s_delay_alu instid0(SALU_CYCLE_1)
	s_or_b32 exec_lo, exec_lo, s3
.LBB25_257:
	s_delay_alu instid0(SALU_CYCLE_1) | instskip(SKIP_2) | instid1(VALU_DEP_1)
	s_or_b32 exec_lo, exec_lo, s2
	v_mul_f32_e32 v40, v10, v40
	s_mov_b32 s2, exec_lo
	v_cmpx_nle_f32_e64 0x40a00000, |v40|
	s_cbranch_execz .LBB25_269
; %bb.258:
	v_mov_b32_e32 v44, 6
	s_mov_b32 s3, exec_lo
	v_cmpx_nle_f32_e64 0x40600000, |v40|
	s_cbranch_execz .LBB25_268
; %bb.259:
	v_mov_b32_e32 v44, 5
	;; [unrolled: 5-line block ×5, first 2 shown]
	s_mov_b32 s9, exec_lo
	v_cmpx_nle_f32_e64 0x3f400000, |v40|
; %bb.263:
	v_cmp_le_f32_e64 s10, 0x3e800000, |v40|
	s_delay_alu instid0(VALU_DEP_1)
	v_cndmask_b32_e64 v44, 0, 1, s10
; %bb.264:
	s_or_b32 exec_lo, exec_lo, s9
.LBB25_265:
	s_delay_alu instid0(SALU_CYCLE_1)
	s_or_b32 exec_lo, exec_lo, s8
.LBB25_266:
	s_delay_alu instid0(SALU_CYCLE_1)
	s_or_b32 exec_lo, exec_lo, s7
.LBB25_267:
	s_delay_alu instid0(SALU_CYCLE_1)
	s_or_b32 exec_lo, exec_lo, s6
.LBB25_268:
	s_delay_alu instid0(SALU_CYCLE_1)
	s_or_b32 exec_lo, exec_lo, s3
.LBB25_269:
	s_delay_alu instid0(SALU_CYCLE_1) | instskip(SKIP_3) | instid1(VALU_DEP_2)
	s_or_b32 exec_lo, exec_lo, s2
	v_dual_mul_f32 v59, v10, v38 :: v_dual_mov_b32 v38, 7
	v_mov_b32_e32 v60, 7
	s_mov_b32 s2, exec_lo
	v_cmpx_nle_f32_e64 0x40a00000, |v59|
	s_cbranch_execz .LBB25_281
; %bb.270:
	v_mov_b32_e32 v60, 6
	s_mov_b32 s3, exec_lo
	v_cmpx_nle_f32_e64 0x40600000, |v59|
	s_cbranch_execz .LBB25_280
; %bb.271:
	;; [unrolled: 5-line block ×5, first 2 shown]
	v_mov_b32_e32 v60, 2
	s_mov_b32 s9, exec_lo
	v_cmpx_nle_f32_e64 0x3f400000, |v59|
; %bb.275:
	v_cmp_le_f32_e64 s10, 0x3e800000, |v59|
	s_delay_alu instid0(VALU_DEP_1)
	v_cndmask_b32_e64 v60, 0, 1, s10
; %bb.276:
	s_or_b32 exec_lo, exec_lo, s9
.LBB25_277:
	s_delay_alu instid0(SALU_CYCLE_1)
	s_or_b32 exec_lo, exec_lo, s8
.LBB25_278:
	s_delay_alu instid0(SALU_CYCLE_1)
	s_or_b32 exec_lo, exec_lo, s7
.LBB25_279:
	s_delay_alu instid0(SALU_CYCLE_1)
	s_or_b32 exec_lo, exec_lo, s6
.LBB25_280:
	s_delay_alu instid0(SALU_CYCLE_1)
	s_or_b32 exec_lo, exec_lo, s3
.LBB25_281:
	s_delay_alu instid0(SALU_CYCLE_1) | instskip(SKIP_2) | instid1(VALU_DEP_1)
	s_or_b32 exec_lo, exec_lo, s2
	v_mul_f32_e32 v34, v10, v34
	s_mov_b32 s2, exec_lo
	v_cmpx_nle_f32_e64 0x40a00000, |v34|
	s_cbranch_execz .LBB25_293
; %bb.282:
	v_mov_b32_e32 v38, 6
	s_mov_b32 s3, exec_lo
	v_cmpx_nle_f32_e64 0x40600000, |v34|
	s_cbranch_execz .LBB25_292
; %bb.283:
	v_mov_b32_e32 v38, 5
	;; [unrolled: 5-line block ×5, first 2 shown]
	s_mov_b32 s9, exec_lo
	v_cmpx_nle_f32_e64 0x3f400000, |v34|
; %bb.287:
	v_cmp_le_f32_e64 s10, 0x3e800000, |v34|
	s_delay_alu instid0(VALU_DEP_1)
	v_cndmask_b32_e64 v38, 0, 1, s10
; %bb.288:
	s_or_b32 exec_lo, exec_lo, s9
.LBB25_289:
	s_delay_alu instid0(SALU_CYCLE_1)
	s_or_b32 exec_lo, exec_lo, s8
.LBB25_290:
	s_delay_alu instid0(SALU_CYCLE_1)
	s_or_b32 exec_lo, exec_lo, s7
.LBB25_291:
	s_delay_alu instid0(SALU_CYCLE_1)
	s_or_b32 exec_lo, exec_lo, s6
.LBB25_292:
	s_delay_alu instid0(SALU_CYCLE_1)
	s_or_b32 exec_lo, exec_lo, s3
.LBB25_293:
	s_delay_alu instid0(SALU_CYCLE_1) | instskip(SKIP_3) | instid1(VALU_DEP_2)
	s_or_b32 exec_lo, exec_lo, s2
	v_dual_mul_f32 v62, v10, v32 :: v_dual_mov_b32 v61, 7
	v_mov_b32_e32 v32, 7
	s_mov_b32 s2, exec_lo
	v_cmpx_nle_f32_e64 0x40a00000, |v62|
	s_cbranch_execz .LBB25_305
; %bb.294:
	v_mov_b32_e32 v61, 6
	s_mov_b32 s3, exec_lo
	v_cmpx_nle_f32_e64 0x40600000, |v62|
	s_cbranch_execz .LBB25_304
; %bb.295:
	;; [unrolled: 5-line block ×5, first 2 shown]
	v_mov_b32_e32 v61, 2
	s_mov_b32 s9, exec_lo
	v_cmpx_nle_f32_e64 0x3f400000, |v62|
; %bb.299:
	v_cmp_le_f32_e64 s10, 0x3e800000, |v62|
	s_delay_alu instid0(VALU_DEP_1)
	v_cndmask_b32_e64 v61, 0, 1, s10
; %bb.300:
	s_or_b32 exec_lo, exec_lo, s9
.LBB25_301:
	s_delay_alu instid0(SALU_CYCLE_1)
	s_or_b32 exec_lo, exec_lo, s8
.LBB25_302:
	s_delay_alu instid0(SALU_CYCLE_1)
	s_or_b32 exec_lo, exec_lo, s7
.LBB25_303:
	s_delay_alu instid0(SALU_CYCLE_1)
	s_or_b32 exec_lo, exec_lo, s6
.LBB25_304:
	s_delay_alu instid0(SALU_CYCLE_1)
	s_or_b32 exec_lo, exec_lo, s3
.LBB25_305:
	s_delay_alu instid0(SALU_CYCLE_1) | instskip(SKIP_2) | instid1(VALU_DEP_1)
	s_or_b32 exec_lo, exec_lo, s2
	v_mul_f32_e32 v28, v10, v28
	s_mov_b32 s2, exec_lo
	v_cmpx_nle_f32_e64 0x40a00000, |v28|
	s_cbranch_execz .LBB25_317
; %bb.306:
	v_mov_b32_e32 v32, 6
	s_mov_b32 s3, exec_lo
	v_cmpx_nle_f32_e64 0x40600000, |v28|
	s_cbranch_execz .LBB25_316
; %bb.307:
	v_mov_b32_e32 v32, 5
	;; [unrolled: 5-line block ×5, first 2 shown]
	s_mov_b32 s9, exec_lo
	v_cmpx_nle_f32_e64 0x3f400000, |v28|
; %bb.311:
	v_cmp_le_f32_e64 s10, 0x3e800000, |v28|
	s_delay_alu instid0(VALU_DEP_1)
	v_cndmask_b32_e64 v32, 0, 1, s10
; %bb.312:
	s_or_b32 exec_lo, exec_lo, s9
.LBB25_313:
	s_delay_alu instid0(SALU_CYCLE_1)
	s_or_b32 exec_lo, exec_lo, s8
.LBB25_314:
	s_delay_alu instid0(SALU_CYCLE_1)
	s_or_b32 exec_lo, exec_lo, s7
.LBB25_315:
	s_delay_alu instid0(SALU_CYCLE_1)
	s_or_b32 exec_lo, exec_lo, s6
.LBB25_316:
	s_delay_alu instid0(SALU_CYCLE_1)
	s_or_b32 exec_lo, exec_lo, s3
.LBB25_317:
	s_delay_alu instid0(SALU_CYCLE_1) | instskip(SKIP_3) | instid1(VALU_DEP_2)
	s_or_b32 exec_lo, exec_lo, s2
	v_dual_mul_f32 v64, v10, v26 :: v_dual_mov_b32 v63, 7
	v_mov_b32_e32 v26, 7
	s_mov_b32 s2, exec_lo
	v_cmpx_nle_f32_e64 0x40a00000, |v64|
	s_cbranch_execz .LBB25_329
; %bb.318:
	v_mov_b32_e32 v63, 6
	s_mov_b32 s3, exec_lo
	v_cmpx_nle_f32_e64 0x40600000, |v64|
	s_cbranch_execz .LBB25_328
; %bb.319:
	;; [unrolled: 5-line block ×5, first 2 shown]
	v_mov_b32_e32 v63, 2
	s_mov_b32 s9, exec_lo
	v_cmpx_nle_f32_e64 0x3f400000, |v64|
; %bb.323:
	v_cmp_le_f32_e64 s10, 0x3e800000, |v64|
	s_delay_alu instid0(VALU_DEP_1)
	v_cndmask_b32_e64 v63, 0, 1, s10
; %bb.324:
	s_or_b32 exec_lo, exec_lo, s9
.LBB25_325:
	s_delay_alu instid0(SALU_CYCLE_1)
	s_or_b32 exec_lo, exec_lo, s8
.LBB25_326:
	s_delay_alu instid0(SALU_CYCLE_1)
	s_or_b32 exec_lo, exec_lo, s7
.LBB25_327:
	s_delay_alu instid0(SALU_CYCLE_1)
	s_or_b32 exec_lo, exec_lo, s6
.LBB25_328:
	s_delay_alu instid0(SALU_CYCLE_1)
	s_or_b32 exec_lo, exec_lo, s3
.LBB25_329:
	s_delay_alu instid0(SALU_CYCLE_1) | instskip(SKIP_2) | instid1(VALU_DEP_1)
	s_or_b32 exec_lo, exec_lo, s2
	v_mul_f32_e32 v21, v10, v21
	s_mov_b32 s2, exec_lo
	v_cmpx_nle_f32_e64 0x40a00000, |v21|
	s_cbranch_execz .LBB25_341
; %bb.330:
	v_mov_b32_e32 v26, 6
	s_mov_b32 s3, exec_lo
	v_cmpx_nle_f32_e64 0x40600000, |v21|
	s_cbranch_execz .LBB25_340
; %bb.331:
	v_mov_b32_e32 v26, 5
	;; [unrolled: 5-line block ×5, first 2 shown]
	s_mov_b32 s9, exec_lo
	v_cmpx_nle_f32_e64 0x3f400000, |v21|
; %bb.335:
	v_cmp_le_f32_e64 s10, 0x3e800000, |v21|
	s_delay_alu instid0(VALU_DEP_1)
	v_cndmask_b32_e64 v26, 0, 1, s10
; %bb.336:
	s_or_b32 exec_lo, exec_lo, s9
.LBB25_337:
	s_delay_alu instid0(SALU_CYCLE_1)
	s_or_b32 exec_lo, exec_lo, s8
.LBB25_338:
	s_delay_alu instid0(SALU_CYCLE_1)
	s_or_b32 exec_lo, exec_lo, s7
.LBB25_339:
	s_delay_alu instid0(SALU_CYCLE_1)
	s_or_b32 exec_lo, exec_lo, s6
.LBB25_340:
	s_delay_alu instid0(SALU_CYCLE_1)
	s_or_b32 exec_lo, exec_lo, s3
.LBB25_341:
	s_delay_alu instid0(SALU_CYCLE_1) | instskip(SKIP_3) | instid1(VALU_DEP_2)
	s_or_b32 exec_lo, exec_lo, s2
	v_dual_mul_f32 v65, v10, v19 :: v_dual_mov_b32 v66, 7
	v_mov_b32_e32 v19, 7
	s_mov_b32 s2, exec_lo
	v_cmpx_nle_f32_e64 0x40a00000, |v65|
	s_cbranch_execz .LBB25_353
; %bb.342:
	v_mov_b32_e32 v66, 6
	s_mov_b32 s3, exec_lo
	v_cmpx_nle_f32_e64 0x40600000, |v65|
	s_cbranch_execz .LBB25_352
; %bb.343:
	v_mov_b32_e32 v66, 5
	s_mov_b32 s6, exec_lo
	v_cmpx_nle_f32_e64 0x40200000, |v65|
	s_cbranch_execz .LBB25_351
; %bb.344:
	v_mov_b32_e32 v66, 4
	s_mov_b32 s7, exec_lo
	v_cmpx_nle_f32_e64 0x3fe00000, |v65|
	s_cbranch_execz .LBB25_350
; %bb.345:
	v_mov_b32_e32 v66, 3
	s_mov_b32 s8, exec_lo
	v_cmpx_nle_f32_e64 0x3fa00000, |v65|
	s_cbranch_execz .LBB25_349
; %bb.346:
	v_mov_b32_e32 v66, 2
	s_mov_b32 s9, exec_lo
	v_cmpx_nle_f32_e64 0x3f400000, |v65|
; %bb.347:
	v_cmp_le_f32_e64 s10, 0x3e800000, |v65|
	s_delay_alu instid0(VALU_DEP_1)
	v_cndmask_b32_e64 v66, 0, 1, s10
; %bb.348:
	s_or_b32 exec_lo, exec_lo, s9
.LBB25_349:
	s_delay_alu instid0(SALU_CYCLE_1)
	s_or_b32 exec_lo, exec_lo, s8
.LBB25_350:
	s_delay_alu instid0(SALU_CYCLE_1)
	s_or_b32 exec_lo, exec_lo, s7
.LBB25_351:
	s_delay_alu instid0(SALU_CYCLE_1)
	s_or_b32 exec_lo, exec_lo, s6
.LBB25_352:
	s_delay_alu instid0(SALU_CYCLE_1)
	s_or_b32 exec_lo, exec_lo, s3
.LBB25_353:
	s_delay_alu instid0(SALU_CYCLE_1) | instskip(SKIP_2) | instid1(VALU_DEP_1)
	s_or_b32 exec_lo, exec_lo, s2
	v_mul_f32_e32 v15, v10, v15
	s_mov_b32 s2, exec_lo
	v_cmpx_nle_f32_e64 0x40a00000, |v15|
	s_cbranch_execz .LBB25_365
; %bb.354:
	v_mov_b32_e32 v19, 6
	s_mov_b32 s3, exec_lo
	v_cmpx_nle_f32_e64 0x40600000, |v15|
	s_cbranch_execz .LBB25_364
; %bb.355:
	v_mov_b32_e32 v19, 5
	;; [unrolled: 5-line block ×5, first 2 shown]
	s_mov_b32 s9, exec_lo
	v_cmpx_nle_f32_e64 0x3f400000, |v15|
; %bb.359:
	v_cmp_le_f32_e64 s10, 0x3e800000, |v15|
	s_delay_alu instid0(VALU_DEP_1)
	v_cndmask_b32_e64 v19, 0, 1, s10
; %bb.360:
	s_or_b32 exec_lo, exec_lo, s9
.LBB25_361:
	s_delay_alu instid0(SALU_CYCLE_1)
	s_or_b32 exec_lo, exec_lo, s8
.LBB25_362:
	s_delay_alu instid0(SALU_CYCLE_1)
	s_or_b32 exec_lo, exec_lo, s7
.LBB25_363:
	s_delay_alu instid0(SALU_CYCLE_1)
	s_or_b32 exec_lo, exec_lo, s6
.LBB25_364:
	s_delay_alu instid0(SALU_CYCLE_1)
	s_or_b32 exec_lo, exec_lo, s3
.LBB25_365:
	s_delay_alu instid0(SALU_CYCLE_1) | instskip(SKIP_4) | instid1(VALU_DEP_2)
	s_or_b32 exec_lo, exec_lo, s2
	s_load_b64 s[2:3], s[0:1], 0x10
	v_dual_mul_f32 v68, v10, v13 :: v_dual_mov_b32 v13, 7
	v_mov_b32_e32 v67, 7
	s_mov_b32 s6, exec_lo
	v_cmpx_nle_f32_e64 0x40a00000, |v68|
	s_cbranch_execz .LBB25_377
; %bb.366:
	v_mov_b32_e32 v67, 6
	s_mov_b32 s7, exec_lo
	v_cmpx_nle_f32_e64 0x40600000, |v68|
	s_cbranch_execz .LBB25_376
; %bb.367:
	;; [unrolled: 5-line block ×5, first 2 shown]
	v_mov_b32_e32 v67, 2
	s_mov_b32 s11, exec_lo
	v_cmpx_nle_f32_e64 0x3f400000, |v68|
; %bb.371:
	v_cmp_le_f32_e64 s12, 0x3e800000, |v68|
	s_delay_alu instid0(VALU_DEP_1)
	v_cndmask_b32_e64 v67, 0, 1, s12
; %bb.372:
	s_or_b32 exec_lo, exec_lo, s11
.LBB25_373:
	s_delay_alu instid0(SALU_CYCLE_1)
	s_or_b32 exec_lo, exec_lo, s10
.LBB25_374:
	s_delay_alu instid0(SALU_CYCLE_1)
	s_or_b32 exec_lo, exec_lo, s9
.LBB25_375:
	s_delay_alu instid0(SALU_CYCLE_1)
	s_or_b32 exec_lo, exec_lo, s8
.LBB25_376:
	s_delay_alu instid0(SALU_CYCLE_1)
	s_or_b32 exec_lo, exec_lo, s7
.LBB25_377:
	s_delay_alu instid0(SALU_CYCLE_1) | instskip(SKIP_3) | instid1(VALU_DEP_1)
	s_or_b32 exec_lo, exec_lo, s6
	s_load_b64 s[0:1], s[0:1], 0x8
	v_mul_f32_e32 v8, v10, v8
	s_mov_b32 s6, exec_lo
	v_cmpx_nle_f32_e64 0x40a00000, |v8|
	s_cbranch_execz .LBB25_389
; %bb.378:
	v_mov_b32_e32 v13, 6
	s_mov_b32 s7, exec_lo
	v_cmpx_nle_f32_e64 0x40600000, |v8|
	s_cbranch_execz .LBB25_388
; %bb.379:
	v_mov_b32_e32 v13, 5
	;; [unrolled: 5-line block ×5, first 2 shown]
	s_mov_b32 s11, exec_lo
	v_cmpx_nle_f32_e64 0x3f400000, |v8|
; %bb.383:
	v_cmp_le_f32_e64 s12, 0x3e800000, |v8|
	s_delay_alu instid0(VALU_DEP_1)
	v_cndmask_b32_e64 v13, 0, 1, s12
; %bb.384:
	s_or_b32 exec_lo, exec_lo, s11
.LBB25_385:
	s_delay_alu instid0(SALU_CYCLE_1)
	s_or_b32 exec_lo, exec_lo, s10
.LBB25_386:
	s_delay_alu instid0(SALU_CYCLE_1)
	s_or_b32 exec_lo, exec_lo, s9
.LBB25_387:
	s_delay_alu instid0(SALU_CYCLE_1)
	s_or_b32 exec_lo, exec_lo, s8
.LBB25_388:
	s_delay_alu instid0(SALU_CYCLE_1)
	s_or_b32 exec_lo, exec_lo, s7
.LBB25_389:
	s_delay_alu instid0(SALU_CYCLE_1)
	s_or_b32 exec_lo, exec_lo, s6
	v_cmp_gt_f32_e32 vcc_lo, 0, v68
	v_lshlrev_b16 v6, 4, v6
	v_lshlrev_b16 v9, 4, v9
	;; [unrolled: 1-line block ×4, first 2 shown]
	v_cndmask_b32_e64 v10, 0, 1, vcc_lo
	v_cmp_gt_f32_e32 vcc_lo, 0, v65
	s_lshr_b32 s6, s4, 31
	s_delay_alu instid0(SALU_CYCLE_1) | instskip(NEXT) | instid1(VALU_DEP_2)
	s_add_i32 s4, s4, s6
	v_lshlrev_b16 v10, 3, v10
	v_cndmask_b32_e64 v65, 0, 1, vcc_lo
	v_cmp_gt_f32_e32 vcc_lo, 0, v64
	s_ashr_i32 s4, s4, 1
	s_delay_alu instid0(SALU_CYCLE_1) | instskip(NEXT) | instid1(VALU_DEP_2)
	s_ashr_i32 s6, s4, 31
	v_lshlrev_b16 v65, 3, v65
	v_cndmask_b32_e64 v64, 0, 1, vcc_lo
	v_cmp_gt_f32_e32 vcc_lo, 0, v62
	v_or_b32_e32 v10, v10, v67
	v_mul_lo_u32 v1, v1, s4
	v_or_b32_e32 v65, v65, v66
	v_lshlrev_b16 v64, 3, v64
	v_cndmask_b32_e64 v62, 0, 1, vcc_lo
	v_cmp_gt_f32_e32 vcc_lo, 0, v59
	s_delay_alu instid0(VALU_DEP_3) | instskip(NEXT) | instid1(VALU_DEP_3)
	v_or_b32_e32 v63, v64, v63
	v_lshlrev_b16 v62, 3, v62
	v_cndmask_b32_e64 v59, 0, 1, vcc_lo
	v_cmp_gt_f32_e32 vcc_lo, 0, v58
	s_delay_alu instid0(VALU_DEP_3) | instskip(NEXT) | instid1(VALU_DEP_3)
	;; [unrolled: 5-line block ×11, first 2 shown]
	v_or_b32_e32 v11, v11, v12
	v_lshlrev_b16 v24, 3, v24
	v_cndmask_b32_e64 v18, 0, 1, vcc_lo
	v_cmp_gt_f32_e32 vcc_lo, 0, v5
	s_delay_alu instid0(VALU_DEP_2) | instskip(SKIP_2) | instid1(VALU_DEP_2)
	v_lshlrev_b16 v18, 3, v18
	v_cndmask_b32_e64 v5, 0, 1, vcc_lo
	v_cmp_gt_f32_e32 vcc_lo, 0, v7
	v_lshlrev_b16 v5, 3, v5
	v_cndmask_b32_e64 v7, 0, 1, vcc_lo
	v_cmp_gt_f32_e32 vcc_lo, 0, v14
	s_delay_alu instid0(VALU_DEP_3) | instskip(NEXT) | instid1(VALU_DEP_3)
	v_or_b32_e32 v4, v5, v4
	v_lshlrev_b16 v7, 7, v7
	v_cndmask_b32_e64 v12, 0, 1, vcc_lo
	v_cmp_gt_f32_e32 vcc_lo, 0, v20
	s_delay_alu instid0(VALU_DEP_3) | instskip(NEXT) | instid1(VALU_DEP_3)
	v_or_b32_e32 v5, v7, v6
	v_lshlrev_b16 v12, 7, v12
	v_cndmask_b32_e64 v14, 0, 1, vcc_lo
	v_lshlrev_b16 v7, 4, v17
	v_cmp_gt_f32_e32 vcc_lo, 0, v25
	v_or_b32_e32 v4, v5, v4
	v_or_b32_e32 v6, v12, v9
	v_lshlrev_b16 v9, 7, v14
	v_or_b32_e32 v14, v18, v16
	v_lshlrev_b16 v17, 4, v27
	v_lshlrev_b16 v18, 4, v33
	v_or_b32_e32 v5, v6, v11
	v_or_b32_e32 v6, v9, v7
	v_cndmask_b32_e64 v9, 0, 1, vcc_lo
	v_cmp_gt_f32_e32 vcc_lo, 0, v31
	v_lshlrev_b16 v7, 4, v22
	v_or_b32_e32 v12, v24, v23
	v_or_b32_e32 v6, v6, v14
	v_lshlrev_b16 v9, 7, v9
	v_cndmask_b32_e64 v11, 0, 1, vcc_lo
	v_cmp_gt_f32_e32 vcc_lo, 0, v37
	v_lshlrev_b16 v14, 4, v45
	v_lshlrev_b16 v22, 4, v48
	v_or_b32_e32 v7, v9, v7
	v_lshlrev_b16 v11, 7, v11
	v_cndmask_b32_e64 v16, 0, 1, vcc_lo
	v_cmp_gt_f32_e32 vcc_lo, 0, v41
	v_lshlrev_b16 v25, 4, v26
	v_or_b32_e32 v7, v7, v12
	v_or_b32_e32 v9, v11, v17
	v_lshlrev_b16 v16, 7, v16
	v_cndmask_b32_e64 v20, 0, 1, vcc_lo
	v_cmp_gt_f32_e32 vcc_lo, 0, v47
	v_lshlrev_b16 v5, 8, v5
	v_or_b32_e32 v9, v9, v29
	v_or_b32_e32 v11, v16, v18
	v_lshlrev_b16 v16, 4, v39
	v_lshlrev_b16 v17, 7, v20
	;; [unrolled: 1-line block ×3, first 2 shown]
	v_or_b32_e32 v4, v4, v5
	v_or_b32_e32 v11, v11, v35
	v_lshlrev_b16 v5, 8, v7
	v_or_b32_e32 v12, v17, v16
	v_cndmask_b32_e64 v16, 0, 1, vcc_lo
	v_cmp_gt_f32_e32 vcc_lo, 0, v52
	v_lshlrev_b16 v11, 8, v11
	s_delay_alu instid0(VALU_DEP_4) | instskip(NEXT) | instid1(VALU_DEP_4)
	v_or_b32_e32 v12, v12, v42
	v_lshlrev_b16 v16, 7, v16
	v_cndmask_b32_e64 v17, 0, 1, vcc_lo
	v_cmp_gt_f32_e32 vcc_lo, 0, v46
	v_or_b32_e32 v9, v9, v11
	s_delay_alu instid0(VALU_DEP_4) | instskip(NEXT) | instid1(VALU_DEP_4)
	v_or_b32_e32 v14, v16, v14
	v_lshlrev_b16 v17, 7, v17
	v_cndmask_b32_e64 v18, 0, 1, vcc_lo
	v_cmp_gt_f32_e32 vcc_lo, 0, v40
	s_delay_alu instid0(VALU_DEP_4) | instskip(NEXT) | instid1(VALU_DEP_4)
	v_or_b32_e32 v14, v14, v49
	v_or_b32_e32 v16, v17, v20
	s_delay_alu instid0(VALU_DEP_4)
	v_lshlrev_b16 v18, 7, v18
	v_cndmask_b32_e64 v23, 0, 1, vcc_lo
	v_cmp_gt_f32_e32 vcc_lo, 0, v34
	v_lshlrev_b16 v11, 8, v14
	v_or_b32_e32 v16, v16, v53
	v_or_b32_e32 v17, v18, v22
	v_lshlrev_b16 v18, 4, v44
	v_cndmask_b32_e64 v22, 0, 1, vcc_lo
	v_cmp_gt_f32_e32 vcc_lo, 0, v21
	v_lshlrev_b16 v20, 7, v23
	v_lshlrev_b16 v23, 4, v32
	v_or_b32_e32 v17, v17, v55
	v_and_b32_e32 v14, 0xffff, v9
	v_cndmask_b32_e64 v21, 0, 1, vcc_lo
	v_cmp_gt_f32_e32 vcc_lo, 0, v28
	v_or_b32_e32 v18, v20, v18
	v_lshlrev_b16 v20, 4, v38
	s_delay_alu instid0(VALU_DEP_4) | instskip(SKIP_3) | instid1(VALU_DEP_4)
	v_lshlrev_b16 v21, 7, v21
	v_cndmask_b32_e64 v24, 0, 1, vcc_lo
	v_cmp_gt_f32_e32 vcc_lo, 0, v8
	v_or_b32_e32 v18, v18, v57
	v_or_b32_e32 v21, v21, v25
	s_delay_alu instid0(VALU_DEP_4) | instskip(SKIP_2) | instid1(VALU_DEP_2)
	v_lshlrev_b16 v24, 7, v24
	v_cndmask_b32_e64 v8, 0, 1, vcc_lo
	v_cmp_gt_f32_e32 vcc_lo, 0, v15
	v_lshlrev_b16 v8, 7, v8
	v_cndmask_b32_e64 v15, 0, 1, vcc_lo
	s_delay_alu instid0(VALU_DEP_2) | instskip(NEXT) | instid1(VALU_DEP_2)
	v_or_b32_e32 v8, v8, v13
	v_lshlrev_b16 v15, 7, v15
	v_lshlrev_b16 v13, 7, v22
	v_or_b32_e32 v22, v24, v23
	s_delay_alu instid0(VALU_DEP_4) | instskip(NEXT) | instid1(VALU_DEP_4)
	v_or_b32_e32 v8, v8, v10
	v_or_b32_e32 v15, v15, v19
	;; [unrolled: 1-line block ×5, first 2 shown]
	v_lshlrev_b16 v8, 8, v8
	v_or_b32_e32 v15, v15, v65
	v_lshlrev_b16 v19, 8, v19
	v_lshrrev_b32_e32 v20, 23, v3
	v_or_b32_e32 v10, v10, v59
	s_delay_alu instid0(VALU_DEP_4) | instskip(NEXT) | instid1(VALU_DEP_4)
	v_or_b32_e32 v8, v15, v8
	v_or_b32_e32 v3, v13, v19
	v_lshlrev_b16 v13, 8, v17
	s_delay_alu instid0(VALU_DEP_4) | instskip(NEXT) | instid1(VALU_DEP_4)
	v_lshlrev_b16 v10, 8, v10
	v_lshlrev_b32_e32 v15, 16, v8
	s_delay_alu instid0(VALU_DEP_4) | instskip(NEXT) | instid1(VALU_DEP_4)
	v_and_b32_e32 v3, 0xffff, v3
	v_or_b32_e32 v8, v16, v13
	v_mul_lo_u32 v16, v0, s6
	v_or_b32_e32 v10, v18, v10
	s_delay_alu instid0(VALU_DEP_3)
	v_and_b32_e32 v13, 0xffff, v8
	v_or_b32_e32 v8, v12, v11
	v_and_b32_e32 v12, 0xffff, v4
	v_or_b32_e32 v4, v6, v5
	s_waitcnt lgkmcnt(0)
	v_mad_u64_u32 v[6:7], null, v0, s4, s[0:1]
	v_lshlrev_b32_e32 v11, 16, v8
	v_mad_u64_u32 v[8:9], null, v0, s5, v[2:3]
	v_lshlrev_b32_e32 v0, 16, v4
	v_lshlrev_b32_e32 v9, 4, v2
	;; [unrolled: 1-line block ×3, first 2 shown]
	v_add3_u32 v1, v1, v7, v16
	v_or_b32_e32 v5, v3, v15
	v_or_b32_e32 v2, v12, v0
	v_ashrrev_i32_e32 v7, 31, v8
	v_add_co_u32 v0, vcc_lo, v6, v9
	v_add_co_ci_u32_e32 v1, vcc_lo, 0, v1, vcc_lo
	v_add_co_u32 v6, vcc_lo, s2, v8
	v_or_b32_e32 v4, v13, v10
	v_or_b32_e32 v3, v14, v11
	v_add_co_ci_u32_e32 v7, vcc_lo, s3, v7, vcc_lo
	global_store_b128 v[0:1], v[2:5], off
	global_store_b8 v[6:7], v20, off
.LBB25_390:
	s_nop 0
	s_sendmsg sendmsg(MSG_DEALLOC_VGPRS)
	s_endpgm
	.section	.rodata,"a",@progbits
	.p2align	6, 0x0
	.amdhsa_kernel _ZN5aiter18quant_mxfp4_kernelI12hip_bfloat16LNS_16MxScaleRoundModeE0ELb0ELb0ELb0EEEvPKT_PhPfliiib
		.amdhsa_group_segment_fixed_size 0
		.amdhsa_private_segment_fixed_size 0
		.amdhsa_kernarg_size 304
		.amdhsa_user_sgpr_count 15
		.amdhsa_user_sgpr_dispatch_ptr 0
		.amdhsa_user_sgpr_queue_ptr 0
		.amdhsa_user_sgpr_kernarg_segment_ptr 1
		.amdhsa_user_sgpr_dispatch_id 0
		.amdhsa_user_sgpr_private_segment_size 0
		.amdhsa_wavefront_size32 1
		.amdhsa_uses_dynamic_stack 0
		.amdhsa_enable_private_segment 0
		.amdhsa_system_sgpr_workgroup_id_x 1
		.amdhsa_system_sgpr_workgroup_id_y 0
		.amdhsa_system_sgpr_workgroup_id_z 0
		.amdhsa_system_sgpr_workgroup_info 0
		.amdhsa_system_vgpr_workitem_id 0
		.amdhsa_next_free_vgpr 69
		.amdhsa_next_free_sgpr 16
		.amdhsa_reserve_vcc 1
		.amdhsa_float_round_mode_32 0
		.amdhsa_float_round_mode_16_64 0
		.amdhsa_float_denorm_mode_32 3
		.amdhsa_float_denorm_mode_16_64 3
		.amdhsa_dx10_clamp 1
		.amdhsa_ieee_mode 1
		.amdhsa_fp16_overflow 0
		.amdhsa_workgroup_processor_mode 1
		.amdhsa_memory_ordered 1
		.amdhsa_forward_progress 0
		.amdhsa_shared_vgpr_count 0
		.amdhsa_exception_fp_ieee_invalid_op 0
		.amdhsa_exception_fp_denorm_src 0
		.amdhsa_exception_fp_ieee_div_zero 0
		.amdhsa_exception_fp_ieee_overflow 0
		.amdhsa_exception_fp_ieee_underflow 0
		.amdhsa_exception_fp_ieee_inexact 0
		.amdhsa_exception_int_div_zero 0
	.end_amdhsa_kernel
	.section	.text._ZN5aiter18quant_mxfp4_kernelI12hip_bfloat16LNS_16MxScaleRoundModeE0ELb0ELb0ELb0EEEvPKT_PhPfliiib,"axG",@progbits,_ZN5aiter18quant_mxfp4_kernelI12hip_bfloat16LNS_16MxScaleRoundModeE0ELb0ELb0ELb0EEEvPKT_PhPfliiib,comdat
.Lfunc_end25:
	.size	_ZN5aiter18quant_mxfp4_kernelI12hip_bfloat16LNS_16MxScaleRoundModeE0ELb0ELb0ELb0EEEvPKT_PhPfliiib, .Lfunc_end25-_ZN5aiter18quant_mxfp4_kernelI12hip_bfloat16LNS_16MxScaleRoundModeE0ELb0ELb0ELb0EEEvPKT_PhPfliiib
                                        ; -- End function
	.section	.AMDGPU.csdata,"",@progbits
; Kernel info:
; codeLenInByte = 9908
; NumSgprs: 18
; NumVgprs: 69
; ScratchSize: 0
; MemoryBound: 0
; FloatMode: 240
; IeeeMode: 1
; LDSByteSize: 0 bytes/workgroup (compile time only)
; SGPRBlocks: 2
; VGPRBlocks: 8
; NumSGPRsForWavesPerEU: 18
; NumVGPRsForWavesPerEU: 69
; Occupancy: 16
; WaveLimiterHint : 0
; COMPUTE_PGM_RSRC2:SCRATCH_EN: 0
; COMPUTE_PGM_RSRC2:USER_SGPR: 15
; COMPUTE_PGM_RSRC2:TRAP_HANDLER: 0
; COMPUTE_PGM_RSRC2:TGID_X_EN: 1
; COMPUTE_PGM_RSRC2:TGID_Y_EN: 0
; COMPUTE_PGM_RSRC2:TGID_Z_EN: 0
; COMPUTE_PGM_RSRC2:TIDIG_COMP_CNT: 0
	.section	.text._ZN5aiter18quant_mxfp4_kernelI12hip_bfloat16LNS_16MxScaleRoundModeE1ELb1ELb0ELb1EEEvPKT_PhPfliiib,"axG",@progbits,_ZN5aiter18quant_mxfp4_kernelI12hip_bfloat16LNS_16MxScaleRoundModeE1ELb1ELb0ELb1EEEvPKT_PhPfliiib,comdat
	.protected	_ZN5aiter18quant_mxfp4_kernelI12hip_bfloat16LNS_16MxScaleRoundModeE1ELb1ELb0ELb1EEEvPKT_PhPfliiib ; -- Begin function _ZN5aiter18quant_mxfp4_kernelI12hip_bfloat16LNS_16MxScaleRoundModeE1ELb1ELb0ELb1EEEvPKT_PhPfliiib
	.globl	_ZN5aiter18quant_mxfp4_kernelI12hip_bfloat16LNS_16MxScaleRoundModeE1ELb1ELb0ELb1EEEvPKT_PhPfliiib
	.p2align	8
	.type	_ZN5aiter18quant_mxfp4_kernelI12hip_bfloat16LNS_16MxScaleRoundModeE1ELb1ELb0ELb1EEEvPKT_PhPfliiib,@function
_ZN5aiter18quant_mxfp4_kernelI12hip_bfloat16LNS_16MxScaleRoundModeE1ELb1ELb0ELb1EEEvPKT_PhPfliiib: ; @_ZN5aiter18quant_mxfp4_kernelI12hip_bfloat16LNS_16MxScaleRoundModeE1ELb1ELb0ELb1EEEvPKT_PhPfliiib
; %bb.0:
	s_clause 0x1
	s_load_b32 s2, s[0:1], 0x3c
	s_load_b128 s[4:7], s[0:1], 0x20
	v_mov_b32_e32 v1, 0
	s_mov_b32 s3, exec_lo
	s_delay_alu instid0(VALU_DEP_1) | instskip(SKIP_2) | instid1(SALU_CYCLE_1)
	v_mov_b32_e32 v4, v1
	s_waitcnt lgkmcnt(0)
	s_and_b32 s2, s2, 0xffff
	v_mad_u64_u32 v[2:3], null, s2, s15, v[0:1]
	s_ashr_i32 s2, s6, 31
                                        ; implicit-def: $vgpr0_vgpr1
	s_delay_alu instid0(VALU_DEP_1) | instid1(SALU_CYCLE_1)
	v_or_b32_e32 v5, s2, v3
	s_delay_alu instid0(VALU_DEP_1)
	v_cmpx_ne_u64_e32 0, v[4:5]
	s_xor_b32 s3, exec_lo, s3
	s_cbranch_execz .LBB26_2
; %bb.1:
	s_add_u32 s10, s6, s2
	s_mov_b32 s8, s2
	s_mov_b32 s9, s2
	s_addc_u32 s11, s2, s2
	s_delay_alu instid0(SALU_CYCLE_1) | instskip(NEXT) | instid1(SALU_CYCLE_1)
	s_xor_b64 s[10:11], s[10:11], s[8:9]
	v_cvt_f32_u32_e32 v0, s10
	v_cvt_f32_u32_e32 v1, s11
	s_sub_u32 s2, 0, s10
	s_subb_u32 s7, 0, s11
	s_delay_alu instid0(VALU_DEP_1) | instskip(NEXT) | instid1(VALU_DEP_1)
	v_fmamk_f32 v0, v1, 0x4f800000, v0
	v_rcp_f32_e32 v0, v0
	s_waitcnt_depctr 0xfff
	v_mul_f32_e32 v0, 0x5f7ffffc, v0
	s_delay_alu instid0(VALU_DEP_1) | instskip(NEXT) | instid1(VALU_DEP_1)
	v_mul_f32_e32 v1, 0x2f800000, v0
	v_trunc_f32_e32 v1, v1
	s_delay_alu instid0(VALU_DEP_1) | instskip(SKIP_1) | instid1(VALU_DEP_2)
	v_fmamk_f32 v0, v1, 0xcf800000, v0
	v_cvt_u32_f32_e32 v1, v1
	v_cvt_u32_f32_e32 v0, v0
	s_delay_alu instid0(VALU_DEP_2) | instskip(NEXT) | instid1(VALU_DEP_2)
	v_mul_lo_u32 v4, s2, v1
	v_mul_hi_u32 v5, s2, v0
	v_mul_lo_u32 v6, s7, v0
	s_delay_alu instid0(VALU_DEP_2) | instskip(SKIP_1) | instid1(VALU_DEP_2)
	v_add_nc_u32_e32 v4, v5, v4
	v_mul_lo_u32 v5, s2, v0
	v_add_nc_u32_e32 v4, v4, v6
	s_delay_alu instid0(VALU_DEP_2) | instskip(NEXT) | instid1(VALU_DEP_2)
	v_mul_hi_u32 v6, v0, v5
	v_mul_lo_u32 v7, v0, v4
	v_mul_hi_u32 v8, v0, v4
	v_mul_hi_u32 v9, v1, v5
	v_mul_lo_u32 v5, v1, v5
	v_mul_hi_u32 v10, v1, v4
	v_mul_lo_u32 v4, v1, v4
	v_add_co_u32 v6, vcc_lo, v6, v7
	v_add_co_ci_u32_e32 v7, vcc_lo, 0, v8, vcc_lo
	s_delay_alu instid0(VALU_DEP_2) | instskip(NEXT) | instid1(VALU_DEP_2)
	v_add_co_u32 v5, vcc_lo, v6, v5
	v_add_co_ci_u32_e32 v5, vcc_lo, v7, v9, vcc_lo
	v_add_co_ci_u32_e32 v6, vcc_lo, 0, v10, vcc_lo
	v_ashrrev_i32_e32 v9, 31, v3
	s_delay_alu instid0(VALU_DEP_3) | instskip(NEXT) | instid1(VALU_DEP_3)
	v_add_co_u32 v4, vcc_lo, v5, v4
	v_add_co_ci_u32_e32 v5, vcc_lo, 0, v6, vcc_lo
	s_delay_alu instid0(VALU_DEP_2) | instskip(NEXT) | instid1(VALU_DEP_2)
	v_add_co_u32 v0, vcc_lo, v0, v4
	v_add_co_ci_u32_e32 v1, vcc_lo, v1, v5, vcc_lo
	s_delay_alu instid0(VALU_DEP_2) | instskip(SKIP_1) | instid1(VALU_DEP_3)
	v_mul_hi_u32 v4, s2, v0
	v_mul_lo_u32 v6, s7, v0
	v_mul_lo_u32 v5, s2, v1
	s_delay_alu instid0(VALU_DEP_1) | instskip(SKIP_1) | instid1(VALU_DEP_2)
	v_add_nc_u32_e32 v4, v4, v5
	v_mul_lo_u32 v5, s2, v0
	v_add_nc_u32_e32 v4, v4, v6
	s_delay_alu instid0(VALU_DEP_2) | instskip(NEXT) | instid1(VALU_DEP_2)
	v_mul_hi_u32 v6, v0, v5
	v_mul_lo_u32 v7, v0, v4
	v_mul_hi_u32 v8, v0, v4
	v_mul_hi_u32 v10, v1, v5
	v_mul_lo_u32 v5, v1, v5
	v_mul_hi_u32 v11, v1, v4
	v_mul_lo_u32 v4, v1, v4
	v_add_co_u32 v6, vcc_lo, v6, v7
	v_add_co_ci_u32_e32 v7, vcc_lo, 0, v8, vcc_lo
	s_delay_alu instid0(VALU_DEP_2) | instskip(NEXT) | instid1(VALU_DEP_2)
	v_add_co_u32 v5, vcc_lo, v6, v5
	v_add_co_ci_u32_e32 v5, vcc_lo, v7, v10, vcc_lo
	v_add_co_ci_u32_e32 v6, vcc_lo, 0, v11, vcc_lo
	v_add_co_u32 v7, vcc_lo, v2, v9
	v_add_co_ci_u32_e32 v3, vcc_lo, v3, v9, vcc_lo
	s_delay_alu instid0(VALU_DEP_4) | instskip(NEXT) | instid1(VALU_DEP_4)
	v_add_co_u32 v4, vcc_lo, v5, v4
	v_add_co_ci_u32_e32 v5, vcc_lo, 0, v6, vcc_lo
	s_delay_alu instid0(VALU_DEP_4) | instskip(NEXT) | instid1(VALU_DEP_3)
	v_xor_b32_e32 v7, v7, v9
	v_add_co_u32 v6, vcc_lo, v0, v4
	s_delay_alu instid0(VALU_DEP_3) | instskip(SKIP_1) | instid1(VALU_DEP_3)
	v_add_co_ci_u32_e32 v8, vcc_lo, v1, v5, vcc_lo
	v_xor_b32_e32 v10, v3, v9
	v_mul_hi_u32 v11, v7, v6
	s_delay_alu instid0(VALU_DEP_3) | instskip(NEXT) | instid1(VALU_DEP_3)
	v_mad_u64_u32 v[0:1], null, v7, v8, 0
	v_mad_u64_u32 v[3:4], null, v10, v6, 0
	;; [unrolled: 1-line block ×3, first 2 shown]
	s_delay_alu instid0(VALU_DEP_3) | instskip(NEXT) | instid1(VALU_DEP_4)
	v_add_co_u32 v0, vcc_lo, v11, v0
	v_add_co_ci_u32_e32 v1, vcc_lo, 0, v1, vcc_lo
	s_delay_alu instid0(VALU_DEP_2) | instskip(NEXT) | instid1(VALU_DEP_2)
	v_add_co_u32 v0, vcc_lo, v0, v3
	v_add_co_ci_u32_e32 v0, vcc_lo, v1, v4, vcc_lo
	v_add_co_ci_u32_e32 v1, vcc_lo, 0, v6, vcc_lo
	s_delay_alu instid0(VALU_DEP_2) | instskip(NEXT) | instid1(VALU_DEP_2)
	v_add_co_u32 v3, vcc_lo, v0, v5
	v_add_co_ci_u32_e32 v4, vcc_lo, 0, v1, vcc_lo
	s_delay_alu instid0(VALU_DEP_2) | instskip(SKIP_1) | instid1(VALU_DEP_3)
	v_mul_lo_u32 v5, s11, v3
	v_mad_u64_u32 v[0:1], null, s10, v3, 0
	v_mul_lo_u32 v6, s10, v4
	s_delay_alu instid0(VALU_DEP_2) | instskip(NEXT) | instid1(VALU_DEP_2)
	v_sub_co_u32 v0, vcc_lo, v7, v0
	v_add3_u32 v1, v1, v6, v5
	s_delay_alu instid0(VALU_DEP_1) | instskip(NEXT) | instid1(VALU_DEP_1)
	v_sub_nc_u32_e32 v5, v10, v1
	v_subrev_co_ci_u32_e64 v5, s2, s11, v5, vcc_lo
	v_add_co_u32 v6, s2, v3, 2
	s_delay_alu instid0(VALU_DEP_1) | instskip(SKIP_3) | instid1(VALU_DEP_3)
	v_add_co_ci_u32_e64 v7, s2, 0, v4, s2
	v_sub_co_u32 v8, s2, v0, s10
	v_sub_co_ci_u32_e32 v1, vcc_lo, v10, v1, vcc_lo
	v_subrev_co_ci_u32_e64 v5, s2, 0, v5, s2
	v_cmp_le_u32_e32 vcc_lo, s10, v8
	s_delay_alu instid0(VALU_DEP_3) | instskip(SKIP_1) | instid1(VALU_DEP_4)
	v_cmp_eq_u32_e64 s2, s11, v1
	v_cndmask_b32_e64 v8, 0, -1, vcc_lo
	v_cmp_le_u32_e32 vcc_lo, s11, v5
	v_cndmask_b32_e64 v10, 0, -1, vcc_lo
	v_cmp_le_u32_e32 vcc_lo, s10, v0
	;; [unrolled: 2-line block ×3, first 2 shown]
	v_cndmask_b32_e64 v11, 0, -1, vcc_lo
	v_cmp_eq_u32_e32 vcc_lo, s11, v5
	s_delay_alu instid0(VALU_DEP_2) | instskip(SKIP_3) | instid1(VALU_DEP_3)
	v_cndmask_b32_e64 v0, v11, v0, s2
	v_cndmask_b32_e32 v5, v10, v8, vcc_lo
	v_add_co_u32 v8, vcc_lo, v3, 1
	v_add_co_ci_u32_e32 v10, vcc_lo, 0, v4, vcc_lo
	v_cmp_ne_u32_e32 vcc_lo, 0, v5
	s_delay_alu instid0(VALU_DEP_2) | instskip(NEXT) | instid1(VALU_DEP_4)
	v_cndmask_b32_e32 v1, v10, v7, vcc_lo
	v_cndmask_b32_e32 v5, v8, v6, vcc_lo
	v_cmp_ne_u32_e32 vcc_lo, 0, v0
	v_xor_b32_e32 v0, s8, v9
	s_delay_alu instid0(VALU_DEP_3) | instskip(SKIP_2) | instid1(VALU_DEP_3)
	v_cndmask_b32_e32 v3, v3, v5, vcc_lo
	v_cndmask_b32_e32 v1, v4, v1, vcc_lo
	v_xor_b32_e32 v4, s9, v9
	v_xor_b32_e32 v3, v3, v0
	s_delay_alu instid0(VALU_DEP_2) | instskip(NEXT) | instid1(VALU_DEP_2)
	v_xor_b32_e32 v1, v1, v4
	v_sub_co_u32 v0, vcc_lo, v3, v0
	s_delay_alu instid0(VALU_DEP_2)
	v_sub_co_ci_u32_e32 v1, vcc_lo, v1, v4, vcc_lo
.LBB26_2:
	s_and_not1_saveexec_b32 s2, s3
	s_cbranch_execz .LBB26_4
; %bb.3:
	v_cvt_f32_u32_e32 v0, s6
	s_sub_i32 s3, 0, s6
	s_delay_alu instid0(VALU_DEP_1) | instskip(SKIP_2) | instid1(VALU_DEP_1)
	v_rcp_iflag_f32_e32 v0, v0
	s_waitcnt_depctr 0xfff
	v_mul_f32_e32 v0, 0x4f7ffffe, v0
	v_cvt_u32_f32_e32 v0, v0
	s_delay_alu instid0(VALU_DEP_1) | instskip(NEXT) | instid1(VALU_DEP_1)
	v_mul_lo_u32 v1, s3, v0
	v_mul_hi_u32 v1, v0, v1
	s_delay_alu instid0(VALU_DEP_1) | instskip(NEXT) | instid1(VALU_DEP_1)
	v_add_nc_u32_e32 v0, v0, v1
	v_mul_hi_u32 v0, v2, v0
	s_delay_alu instid0(VALU_DEP_1) | instskip(SKIP_1) | instid1(VALU_DEP_2)
	v_mul_lo_u32 v1, v0, s6
	v_add_nc_u32_e32 v3, 1, v0
	v_sub_nc_u32_e32 v1, v2, v1
	s_delay_alu instid0(VALU_DEP_1) | instskip(SKIP_1) | instid1(VALU_DEP_2)
	v_subrev_nc_u32_e32 v4, s6, v1
	v_cmp_le_u32_e32 vcc_lo, s6, v1
	v_dual_cndmask_b32 v1, v1, v4 :: v_dual_cndmask_b32 v0, v0, v3
	s_delay_alu instid0(VALU_DEP_1) | instskip(NEXT) | instid1(VALU_DEP_2)
	v_cmp_le_u32_e32 vcc_lo, s6, v1
	v_add_nc_u32_e32 v3, 1, v0
	s_delay_alu instid0(VALU_DEP_1)
	v_dual_mov_b32 v1, 0 :: v_dual_cndmask_b32 v0, v0, v3
.LBB26_4:
	s_or_b32 exec_lo, exec_lo, s2
	s_load_b64 s[2:3], s[0:1], 0x18
	s_delay_alu instid0(VALU_DEP_1) | instskip(NEXT) | instid1(VALU_DEP_1)
	v_mad_u64_u32 v[3:4], null, v0, s6, 0
	v_sub_co_u32 v2, null, v2, v3
	s_waitcnt lgkmcnt(0)
	v_cmp_gt_i64_e32 vcc_lo, s[2:3], v[0:1]
	s_delay_alu instid0(VALU_DEP_2) | instskip(NEXT) | instid1(VALU_DEP_1)
	v_cmp_gt_i32_e64 s2, s5, v2
	s_and_b32 s2, vcc_lo, s2
	s_delay_alu instid0(SALU_CYCLE_1)
	s_and_saveexec_b32 s3, s2
	s_cbranch_execz .LBB26_390
; %bb.5:
	s_ashr_i32 s5, s4, 31
	s_load_b64 s[2:3], s[0:1], 0x0
	v_mul_lo_u32 v5, v1, s4
	v_mad_u64_u32 v[3:4], null, v0, s4, 0
	v_mul_lo_u32 v6, v0, s5
	s_delay_alu instid0(VALU_DEP_1) | instskip(SKIP_1) | instid1(VALU_DEP_2)
	v_add3_u32 v4, v4, v6, v5
	v_dual_mov_b32 v6, 0 :: v_dual_lshlrev_b32 v5, 5, v2
	v_lshlrev_b64 v[3:4], 1, v[3:4]
	s_delay_alu instid0(VALU_DEP_2) | instskip(SKIP_1) | instid1(VALU_DEP_2)
	v_lshlrev_b64 v[5:6], 1, v[5:6]
	s_waitcnt lgkmcnt(0)
	v_add_co_u32 v3, vcc_lo, s2, v3
	s_delay_alu instid0(VALU_DEP_3) | instskip(SKIP_1) | instid1(VALU_DEP_2)
	v_add_co_ci_u32_e32 v4, vcc_lo, s3, v4, vcc_lo
	s_mov_b32 s2, exec_lo
	v_add_co_u32 v7, vcc_lo, v3, v5
	s_delay_alu instid0(VALU_DEP_2)
	v_add_co_ci_u32_e32 v8, vcc_lo, v4, v6, vcc_lo
	s_clause 0x3
	global_load_b128 v[3:6], v[7:8], off
	global_load_b128 v[10:13], v[7:8], off offset:16
	global_load_b128 v[52:55], v[7:8], off offset:32
	;; [unrolled: 1-line block ×3, first 2 shown]
	s_waitcnt vmcnt(3)
	v_lshlrev_b32_e32 v17, 16, v3
	v_and_b32_e32 v7, 0xffff0000, v3
	v_lshlrev_b32_e32 v9, 16, v4
	v_and_b32_e32 v14, 0xffff0000, v4
	;; [unrolled: 2-line block ×3, first 2 shown]
	v_max3_f32 v3, |v17|, 0, |v7|
	v_lshlrev_b32_e32 v22, 16, v6
	v_and_b32_e32 v26, 0xffff0000, v6
	s_waitcnt vmcnt(2)
	v_lshlrev_b32_e32 v28, 16, v10
	v_and_b32_e32 v31, 0xffff0000, v10
	v_max3_f32 v3, v3, |v9|, |v14|
	v_lshlrev_b32_e32 v33, 16, v11
	v_and_b32_e32 v37, 0xffff0000, v11
	v_lshlrev_b32_e32 v40, 16, v12
	v_and_b32_e32 v41, 0xffff0000, v12
	v_max3_f32 v3, v3, |v16|, |v20|
	v_lshlrev_b32_e32 v45, 16, v13
	v_and_b32_e32 v47, 0xffff0000, v13
	s_waitcnt vmcnt(1)
	v_lshlrev_b32_e32 v51, 16, v52
	v_and_b32_e32 v52, 0xffff0000, v52
	v_max3_f32 v3, v3, |v22|, |v26|
	v_lshlrev_b32_e32 v48, 16, v53
	v_and_b32_e32 v46, 0xffff0000, v53
	v_lshlrev_b32_e32 v43, 16, v54
	v_and_b32_e32 v39, 0xffff0000, v54
	v_max3_f32 v3, v3, |v28|, |v31|
	;; [unrolled: 11-line block ×3, first 2 shown]
	v_lshlrev_b32_e32 v13, 16, v59
	v_and_b32_e32 v8, 0xffff0000, v59
	s_delay_alu instid0(VALU_DEP_3) | instskip(NEXT) | instid1(VALU_DEP_1)
	v_max3_f32 v3, v3, |v45|, |v47|
	v_max3_f32 v3, v3, |v51|, |v52|
	s_delay_alu instid0(VALU_DEP_1) | instskip(NEXT) | instid1(VALU_DEP_1)
	v_max3_f32 v3, v3, |v48|, |v46|
	v_max3_f32 v3, v3, |v43|, |v39|
	s_delay_alu instid0(VALU_DEP_1) | instskip(NEXT) | instid1(VALU_DEP_1)
	;; [unrolled: 3-line block ×4, first 2 shown]
	v_max3_f32 v3, v3, |v13|, |v8|
	v_mul_f32_e32 v3, 0x3e2aaaab, v3
	s_delay_alu instid0(VALU_DEP_1) | instskip(SKIP_1) | instid1(VALU_DEP_2)
	v_and_b32_e32 v4, 0x7fffff, v3
	v_bfe_u32 v3, v3, 23, 8
	v_cmp_ne_u32_e32 vcc_lo, 0, v4
	s_delay_alu instid0(VALU_DEP_2) | instskip(SKIP_1) | instid1(VALU_DEP_2)
	v_add_co_ci_u32_e32 v4, vcc_lo, 0, v3, vcc_lo
	v_cmp_ne_u32_e32 vcc_lo, 0xff, v3
	v_lshlrev_b32_e32 v4, 23, v4
	s_delay_alu instid0(VALU_DEP_1) | instskip(NEXT) | instid1(VALU_DEP_1)
	v_cndmask_b32_e32 v3, 0x7f800000, v4, vcc_lo
	v_div_scale_f32 v4, null, v3, v3, 1.0
	v_div_scale_f32 v10, vcc_lo, 1.0, v3, 1.0
	s_delay_alu instid0(VALU_DEP_2) | instskip(SKIP_2) | instid1(VALU_DEP_1)
	v_rcp_f32_e32 v5, v4
	s_waitcnt_depctr 0xfff
	v_fma_f32 v6, -v4, v5, 1.0
	v_fmac_f32_e32 v5, v6, v5
	s_delay_alu instid0(VALU_DEP_1) | instskip(NEXT) | instid1(VALU_DEP_1)
	v_mul_f32_e32 v6, v10, v5
	v_fma_f32 v11, -v4, v6, v10
	s_delay_alu instid0(VALU_DEP_1) | instskip(NEXT) | instid1(VALU_DEP_1)
	v_fmac_f32_e32 v6, v11, v5
	v_fma_f32 v4, -v4, v6, v10
	s_delay_alu instid0(VALU_DEP_1) | instskip(SKIP_2) | instid1(VALU_DEP_3)
	v_div_fmas_f32 v4, v4, v5, v6
	v_cmp_neq_f32_e32 vcc_lo, 0, v3
	v_mov_b32_e32 v6, 7
	v_div_fixup_f32 v4, v4, v3, 1.0
	s_delay_alu instid0(VALU_DEP_1) | instskip(NEXT) | instid1(VALU_DEP_1)
	v_cndmask_b32_e32 v12, 0, v4, vcc_lo
	v_dual_mov_b32 v4, 7 :: v_dual_mul_f32 v5, v12, v17
	s_delay_alu instid0(VALU_DEP_1)
	v_cmpx_nle_f32_e64 0x40a00000, |v5|
	s_cbranch_execz .LBB26_17
; %bb.6:
	v_mov_b32_e32 v4, 6
	s_mov_b32 s3, exec_lo
	v_cmpx_nle_f32_e64 0x40600000, |v5|
	s_cbranch_execz .LBB26_16
; %bb.7:
	v_mov_b32_e32 v4, 5
	s_mov_b32 s5, exec_lo
	v_cmpx_nle_f32_e64 0x40200000, |v5|
	s_cbranch_execz .LBB26_15
; %bb.8:
	v_mov_b32_e32 v4, 4
	s_mov_b32 s7, exec_lo
	v_cmpx_nle_f32_e64 0x3fe00000, |v5|
	s_cbranch_execz .LBB26_14
; %bb.9:
	v_mov_b32_e32 v4, 3
	s_mov_b32 s8, exec_lo
	v_cmpx_nle_f32_e64 0x3fa00000, |v5|
	s_cbranch_execz .LBB26_13
; %bb.10:
	v_mov_b32_e32 v4, 2
	s_mov_b32 s9, exec_lo
	v_cmpx_nle_f32_e64 0x3f400000, |v5|
; %bb.11:
	v_cmp_le_f32_e64 s10, 0x3e800000, |v5|
	s_delay_alu instid0(VALU_DEP_1)
	v_cndmask_b32_e64 v4, 0, 1, s10
; %bb.12:
	s_or_b32 exec_lo, exec_lo, s9
.LBB26_13:
	s_delay_alu instid0(SALU_CYCLE_1)
	s_or_b32 exec_lo, exec_lo, s8
.LBB26_14:
	s_delay_alu instid0(SALU_CYCLE_1)
	s_or_b32 exec_lo, exec_lo, s7
.LBB26_15:
	s_delay_alu instid0(SALU_CYCLE_1)
	s_or_b32 exec_lo, exec_lo, s5
.LBB26_16:
	s_delay_alu instid0(SALU_CYCLE_1)
	s_or_b32 exec_lo, exec_lo, s3
.LBB26_17:
	s_delay_alu instid0(SALU_CYCLE_1) | instskip(SKIP_2) | instid1(VALU_DEP_1)
	s_or_b32 exec_lo, exec_lo, s2
	v_mul_f32_e32 v7, v12, v7
	s_mov_b32 s2, exec_lo
	v_cmpx_nle_f32_e64 0x40a00000, |v7|
	s_cbranch_execz .LBB26_29
; %bb.18:
	v_mov_b32_e32 v6, 6
	s_mov_b32 s3, exec_lo
	v_cmpx_nle_f32_e64 0x40600000, |v7|
	s_cbranch_execz .LBB26_28
; %bb.19:
	v_mov_b32_e32 v6, 5
	;; [unrolled: 5-line block ×5, first 2 shown]
	s_mov_b32 s9, exec_lo
	v_cmpx_nle_f32_e64 0x3f400000, |v7|
; %bb.23:
	v_cmp_le_f32_e64 s10, 0x3e800000, |v7|
	s_delay_alu instid0(VALU_DEP_1)
	v_cndmask_b32_e64 v6, 0, 1, s10
; %bb.24:
	s_or_b32 exec_lo, exec_lo, s9
.LBB26_25:
	s_delay_alu instid0(SALU_CYCLE_1)
	s_or_b32 exec_lo, exec_lo, s8
.LBB26_26:
	s_delay_alu instid0(SALU_CYCLE_1)
	s_or_b32 exec_lo, exec_lo, s7
.LBB26_27:
	s_delay_alu instid0(SALU_CYCLE_1)
	s_or_b32 exec_lo, exec_lo, s5
.LBB26_28:
	s_delay_alu instid0(SALU_CYCLE_1)
	s_or_b32 exec_lo, exec_lo, s3
.LBB26_29:
	s_delay_alu instid0(SALU_CYCLE_1) | instskip(SKIP_3) | instid1(VALU_DEP_2)
	s_or_b32 exec_lo, exec_lo, s2
	v_dual_mul_f32 v10, v12, v9 :: v_dual_mov_b32 v11, 7
	v_mov_b32_e32 v9, 7
	s_mov_b32 s2, exec_lo
	v_cmpx_nle_f32_e64 0x40a00000, |v10|
	s_cbranch_execz .LBB26_41
; %bb.30:
	v_mov_b32_e32 v9, 6
	s_mov_b32 s3, exec_lo
	v_cmpx_nle_f32_e64 0x40600000, |v10|
	s_cbranch_execz .LBB26_40
; %bb.31:
	v_mov_b32_e32 v9, 5
	s_mov_b32 s5, exec_lo
	v_cmpx_nle_f32_e64 0x40200000, |v10|
	s_cbranch_execz .LBB26_39
; %bb.32:
	v_mov_b32_e32 v9, 4
	s_mov_b32 s7, exec_lo
	v_cmpx_nle_f32_e64 0x3fe00000, |v10|
	s_cbranch_execz .LBB26_38
; %bb.33:
	v_mov_b32_e32 v9, 3
	s_mov_b32 s8, exec_lo
	v_cmpx_nle_f32_e64 0x3fa00000, |v10|
	s_cbranch_execz .LBB26_37
; %bb.34:
	v_mov_b32_e32 v9, 2
	s_mov_b32 s9, exec_lo
	v_cmpx_nle_f32_e64 0x3f400000, |v10|
; %bb.35:
	v_cmp_le_f32_e64 s10, 0x3e800000, |v10|
	s_delay_alu instid0(VALU_DEP_1)
	v_cndmask_b32_e64 v9, 0, 1, s10
; %bb.36:
	s_or_b32 exec_lo, exec_lo, s9
.LBB26_37:
	s_delay_alu instid0(SALU_CYCLE_1)
	s_or_b32 exec_lo, exec_lo, s8
.LBB26_38:
	s_delay_alu instid0(SALU_CYCLE_1)
	s_or_b32 exec_lo, exec_lo, s7
.LBB26_39:
	s_delay_alu instid0(SALU_CYCLE_1)
	s_or_b32 exec_lo, exec_lo, s5
.LBB26_40:
	s_delay_alu instid0(SALU_CYCLE_1)
	s_or_b32 exec_lo, exec_lo, s3
.LBB26_41:
	s_delay_alu instid0(SALU_CYCLE_1) | instskip(SKIP_2) | instid1(VALU_DEP_1)
	s_or_b32 exec_lo, exec_lo, s2
	v_mul_f32_e32 v14, v12, v14
	s_mov_b32 s2, exec_lo
	v_cmpx_nle_f32_e64 0x40a00000, |v14|
	s_cbranch_execz .LBB26_53
; %bb.42:
	v_mov_b32_e32 v11, 6
	s_mov_b32 s3, exec_lo
	v_cmpx_nle_f32_e64 0x40600000, |v14|
	s_cbranch_execz .LBB26_52
; %bb.43:
	v_mov_b32_e32 v11, 5
	s_mov_b32 s5, exec_lo
	v_cmpx_nle_f32_e64 0x40200000, |v14|
	s_cbranch_execz .LBB26_51
; %bb.44:
	v_mov_b32_e32 v11, 4
	s_mov_b32 s7, exec_lo
	v_cmpx_nle_f32_e64 0x3fe00000, |v14|
	s_cbranch_execz .LBB26_50
; %bb.45:
	v_mov_b32_e32 v11, 3
	s_mov_b32 s8, exec_lo
	v_cmpx_nle_f32_e64 0x3fa00000, |v14|
	s_cbranch_execz .LBB26_49
; %bb.46:
	v_mov_b32_e32 v11, 2
	s_mov_b32 s9, exec_lo
	v_cmpx_nle_f32_e64 0x3f400000, |v14|
; %bb.47:
	v_cmp_le_f32_e64 s10, 0x3e800000, |v14|
	s_delay_alu instid0(VALU_DEP_1)
	v_cndmask_b32_e64 v11, 0, 1, s10
; %bb.48:
	s_or_b32 exec_lo, exec_lo, s9
.LBB26_49:
	s_delay_alu instid0(SALU_CYCLE_1)
	s_or_b32 exec_lo, exec_lo, s8
.LBB26_50:
	s_delay_alu instid0(SALU_CYCLE_1)
	s_or_b32 exec_lo, exec_lo, s7
.LBB26_51:
	s_delay_alu instid0(SALU_CYCLE_1)
	s_or_b32 exec_lo, exec_lo, s5
.LBB26_52:
	s_delay_alu instid0(SALU_CYCLE_1)
	s_or_b32 exec_lo, exec_lo, s3
.LBB26_53:
	s_delay_alu instid0(SALU_CYCLE_1) | instskip(SKIP_3) | instid1(VALU_DEP_2)
	s_or_b32 exec_lo, exec_lo, s2
	v_dual_mul_f32 v18, v12, v16 :: v_dual_mov_b32 v17, 7
	v_mov_b32_e32 v16, 7
	s_mov_b32 s2, exec_lo
	v_cmpx_nle_f32_e64 0x40a00000, |v18|
	s_cbranch_execz .LBB26_65
; %bb.54:
	v_mov_b32_e32 v17, 6
	s_mov_b32 s3, exec_lo
	v_cmpx_nle_f32_e64 0x40600000, |v18|
	s_cbranch_execz .LBB26_64
; %bb.55:
	;; [unrolled: 5-line block ×5, first 2 shown]
	v_mov_b32_e32 v17, 2
	s_mov_b32 s9, exec_lo
	v_cmpx_nle_f32_e64 0x3f400000, |v18|
; %bb.59:
	v_cmp_le_f32_e64 s10, 0x3e800000, |v18|
	s_delay_alu instid0(VALU_DEP_1)
	v_cndmask_b32_e64 v17, 0, 1, s10
; %bb.60:
	s_or_b32 exec_lo, exec_lo, s9
.LBB26_61:
	s_delay_alu instid0(SALU_CYCLE_1)
	s_or_b32 exec_lo, exec_lo, s8
.LBB26_62:
	s_delay_alu instid0(SALU_CYCLE_1)
	s_or_b32 exec_lo, exec_lo, s7
.LBB26_63:
	s_delay_alu instid0(SALU_CYCLE_1)
	s_or_b32 exec_lo, exec_lo, s5
.LBB26_64:
	s_delay_alu instid0(SALU_CYCLE_1)
	s_or_b32 exec_lo, exec_lo, s3
.LBB26_65:
	s_delay_alu instid0(SALU_CYCLE_1) | instskip(SKIP_2) | instid1(VALU_DEP_1)
	s_or_b32 exec_lo, exec_lo, s2
	v_mul_f32_e32 v20, v12, v20
	s_mov_b32 s2, exec_lo
	v_cmpx_nle_f32_e64 0x40a00000, |v20|
	s_cbranch_execz .LBB26_77
; %bb.66:
	v_mov_b32_e32 v16, 6
	s_mov_b32 s3, exec_lo
	v_cmpx_nle_f32_e64 0x40600000, |v20|
	s_cbranch_execz .LBB26_76
; %bb.67:
	v_mov_b32_e32 v16, 5
	;; [unrolled: 5-line block ×5, first 2 shown]
	s_mov_b32 s9, exec_lo
	v_cmpx_nle_f32_e64 0x3f400000, |v20|
; %bb.71:
	v_cmp_le_f32_e64 s10, 0x3e800000, |v20|
	s_delay_alu instid0(VALU_DEP_1)
	v_cndmask_b32_e64 v16, 0, 1, s10
; %bb.72:
	s_or_b32 exec_lo, exec_lo, s9
.LBB26_73:
	s_delay_alu instid0(SALU_CYCLE_1)
	s_or_b32 exec_lo, exec_lo, s8
.LBB26_74:
	s_delay_alu instid0(SALU_CYCLE_1)
	s_or_b32 exec_lo, exec_lo, s7
.LBB26_75:
	s_delay_alu instid0(SALU_CYCLE_1)
	s_or_b32 exec_lo, exec_lo, s5
.LBB26_76:
	s_delay_alu instid0(SALU_CYCLE_1)
	s_or_b32 exec_lo, exec_lo, s3
.LBB26_77:
	s_delay_alu instid0(SALU_CYCLE_1) | instskip(SKIP_3) | instid1(VALU_DEP_2)
	s_or_b32 exec_lo, exec_lo, s2
	v_dual_mul_f32 v24, v12, v22 :: v_dual_mov_b32 v23, 7
	v_mov_b32_e32 v22, 7
	s_mov_b32 s2, exec_lo
	v_cmpx_nle_f32_e64 0x40a00000, |v24|
	s_cbranch_execz .LBB26_89
; %bb.78:
	v_mov_b32_e32 v23, 6
	s_mov_b32 s3, exec_lo
	v_cmpx_nle_f32_e64 0x40600000, |v24|
	s_cbranch_execz .LBB26_88
; %bb.79:
	;; [unrolled: 5-line block ×5, first 2 shown]
	v_mov_b32_e32 v23, 2
	s_mov_b32 s9, exec_lo
	v_cmpx_nle_f32_e64 0x3f400000, |v24|
; %bb.83:
	v_cmp_le_f32_e64 s10, 0x3e800000, |v24|
	s_delay_alu instid0(VALU_DEP_1)
	v_cndmask_b32_e64 v23, 0, 1, s10
; %bb.84:
	s_or_b32 exec_lo, exec_lo, s9
.LBB26_85:
	s_delay_alu instid0(SALU_CYCLE_1)
	s_or_b32 exec_lo, exec_lo, s8
.LBB26_86:
	s_delay_alu instid0(SALU_CYCLE_1)
	s_or_b32 exec_lo, exec_lo, s7
.LBB26_87:
	s_delay_alu instid0(SALU_CYCLE_1)
	s_or_b32 exec_lo, exec_lo, s5
.LBB26_88:
	s_delay_alu instid0(SALU_CYCLE_1)
	s_or_b32 exec_lo, exec_lo, s3
.LBB26_89:
	s_delay_alu instid0(SALU_CYCLE_1) | instskip(SKIP_2) | instid1(VALU_DEP_1)
	s_or_b32 exec_lo, exec_lo, s2
	v_mul_f32_e32 v26, v12, v26
	s_mov_b32 s2, exec_lo
	v_cmpx_nle_f32_e64 0x40a00000, |v26|
	s_cbranch_execz .LBB26_101
; %bb.90:
	v_mov_b32_e32 v22, 6
	s_mov_b32 s3, exec_lo
	v_cmpx_nle_f32_e64 0x40600000, |v26|
	s_cbranch_execz .LBB26_100
; %bb.91:
	v_mov_b32_e32 v22, 5
	;; [unrolled: 5-line block ×5, first 2 shown]
	s_mov_b32 s9, exec_lo
	v_cmpx_nle_f32_e64 0x3f400000, |v26|
; %bb.95:
	v_cmp_le_f32_e64 s10, 0x3e800000, |v26|
	s_delay_alu instid0(VALU_DEP_1)
	v_cndmask_b32_e64 v22, 0, 1, s10
; %bb.96:
	s_or_b32 exec_lo, exec_lo, s9
.LBB26_97:
	s_delay_alu instid0(SALU_CYCLE_1)
	s_or_b32 exec_lo, exec_lo, s8
.LBB26_98:
	s_delay_alu instid0(SALU_CYCLE_1)
	s_or_b32 exec_lo, exec_lo, s7
.LBB26_99:
	s_delay_alu instid0(SALU_CYCLE_1)
	s_or_b32 exec_lo, exec_lo, s5
.LBB26_100:
	s_delay_alu instid0(SALU_CYCLE_1)
	s_or_b32 exec_lo, exec_lo, s3
.LBB26_101:
	s_delay_alu instid0(SALU_CYCLE_1) | instskip(SKIP_3) | instid1(VALU_DEP_2)
	s_or_b32 exec_lo, exec_lo, s2
	v_dual_mul_f32 v29, v12, v28 :: v_dual_mov_b32 v28, 7
	v_mov_b32_e32 v30, 7
	s_mov_b32 s2, exec_lo
	v_cmpx_nle_f32_e64 0x40a00000, |v29|
	s_cbranch_execz .LBB26_113
; %bb.102:
	v_mov_b32_e32 v30, 6
	s_mov_b32 s3, exec_lo
	v_cmpx_nle_f32_e64 0x40600000, |v29|
	s_cbranch_execz .LBB26_112
; %bb.103:
	;; [unrolled: 5-line block ×5, first 2 shown]
	v_mov_b32_e32 v30, 2
	s_mov_b32 s9, exec_lo
	v_cmpx_nle_f32_e64 0x3f400000, |v29|
; %bb.107:
	v_cmp_le_f32_e64 s10, 0x3e800000, |v29|
	s_delay_alu instid0(VALU_DEP_1)
	v_cndmask_b32_e64 v30, 0, 1, s10
; %bb.108:
	s_or_b32 exec_lo, exec_lo, s9
.LBB26_109:
	s_delay_alu instid0(SALU_CYCLE_1)
	s_or_b32 exec_lo, exec_lo, s8
.LBB26_110:
	s_delay_alu instid0(SALU_CYCLE_1)
	s_or_b32 exec_lo, exec_lo, s7
.LBB26_111:
	s_delay_alu instid0(SALU_CYCLE_1)
	s_or_b32 exec_lo, exec_lo, s5
.LBB26_112:
	s_delay_alu instid0(SALU_CYCLE_1)
	s_or_b32 exec_lo, exec_lo, s3
.LBB26_113:
	s_delay_alu instid0(SALU_CYCLE_1) | instskip(SKIP_2) | instid1(VALU_DEP_1)
	s_or_b32 exec_lo, exec_lo, s2
	v_mul_f32_e32 v31, v12, v31
	s_mov_b32 s2, exec_lo
	v_cmpx_nle_f32_e64 0x40a00000, |v31|
	s_cbranch_execz .LBB26_125
; %bb.114:
	v_mov_b32_e32 v28, 6
	s_mov_b32 s3, exec_lo
	v_cmpx_nle_f32_e64 0x40600000, |v31|
	s_cbranch_execz .LBB26_124
; %bb.115:
	v_mov_b32_e32 v28, 5
	;; [unrolled: 5-line block ×5, first 2 shown]
	s_mov_b32 s9, exec_lo
	v_cmpx_nle_f32_e64 0x3f400000, |v31|
; %bb.119:
	v_cmp_le_f32_e64 s10, 0x3e800000, |v31|
	s_delay_alu instid0(VALU_DEP_1)
	v_cndmask_b32_e64 v28, 0, 1, s10
; %bb.120:
	s_or_b32 exec_lo, exec_lo, s9
.LBB26_121:
	s_delay_alu instid0(SALU_CYCLE_1)
	s_or_b32 exec_lo, exec_lo, s8
.LBB26_122:
	s_delay_alu instid0(SALU_CYCLE_1)
	s_or_b32 exec_lo, exec_lo, s7
.LBB26_123:
	s_delay_alu instid0(SALU_CYCLE_1)
	s_or_b32 exec_lo, exec_lo, s5
.LBB26_124:
	s_delay_alu instid0(SALU_CYCLE_1)
	s_or_b32 exec_lo, exec_lo, s3
.LBB26_125:
	s_delay_alu instid0(SALU_CYCLE_1) | instskip(SKIP_3) | instid1(VALU_DEP_2)
	s_or_b32 exec_lo, exec_lo, s2
	v_dual_mul_f32 v36, v12, v33 :: v_dual_mov_b32 v33, 7
	v_mov_b32_e32 v35, 7
	s_mov_b32 s2, exec_lo
	v_cmpx_nle_f32_e64 0x40a00000, |v36|
	s_cbranch_execz .LBB26_137
; %bb.126:
	v_mov_b32_e32 v35, 6
	s_mov_b32 s3, exec_lo
	v_cmpx_nle_f32_e64 0x40600000, |v36|
	s_cbranch_execz .LBB26_136
; %bb.127:
	;; [unrolled: 5-line block ×5, first 2 shown]
	v_mov_b32_e32 v35, 2
	s_mov_b32 s9, exec_lo
	v_cmpx_nle_f32_e64 0x3f400000, |v36|
; %bb.131:
	v_cmp_le_f32_e64 s10, 0x3e800000, |v36|
	s_delay_alu instid0(VALU_DEP_1)
	v_cndmask_b32_e64 v35, 0, 1, s10
; %bb.132:
	s_or_b32 exec_lo, exec_lo, s9
.LBB26_133:
	s_delay_alu instid0(SALU_CYCLE_1)
	s_or_b32 exec_lo, exec_lo, s8
.LBB26_134:
	s_delay_alu instid0(SALU_CYCLE_1)
	s_or_b32 exec_lo, exec_lo, s7
.LBB26_135:
	s_delay_alu instid0(SALU_CYCLE_1)
	s_or_b32 exec_lo, exec_lo, s5
.LBB26_136:
	s_delay_alu instid0(SALU_CYCLE_1)
	s_or_b32 exec_lo, exec_lo, s3
.LBB26_137:
	s_delay_alu instid0(SALU_CYCLE_1) | instskip(SKIP_2) | instid1(VALU_DEP_1)
	s_or_b32 exec_lo, exec_lo, s2
	v_mul_f32_e32 v37, v12, v37
	s_mov_b32 s2, exec_lo
	v_cmpx_nle_f32_e64 0x40a00000, |v37|
	s_cbranch_execz .LBB26_149
; %bb.138:
	v_mov_b32_e32 v33, 6
	s_mov_b32 s3, exec_lo
	v_cmpx_nle_f32_e64 0x40600000, |v37|
	s_cbranch_execz .LBB26_148
; %bb.139:
	v_mov_b32_e32 v33, 5
	;; [unrolled: 5-line block ×5, first 2 shown]
	s_mov_b32 s9, exec_lo
	v_cmpx_nle_f32_e64 0x3f400000, |v37|
; %bb.143:
	v_cmp_le_f32_e64 s10, 0x3e800000, |v37|
	s_delay_alu instid0(VALU_DEP_1)
	v_cndmask_b32_e64 v33, 0, 1, s10
; %bb.144:
	s_or_b32 exec_lo, exec_lo, s9
.LBB26_145:
	s_delay_alu instid0(SALU_CYCLE_1)
	s_or_b32 exec_lo, exec_lo, s8
.LBB26_146:
	s_delay_alu instid0(SALU_CYCLE_1)
	s_or_b32 exec_lo, exec_lo, s7
.LBB26_147:
	s_delay_alu instid0(SALU_CYCLE_1)
	s_or_b32 exec_lo, exec_lo, s5
.LBB26_148:
	s_delay_alu instid0(SALU_CYCLE_1)
	s_or_b32 exec_lo, exec_lo, s3
.LBB26_149:
	s_delay_alu instid0(SALU_CYCLE_1) | instskip(SKIP_4) | instid1(VALU_DEP_3)
	s_or_b32 exec_lo, exec_lo, s2
	v_mul_f32_e32 v44, v12, v40
	v_mov_b32_e32 v40, 7
	v_mov_b32_e32 v42, 7
	s_mov_b32 s2, exec_lo
	v_cmpx_nle_f32_e64 0x40a00000, |v44|
	s_cbranch_execz .LBB26_161
; %bb.150:
	v_mov_b32_e32 v42, 6
	s_mov_b32 s3, exec_lo
	v_cmpx_nle_f32_e64 0x40600000, |v44|
	s_cbranch_execz .LBB26_160
; %bb.151:
	;; [unrolled: 5-line block ×5, first 2 shown]
	v_mov_b32_e32 v42, 2
	s_mov_b32 s9, exec_lo
	v_cmpx_nle_f32_e64 0x3f400000, |v44|
; %bb.155:
	v_cmp_le_f32_e64 s10, 0x3e800000, |v44|
	s_delay_alu instid0(VALU_DEP_1)
	v_cndmask_b32_e64 v42, 0, 1, s10
; %bb.156:
	s_or_b32 exec_lo, exec_lo, s9
.LBB26_157:
	s_delay_alu instid0(SALU_CYCLE_1)
	s_or_b32 exec_lo, exec_lo, s8
.LBB26_158:
	s_delay_alu instid0(SALU_CYCLE_1)
	s_or_b32 exec_lo, exec_lo, s7
.LBB26_159:
	s_delay_alu instid0(SALU_CYCLE_1)
	s_or_b32 exec_lo, exec_lo, s5
.LBB26_160:
	s_delay_alu instid0(SALU_CYCLE_1)
	s_or_b32 exec_lo, exec_lo, s3
.LBB26_161:
	s_delay_alu instid0(SALU_CYCLE_1) | instskip(SKIP_2) | instid1(VALU_DEP_1)
	s_or_b32 exec_lo, exec_lo, s2
	v_mul_f32_e32 v41, v12, v41
	s_mov_b32 s2, exec_lo
	v_cmpx_nle_f32_e64 0x40a00000, |v41|
	s_cbranch_execz .LBB26_173
; %bb.162:
	v_mov_b32_e32 v40, 6
	s_mov_b32 s3, exec_lo
	v_cmpx_nle_f32_e64 0x40600000, |v41|
	s_cbranch_execz .LBB26_172
; %bb.163:
	v_mov_b32_e32 v40, 5
	;; [unrolled: 5-line block ×5, first 2 shown]
	s_mov_b32 s9, exec_lo
	v_cmpx_nle_f32_e64 0x3f400000, |v41|
; %bb.167:
	v_cmp_le_f32_e64 s10, 0x3e800000, |v41|
	s_delay_alu instid0(VALU_DEP_1)
	v_cndmask_b32_e64 v40, 0, 1, s10
; %bb.168:
	s_or_b32 exec_lo, exec_lo, s9
.LBB26_169:
	s_delay_alu instid0(SALU_CYCLE_1)
	s_or_b32 exec_lo, exec_lo, s8
.LBB26_170:
	s_delay_alu instid0(SALU_CYCLE_1)
	s_or_b32 exec_lo, exec_lo, s7
.LBB26_171:
	s_delay_alu instid0(SALU_CYCLE_1)
	s_or_b32 exec_lo, exec_lo, s5
.LBB26_172:
	s_delay_alu instid0(SALU_CYCLE_1)
	s_or_b32 exec_lo, exec_lo, s3
.LBB26_173:
	s_delay_alu instid0(SALU_CYCLE_1) | instskip(SKIP_3) | instid1(VALU_DEP_2)
	s_or_b32 exec_lo, exec_lo, s2
	v_dual_mul_f32 v50, v12, v45 :: v_dual_mov_b32 v45, 7
	v_mov_b32_e32 v49, 7
	s_mov_b32 s2, exec_lo
	v_cmpx_nle_f32_e64 0x40a00000, |v50|
	s_cbranch_execz .LBB26_185
; %bb.174:
	v_mov_b32_e32 v49, 6
	s_mov_b32 s3, exec_lo
	v_cmpx_nle_f32_e64 0x40600000, |v50|
	s_cbranch_execz .LBB26_184
; %bb.175:
	;; [unrolled: 5-line block ×5, first 2 shown]
	v_mov_b32_e32 v49, 2
	s_mov_b32 s9, exec_lo
	v_cmpx_nle_f32_e64 0x3f400000, |v50|
; %bb.179:
	v_cmp_le_f32_e64 s10, 0x3e800000, |v50|
	s_delay_alu instid0(VALU_DEP_1)
	v_cndmask_b32_e64 v49, 0, 1, s10
; %bb.180:
	s_or_b32 exec_lo, exec_lo, s9
.LBB26_181:
	s_delay_alu instid0(SALU_CYCLE_1)
	s_or_b32 exec_lo, exec_lo, s8
.LBB26_182:
	s_delay_alu instid0(SALU_CYCLE_1)
	s_or_b32 exec_lo, exec_lo, s7
.LBB26_183:
	s_delay_alu instid0(SALU_CYCLE_1)
	s_or_b32 exec_lo, exec_lo, s5
.LBB26_184:
	s_delay_alu instid0(SALU_CYCLE_1)
	s_or_b32 exec_lo, exec_lo, s3
.LBB26_185:
	s_delay_alu instid0(SALU_CYCLE_1) | instskip(SKIP_2) | instid1(VALU_DEP_1)
	s_or_b32 exec_lo, exec_lo, s2
	v_mul_f32_e32 v47, v12, v47
	s_mov_b32 s2, exec_lo
	v_cmpx_nle_f32_e64 0x40a00000, |v47|
	s_cbranch_execz .LBB26_197
; %bb.186:
	v_mov_b32_e32 v45, 6
	s_mov_b32 s3, exec_lo
	v_cmpx_nle_f32_e64 0x40600000, |v47|
	s_cbranch_execz .LBB26_196
; %bb.187:
	v_mov_b32_e32 v45, 5
	;; [unrolled: 5-line block ×5, first 2 shown]
	s_mov_b32 s9, exec_lo
	v_cmpx_nle_f32_e64 0x3f400000, |v47|
; %bb.191:
	v_cmp_le_f32_e64 s10, 0x3e800000, |v47|
	s_delay_alu instid0(VALU_DEP_1)
	v_cndmask_b32_e64 v45, 0, 1, s10
; %bb.192:
	s_or_b32 exec_lo, exec_lo, s9
.LBB26_193:
	s_delay_alu instid0(SALU_CYCLE_1)
	s_or_b32 exec_lo, exec_lo, s8
.LBB26_194:
	s_delay_alu instid0(SALU_CYCLE_1)
	s_or_b32 exec_lo, exec_lo, s7
.LBB26_195:
	s_delay_alu instid0(SALU_CYCLE_1)
	s_or_b32 exec_lo, exec_lo, s5
.LBB26_196:
	s_delay_alu instid0(SALU_CYCLE_1)
	s_or_b32 exec_lo, exec_lo, s3
.LBB26_197:
	s_delay_alu instid0(SALU_CYCLE_1) | instskip(SKIP_3) | instid1(VALU_DEP_2)
	s_or_b32 exec_lo, exec_lo, s2
	v_dual_mul_f32 v54, v12, v51 :: v_dual_mov_b32 v51, 7
	v_mov_b32_e32 v53, 7
	s_mov_b32 s2, exec_lo
	v_cmpx_nle_f32_e64 0x40a00000, |v54|
	s_cbranch_execz .LBB26_209
; %bb.198:
	v_mov_b32_e32 v53, 6
	s_mov_b32 s3, exec_lo
	v_cmpx_nle_f32_e64 0x40600000, |v54|
	s_cbranch_execz .LBB26_208
; %bb.199:
	;; [unrolled: 5-line block ×5, first 2 shown]
	v_mov_b32_e32 v53, 2
	s_mov_b32 s9, exec_lo
	v_cmpx_nle_f32_e64 0x3f400000, |v54|
; %bb.203:
	v_cmp_le_f32_e64 s10, 0x3e800000, |v54|
	s_delay_alu instid0(VALU_DEP_1)
	v_cndmask_b32_e64 v53, 0, 1, s10
; %bb.204:
	s_or_b32 exec_lo, exec_lo, s9
.LBB26_205:
	s_delay_alu instid0(SALU_CYCLE_1)
	s_or_b32 exec_lo, exec_lo, s8
.LBB26_206:
	s_delay_alu instid0(SALU_CYCLE_1)
	s_or_b32 exec_lo, exec_lo, s7
.LBB26_207:
	s_delay_alu instid0(SALU_CYCLE_1)
	s_or_b32 exec_lo, exec_lo, s5
.LBB26_208:
	s_delay_alu instid0(SALU_CYCLE_1)
	s_or_b32 exec_lo, exec_lo, s3
.LBB26_209:
	s_delay_alu instid0(SALU_CYCLE_1) | instskip(SKIP_2) | instid1(VALU_DEP_1)
	s_or_b32 exec_lo, exec_lo, s2
	v_mul_f32_e32 v52, v12, v52
	s_mov_b32 s2, exec_lo
	v_cmpx_nle_f32_e64 0x40a00000, |v52|
	s_cbranch_execz .LBB26_221
; %bb.210:
	v_mov_b32_e32 v51, 6
	s_mov_b32 s3, exec_lo
	v_cmpx_nle_f32_e64 0x40600000, |v52|
	s_cbranch_execz .LBB26_220
; %bb.211:
	v_mov_b32_e32 v51, 5
	s_mov_b32 s5, exec_lo
	v_cmpx_nle_f32_e64 0x40200000, |v52|
	s_cbranch_execz .LBB26_219
; %bb.212:
	v_mov_b32_e32 v51, 4
	s_mov_b32 s7, exec_lo
	v_cmpx_nle_f32_e64 0x3fe00000, |v52|
	s_cbranch_execz .LBB26_218
; %bb.213:
	v_mov_b32_e32 v51, 3
	s_mov_b32 s8, exec_lo
	v_cmpx_nle_f32_e64 0x3fa00000, |v52|
	s_cbranch_execz .LBB26_217
; %bb.214:
	v_mov_b32_e32 v51, 2
	s_mov_b32 s9, exec_lo
	v_cmpx_nle_f32_e64 0x3f400000, |v52|
; %bb.215:
	v_cmp_le_f32_e64 s10, 0x3e800000, |v52|
	s_delay_alu instid0(VALU_DEP_1)
	v_cndmask_b32_e64 v51, 0, 1, s10
; %bb.216:
	s_or_b32 exec_lo, exec_lo, s9
.LBB26_217:
	s_delay_alu instid0(SALU_CYCLE_1)
	s_or_b32 exec_lo, exec_lo, s8
.LBB26_218:
	s_delay_alu instid0(SALU_CYCLE_1)
	s_or_b32 exec_lo, exec_lo, s7
.LBB26_219:
	s_delay_alu instid0(SALU_CYCLE_1)
	s_or_b32 exec_lo, exec_lo, s5
.LBB26_220:
	s_delay_alu instid0(SALU_CYCLE_1)
	s_or_b32 exec_lo, exec_lo, s3
.LBB26_221:
	s_delay_alu instid0(SALU_CYCLE_1) | instskip(SKIP_3) | instid1(VALU_DEP_2)
	s_or_b32 exec_lo, exec_lo, s2
	v_dual_mul_f32 v55, v12, v48 :: v_dual_mov_b32 v48, 7
	v_mov_b32_e32 v56, 7
	s_mov_b32 s2, exec_lo
	v_cmpx_nle_f32_e64 0x40a00000, |v55|
	s_cbranch_execz .LBB26_233
; %bb.222:
	v_mov_b32_e32 v56, 6
	s_mov_b32 s3, exec_lo
	v_cmpx_nle_f32_e64 0x40600000, |v55|
	s_cbranch_execz .LBB26_232
; %bb.223:
	;; [unrolled: 5-line block ×5, first 2 shown]
	v_mov_b32_e32 v56, 2
	s_mov_b32 s9, exec_lo
	v_cmpx_nle_f32_e64 0x3f400000, |v55|
; %bb.227:
	v_cmp_le_f32_e64 s10, 0x3e800000, |v55|
	s_delay_alu instid0(VALU_DEP_1)
	v_cndmask_b32_e64 v56, 0, 1, s10
; %bb.228:
	s_or_b32 exec_lo, exec_lo, s9
.LBB26_229:
	s_delay_alu instid0(SALU_CYCLE_1)
	s_or_b32 exec_lo, exec_lo, s8
.LBB26_230:
	s_delay_alu instid0(SALU_CYCLE_1)
	s_or_b32 exec_lo, exec_lo, s7
.LBB26_231:
	s_delay_alu instid0(SALU_CYCLE_1)
	s_or_b32 exec_lo, exec_lo, s5
.LBB26_232:
	s_delay_alu instid0(SALU_CYCLE_1)
	s_or_b32 exec_lo, exec_lo, s3
.LBB26_233:
	s_delay_alu instid0(SALU_CYCLE_1) | instskip(SKIP_2) | instid1(VALU_DEP_1)
	s_or_b32 exec_lo, exec_lo, s2
	v_mul_f32_e32 v46, v12, v46
	s_mov_b32 s2, exec_lo
	v_cmpx_nle_f32_e64 0x40a00000, |v46|
	s_cbranch_execz .LBB26_245
; %bb.234:
	v_mov_b32_e32 v48, 6
	s_mov_b32 s3, exec_lo
	v_cmpx_nle_f32_e64 0x40600000, |v46|
	s_cbranch_execz .LBB26_244
; %bb.235:
	v_mov_b32_e32 v48, 5
	;; [unrolled: 5-line block ×5, first 2 shown]
	s_mov_b32 s9, exec_lo
	v_cmpx_nle_f32_e64 0x3f400000, |v46|
; %bb.239:
	v_cmp_le_f32_e64 s10, 0x3e800000, |v46|
	s_delay_alu instid0(VALU_DEP_1)
	v_cndmask_b32_e64 v48, 0, 1, s10
; %bb.240:
	s_or_b32 exec_lo, exec_lo, s9
.LBB26_241:
	s_delay_alu instid0(SALU_CYCLE_1)
	s_or_b32 exec_lo, exec_lo, s8
.LBB26_242:
	s_delay_alu instid0(SALU_CYCLE_1)
	s_or_b32 exec_lo, exec_lo, s7
.LBB26_243:
	s_delay_alu instid0(SALU_CYCLE_1)
	s_or_b32 exec_lo, exec_lo, s5
.LBB26_244:
	s_delay_alu instid0(SALU_CYCLE_1)
	s_or_b32 exec_lo, exec_lo, s3
.LBB26_245:
	s_delay_alu instid0(SALU_CYCLE_1) | instskip(SKIP_3) | instid1(VALU_DEP_2)
	s_or_b32 exec_lo, exec_lo, s2
	v_dual_mul_f32 v58, v12, v43 :: v_dual_mov_b32 v43, 7
	v_mov_b32_e32 v57, 7
	s_mov_b32 s2, exec_lo
	v_cmpx_nle_f32_e64 0x40a00000, |v58|
	s_cbranch_execz .LBB26_257
; %bb.246:
	v_mov_b32_e32 v57, 6
	s_mov_b32 s3, exec_lo
	v_cmpx_nle_f32_e64 0x40600000, |v58|
	s_cbranch_execz .LBB26_256
; %bb.247:
	;; [unrolled: 5-line block ×5, first 2 shown]
	v_mov_b32_e32 v57, 2
	s_mov_b32 s9, exec_lo
	v_cmpx_nle_f32_e64 0x3f400000, |v58|
; %bb.251:
	v_cmp_le_f32_e64 s10, 0x3e800000, |v58|
	s_delay_alu instid0(VALU_DEP_1)
	v_cndmask_b32_e64 v57, 0, 1, s10
; %bb.252:
	s_or_b32 exec_lo, exec_lo, s9
.LBB26_253:
	s_delay_alu instid0(SALU_CYCLE_1)
	s_or_b32 exec_lo, exec_lo, s8
.LBB26_254:
	s_delay_alu instid0(SALU_CYCLE_1)
	s_or_b32 exec_lo, exec_lo, s7
.LBB26_255:
	s_delay_alu instid0(SALU_CYCLE_1)
	s_or_b32 exec_lo, exec_lo, s5
.LBB26_256:
	s_delay_alu instid0(SALU_CYCLE_1)
	s_or_b32 exec_lo, exec_lo, s3
.LBB26_257:
	s_delay_alu instid0(SALU_CYCLE_1) | instskip(SKIP_2) | instid1(VALU_DEP_1)
	s_or_b32 exec_lo, exec_lo, s2
	v_mul_f32_e32 v39, v12, v39
	s_mov_b32 s2, exec_lo
	v_cmpx_nle_f32_e64 0x40a00000, |v39|
	s_cbranch_execz .LBB26_269
; %bb.258:
	v_mov_b32_e32 v43, 6
	s_mov_b32 s3, exec_lo
	v_cmpx_nle_f32_e64 0x40600000, |v39|
	s_cbranch_execz .LBB26_268
; %bb.259:
	v_mov_b32_e32 v43, 5
	;; [unrolled: 5-line block ×5, first 2 shown]
	s_mov_b32 s9, exec_lo
	v_cmpx_nle_f32_e64 0x3f400000, |v39|
; %bb.263:
	v_cmp_le_f32_e64 s10, 0x3e800000, |v39|
	s_delay_alu instid0(VALU_DEP_1)
	v_cndmask_b32_e64 v43, 0, 1, s10
; %bb.264:
	s_or_b32 exec_lo, exec_lo, s9
.LBB26_265:
	s_delay_alu instid0(SALU_CYCLE_1)
	s_or_b32 exec_lo, exec_lo, s8
.LBB26_266:
	s_delay_alu instid0(SALU_CYCLE_1)
	s_or_b32 exec_lo, exec_lo, s7
.LBB26_267:
	s_delay_alu instid0(SALU_CYCLE_1)
	s_or_b32 exec_lo, exec_lo, s5
.LBB26_268:
	s_delay_alu instid0(SALU_CYCLE_1)
	s_or_b32 exec_lo, exec_lo, s3
.LBB26_269:
	s_delay_alu instid0(SALU_CYCLE_1) | instskip(SKIP_3) | instid1(VALU_DEP_2)
	s_or_b32 exec_lo, exec_lo, s2
	v_dual_mul_f32 v60, v12, v38 :: v_dual_mov_b32 v59, 7
	v_mov_b32_e32 v38, 7
	s_mov_b32 s2, exec_lo
	v_cmpx_nle_f32_e64 0x40a00000, |v60|
	s_cbranch_execz .LBB26_281
; %bb.270:
	v_mov_b32_e32 v59, 6
	s_mov_b32 s3, exec_lo
	v_cmpx_nle_f32_e64 0x40600000, |v60|
	s_cbranch_execz .LBB26_280
; %bb.271:
	;; [unrolled: 5-line block ×5, first 2 shown]
	v_mov_b32_e32 v59, 2
	s_mov_b32 s9, exec_lo
	v_cmpx_nle_f32_e64 0x3f400000, |v60|
; %bb.275:
	v_cmp_le_f32_e64 s10, 0x3e800000, |v60|
	s_delay_alu instid0(VALU_DEP_1)
	v_cndmask_b32_e64 v59, 0, 1, s10
; %bb.276:
	s_or_b32 exec_lo, exec_lo, s9
.LBB26_277:
	s_delay_alu instid0(SALU_CYCLE_1)
	s_or_b32 exec_lo, exec_lo, s8
.LBB26_278:
	s_delay_alu instid0(SALU_CYCLE_1)
	s_or_b32 exec_lo, exec_lo, s7
.LBB26_279:
	s_delay_alu instid0(SALU_CYCLE_1)
	s_or_b32 exec_lo, exec_lo, s5
.LBB26_280:
	s_delay_alu instid0(SALU_CYCLE_1)
	s_or_b32 exec_lo, exec_lo, s3
.LBB26_281:
	s_delay_alu instid0(SALU_CYCLE_1) | instskip(SKIP_2) | instid1(VALU_DEP_1)
	s_or_b32 exec_lo, exec_lo, s2
	v_mul_f32_e32 v34, v12, v34
	s_mov_b32 s2, exec_lo
	v_cmpx_nle_f32_e64 0x40a00000, |v34|
	s_cbranch_execz .LBB26_293
; %bb.282:
	v_mov_b32_e32 v38, 6
	s_mov_b32 s3, exec_lo
	v_cmpx_nle_f32_e64 0x40600000, |v34|
	s_cbranch_execz .LBB26_292
; %bb.283:
	v_mov_b32_e32 v38, 5
	;; [unrolled: 5-line block ×5, first 2 shown]
	s_mov_b32 s9, exec_lo
	v_cmpx_nle_f32_e64 0x3f400000, |v34|
; %bb.287:
	v_cmp_le_f32_e64 s10, 0x3e800000, |v34|
	s_delay_alu instid0(VALU_DEP_1)
	v_cndmask_b32_e64 v38, 0, 1, s10
; %bb.288:
	s_or_b32 exec_lo, exec_lo, s9
.LBB26_289:
	s_delay_alu instid0(SALU_CYCLE_1)
	s_or_b32 exec_lo, exec_lo, s8
.LBB26_290:
	s_delay_alu instid0(SALU_CYCLE_1)
	s_or_b32 exec_lo, exec_lo, s7
.LBB26_291:
	s_delay_alu instid0(SALU_CYCLE_1)
	s_or_b32 exec_lo, exec_lo, s5
.LBB26_292:
	s_delay_alu instid0(SALU_CYCLE_1)
	s_or_b32 exec_lo, exec_lo, s3
.LBB26_293:
	s_delay_alu instid0(SALU_CYCLE_1) | instskip(SKIP_3) | instid1(VALU_DEP_2)
	s_or_b32 exec_lo, exec_lo, s2
	v_dual_mul_f32 v62, v12, v32 :: v_dual_mov_b32 v61, 7
	v_mov_b32_e32 v32, 7
	s_mov_b32 s2, exec_lo
	v_cmpx_nle_f32_e64 0x40a00000, |v62|
	s_cbranch_execz .LBB26_305
; %bb.294:
	v_mov_b32_e32 v61, 6
	s_mov_b32 s3, exec_lo
	v_cmpx_nle_f32_e64 0x40600000, |v62|
	s_cbranch_execz .LBB26_304
; %bb.295:
	;; [unrolled: 5-line block ×5, first 2 shown]
	v_mov_b32_e32 v61, 2
	s_mov_b32 s9, exec_lo
	v_cmpx_nle_f32_e64 0x3f400000, |v62|
; %bb.299:
	v_cmp_le_f32_e64 s10, 0x3e800000, |v62|
	s_delay_alu instid0(VALU_DEP_1)
	v_cndmask_b32_e64 v61, 0, 1, s10
; %bb.300:
	s_or_b32 exec_lo, exec_lo, s9
.LBB26_301:
	s_delay_alu instid0(SALU_CYCLE_1)
	s_or_b32 exec_lo, exec_lo, s8
.LBB26_302:
	s_delay_alu instid0(SALU_CYCLE_1)
	s_or_b32 exec_lo, exec_lo, s7
.LBB26_303:
	s_delay_alu instid0(SALU_CYCLE_1)
	s_or_b32 exec_lo, exec_lo, s5
.LBB26_304:
	s_delay_alu instid0(SALU_CYCLE_1)
	s_or_b32 exec_lo, exec_lo, s3
.LBB26_305:
	s_delay_alu instid0(SALU_CYCLE_1) | instskip(SKIP_2) | instid1(VALU_DEP_1)
	s_or_b32 exec_lo, exec_lo, s2
	v_mul_f32_e32 v27, v12, v27
	s_mov_b32 s2, exec_lo
	v_cmpx_nle_f32_e64 0x40a00000, |v27|
	s_cbranch_execz .LBB26_317
; %bb.306:
	v_mov_b32_e32 v32, 6
	s_mov_b32 s3, exec_lo
	v_cmpx_nle_f32_e64 0x40600000, |v27|
	s_cbranch_execz .LBB26_316
; %bb.307:
	v_mov_b32_e32 v32, 5
	;; [unrolled: 5-line block ×5, first 2 shown]
	s_mov_b32 s9, exec_lo
	v_cmpx_nle_f32_e64 0x3f400000, |v27|
; %bb.311:
	v_cmp_le_f32_e64 s10, 0x3e800000, |v27|
	s_delay_alu instid0(VALU_DEP_1)
	v_cndmask_b32_e64 v32, 0, 1, s10
; %bb.312:
	s_or_b32 exec_lo, exec_lo, s9
.LBB26_313:
	s_delay_alu instid0(SALU_CYCLE_1)
	s_or_b32 exec_lo, exec_lo, s8
.LBB26_314:
	s_delay_alu instid0(SALU_CYCLE_1)
	s_or_b32 exec_lo, exec_lo, s7
.LBB26_315:
	s_delay_alu instid0(SALU_CYCLE_1)
	s_or_b32 exec_lo, exec_lo, s5
.LBB26_316:
	s_delay_alu instid0(SALU_CYCLE_1)
	s_or_b32 exec_lo, exec_lo, s3
.LBB26_317:
	s_delay_alu instid0(SALU_CYCLE_1) | instskip(SKIP_3) | instid1(VALU_DEP_2)
	s_or_b32 exec_lo, exec_lo, s2
	v_dual_mul_f32 v64, v12, v25 :: v_dual_mov_b32 v25, 7
	v_mov_b32_e32 v63, 7
	s_mov_b32 s2, exec_lo
	v_cmpx_nle_f32_e64 0x40a00000, |v64|
	s_cbranch_execz .LBB26_329
; %bb.318:
	v_mov_b32_e32 v63, 6
	s_mov_b32 s3, exec_lo
	v_cmpx_nle_f32_e64 0x40600000, |v64|
	s_cbranch_execz .LBB26_328
; %bb.319:
	v_mov_b32_e32 v63, 5
	s_mov_b32 s5, exec_lo
	v_cmpx_nle_f32_e64 0x40200000, |v64|
	s_cbranch_execz .LBB26_327
; %bb.320:
	v_mov_b32_e32 v63, 4
	s_mov_b32 s7, exec_lo
	v_cmpx_nle_f32_e64 0x3fe00000, |v64|
	s_cbranch_execz .LBB26_326
; %bb.321:
	v_mov_b32_e32 v63, 3
	s_mov_b32 s8, exec_lo
	v_cmpx_nle_f32_e64 0x3fa00000, |v64|
	s_cbranch_execz .LBB26_325
; %bb.322:
	v_mov_b32_e32 v63, 2
	s_mov_b32 s9, exec_lo
	v_cmpx_nle_f32_e64 0x3f400000, |v64|
; %bb.323:
	v_cmp_le_f32_e64 s10, 0x3e800000, |v64|
	s_delay_alu instid0(VALU_DEP_1)
	v_cndmask_b32_e64 v63, 0, 1, s10
; %bb.324:
	s_or_b32 exec_lo, exec_lo, s9
.LBB26_325:
	s_delay_alu instid0(SALU_CYCLE_1)
	s_or_b32 exec_lo, exec_lo, s8
.LBB26_326:
	s_delay_alu instid0(SALU_CYCLE_1)
	s_or_b32 exec_lo, exec_lo, s7
.LBB26_327:
	s_delay_alu instid0(SALU_CYCLE_1)
	s_or_b32 exec_lo, exec_lo, s5
.LBB26_328:
	s_delay_alu instid0(SALU_CYCLE_1)
	s_or_b32 exec_lo, exec_lo, s3
.LBB26_329:
	s_delay_alu instid0(SALU_CYCLE_1) | instskip(SKIP_2) | instid1(VALU_DEP_1)
	s_or_b32 exec_lo, exec_lo, s2
	v_mul_f32_e32 v21, v12, v21
	s_mov_b32 s2, exec_lo
	v_cmpx_nle_f32_e64 0x40a00000, |v21|
	s_cbranch_execz .LBB26_341
; %bb.330:
	v_mov_b32_e32 v25, 6
	s_mov_b32 s3, exec_lo
	v_cmpx_nle_f32_e64 0x40600000, |v21|
	s_cbranch_execz .LBB26_340
; %bb.331:
	v_mov_b32_e32 v25, 5
	;; [unrolled: 5-line block ×5, first 2 shown]
	s_mov_b32 s9, exec_lo
	v_cmpx_nle_f32_e64 0x3f400000, |v21|
; %bb.335:
	v_cmp_le_f32_e64 s10, 0x3e800000, |v21|
	s_delay_alu instid0(VALU_DEP_1)
	v_cndmask_b32_e64 v25, 0, 1, s10
; %bb.336:
	s_or_b32 exec_lo, exec_lo, s9
.LBB26_337:
	s_delay_alu instid0(SALU_CYCLE_1)
	s_or_b32 exec_lo, exec_lo, s8
.LBB26_338:
	s_delay_alu instid0(SALU_CYCLE_1)
	s_or_b32 exec_lo, exec_lo, s7
.LBB26_339:
	s_delay_alu instid0(SALU_CYCLE_1)
	s_or_b32 exec_lo, exec_lo, s5
.LBB26_340:
	s_delay_alu instid0(SALU_CYCLE_1)
	s_or_b32 exec_lo, exec_lo, s3
.LBB26_341:
	s_delay_alu instid0(SALU_CYCLE_1) | instskip(SKIP_3) | instid1(VALU_DEP_2)
	s_or_b32 exec_lo, exec_lo, s2
	v_dual_mul_f32 v65, v12, v19 :: v_dual_mov_b32 v66, 7
	v_mov_b32_e32 v19, 7
	s_mov_b32 s2, exec_lo
	v_cmpx_nle_f32_e64 0x40a00000, |v65|
	s_cbranch_execz .LBB26_353
; %bb.342:
	v_mov_b32_e32 v66, 6
	s_mov_b32 s3, exec_lo
	v_cmpx_nle_f32_e64 0x40600000, |v65|
	s_cbranch_execz .LBB26_352
; %bb.343:
	;; [unrolled: 5-line block ×5, first 2 shown]
	v_mov_b32_e32 v66, 2
	s_mov_b32 s9, exec_lo
	v_cmpx_nle_f32_e64 0x3f400000, |v65|
; %bb.347:
	v_cmp_le_f32_e64 s10, 0x3e800000, |v65|
	s_delay_alu instid0(VALU_DEP_1)
	v_cndmask_b32_e64 v66, 0, 1, s10
; %bb.348:
	s_or_b32 exec_lo, exec_lo, s9
.LBB26_349:
	s_delay_alu instid0(SALU_CYCLE_1)
	s_or_b32 exec_lo, exec_lo, s8
.LBB26_350:
	s_delay_alu instid0(SALU_CYCLE_1)
	s_or_b32 exec_lo, exec_lo, s7
.LBB26_351:
	s_delay_alu instid0(SALU_CYCLE_1)
	s_or_b32 exec_lo, exec_lo, s5
.LBB26_352:
	s_delay_alu instid0(SALU_CYCLE_1)
	s_or_b32 exec_lo, exec_lo, s3
.LBB26_353:
	s_delay_alu instid0(SALU_CYCLE_1) | instskip(SKIP_2) | instid1(VALU_DEP_1)
	s_or_b32 exec_lo, exec_lo, s2
	v_mul_f32_e32 v15, v12, v15
	s_mov_b32 s2, exec_lo
	v_cmpx_nle_f32_e64 0x40a00000, |v15|
	s_cbranch_execz .LBB26_365
; %bb.354:
	v_mov_b32_e32 v19, 6
	s_mov_b32 s3, exec_lo
	v_cmpx_nle_f32_e64 0x40600000, |v15|
	s_cbranch_execz .LBB26_364
; %bb.355:
	v_mov_b32_e32 v19, 5
	;; [unrolled: 5-line block ×5, first 2 shown]
	s_mov_b32 s9, exec_lo
	v_cmpx_nle_f32_e64 0x3f400000, |v15|
; %bb.359:
	v_cmp_le_f32_e64 s10, 0x3e800000, |v15|
	s_delay_alu instid0(VALU_DEP_1)
	v_cndmask_b32_e64 v19, 0, 1, s10
; %bb.360:
	s_or_b32 exec_lo, exec_lo, s9
.LBB26_361:
	s_delay_alu instid0(SALU_CYCLE_1)
	s_or_b32 exec_lo, exec_lo, s8
.LBB26_362:
	s_delay_alu instid0(SALU_CYCLE_1)
	s_or_b32 exec_lo, exec_lo, s7
.LBB26_363:
	s_delay_alu instid0(SALU_CYCLE_1)
	s_or_b32 exec_lo, exec_lo, s5
.LBB26_364:
	s_delay_alu instid0(SALU_CYCLE_1)
	s_or_b32 exec_lo, exec_lo, s3
.LBB26_365:
	s_delay_alu instid0(SALU_CYCLE_1) | instskip(SKIP_4) | instid1(VALU_DEP_2)
	s_or_b32 exec_lo, exec_lo, s2
	s_load_b64 s[2:3], s[0:1], 0x10
	v_dual_mul_f32 v67, v12, v13 :: v_dual_mov_b32 v68, 7
	v_mov_b32_e32 v13, 7
	s_mov_b32 s5, exec_lo
	v_cmpx_nle_f32_e64 0x40a00000, |v67|
	s_cbranch_execz .LBB26_377
; %bb.366:
	v_mov_b32_e32 v68, 6
	s_mov_b32 s7, exec_lo
	v_cmpx_nle_f32_e64 0x40600000, |v67|
	s_cbranch_execz .LBB26_376
; %bb.367:
	v_mov_b32_e32 v68, 5
	s_mov_b32 s8, exec_lo
	v_cmpx_nle_f32_e64 0x40200000, |v67|
	s_cbranch_execz .LBB26_375
; %bb.368:
	v_mov_b32_e32 v68, 4
	s_mov_b32 s9, exec_lo
	v_cmpx_nle_f32_e64 0x3fe00000, |v67|
	s_cbranch_execz .LBB26_374
; %bb.369:
	v_mov_b32_e32 v68, 3
	s_mov_b32 s10, exec_lo
	v_cmpx_nle_f32_e64 0x3fa00000, |v67|
	s_cbranch_execz .LBB26_373
; %bb.370:
	v_mov_b32_e32 v68, 2
	s_mov_b32 s11, exec_lo
	v_cmpx_nle_f32_e64 0x3f400000, |v67|
; %bb.371:
	v_cmp_le_f32_e64 s12, 0x3e800000, |v67|
	s_delay_alu instid0(VALU_DEP_1)
	v_cndmask_b32_e64 v68, 0, 1, s12
; %bb.372:
	s_or_b32 exec_lo, exec_lo, s11
.LBB26_373:
	s_delay_alu instid0(SALU_CYCLE_1)
	s_or_b32 exec_lo, exec_lo, s10
.LBB26_374:
	s_delay_alu instid0(SALU_CYCLE_1)
	s_or_b32 exec_lo, exec_lo, s9
.LBB26_375:
	s_delay_alu instid0(SALU_CYCLE_1)
	s_or_b32 exec_lo, exec_lo, s8
.LBB26_376:
	s_delay_alu instid0(SALU_CYCLE_1)
	s_or_b32 exec_lo, exec_lo, s7
.LBB26_377:
	s_delay_alu instid0(SALU_CYCLE_1) | instskip(SKIP_3) | instid1(VALU_DEP_1)
	s_or_b32 exec_lo, exec_lo, s5
	s_load_b64 s[0:1], s[0:1], 0x8
	v_mul_f32_e32 v8, v12, v8
	s_mov_b32 s5, exec_lo
	v_cmpx_nle_f32_e64 0x40a00000, |v8|
	s_cbranch_execz .LBB26_389
; %bb.378:
	v_mov_b32_e32 v13, 6
	s_mov_b32 s7, exec_lo
	v_cmpx_nle_f32_e64 0x40600000, |v8|
	s_cbranch_execz .LBB26_388
; %bb.379:
	v_mov_b32_e32 v13, 5
	;; [unrolled: 5-line block ×5, first 2 shown]
	s_mov_b32 s11, exec_lo
	v_cmpx_nle_f32_e64 0x3f400000, |v8|
; %bb.383:
	v_cmp_le_f32_e64 s12, 0x3e800000, |v8|
	s_delay_alu instid0(VALU_DEP_1)
	v_cndmask_b32_e64 v13, 0, 1, s12
; %bb.384:
	s_or_b32 exec_lo, exec_lo, s11
.LBB26_385:
	s_delay_alu instid0(SALU_CYCLE_1)
	s_or_b32 exec_lo, exec_lo, s10
.LBB26_386:
	s_delay_alu instid0(SALU_CYCLE_1)
	s_or_b32 exec_lo, exec_lo, s9
.LBB26_387:
	s_delay_alu instid0(SALU_CYCLE_1)
	s_or_b32 exec_lo, exec_lo, s8
.LBB26_388:
	s_delay_alu instid0(SALU_CYCLE_1)
	s_or_b32 exec_lo, exec_lo, s7
.LBB26_389:
	s_delay_alu instid0(SALU_CYCLE_1)
	s_or_b32 exec_lo, exec_lo, s5
	v_cmp_gt_f32_e32 vcc_lo, 0, v67
	v_lshlrev_b16 v6, 4, v6
	v_lshlrev_b16 v25, 4, v25
	;; [unrolled: 1-line block ×4, first 2 shown]
	v_cndmask_b32_e64 v12, 0, 1, vcc_lo
	v_cmp_gt_f32_e32 vcc_lo, 0, v65
	s_lshr_b32 s5, s4, 31
	s_delay_alu instid0(SALU_CYCLE_1) | instskip(NEXT) | instid1(VALU_DEP_2)
	s_add_i32 s4, s4, s5
	v_lshlrev_b16 v12, 3, v12
	v_cndmask_b32_e64 v65, 0, 1, vcc_lo
	v_cmp_gt_f32_e32 vcc_lo, 0, v64
	s_ashr_i32 s4, s4, 1
	s_delay_alu instid0(SALU_CYCLE_1) | instskip(NEXT) | instid1(VALU_DEP_2)
	s_ashr_i32 s5, s4, 31
	v_lshlrev_b16 v65, 3, v65
	v_cndmask_b32_e64 v64, 0, 1, vcc_lo
	v_cmp_gt_f32_e32 vcc_lo, 0, v62
	v_or_b32_e32 v12, v12, v68
	v_mul_lo_u32 v1, v1, s4
	v_or_b32_e32 v65, v65, v66
	v_lshlrev_b16 v64, 3, v64
	v_cndmask_b32_e64 v62, 0, 1, vcc_lo
	v_cmp_gt_f32_e32 vcc_lo, 0, v60
	s_delay_alu instid0(VALU_DEP_3) | instskip(NEXT) | instid1(VALU_DEP_3)
	v_or_b32_e32 v63, v64, v63
	v_lshlrev_b16 v62, 3, v62
	v_cndmask_b32_e64 v60, 0, 1, vcc_lo
	v_cmp_gt_f32_e32 vcc_lo, 0, v58
	s_delay_alu instid0(VALU_DEP_3) | instskip(NEXT) | instid1(VALU_DEP_3)
	;; [unrolled: 5-line block ×10, first 2 shown]
	v_or_b32_e32 v29, v29, v30
	v_lshlrev_b16 v24, 3, v24
	v_cndmask_b32_e64 v18, 0, 1, vcc_lo
	v_cmp_gt_f32_e32 vcc_lo, 0, v5
	s_delay_alu instid0(VALU_DEP_2) | instskip(SKIP_2) | instid1(VALU_DEP_2)
	v_lshlrev_b16 v18, 3, v18
	v_cndmask_b32_e64 v5, 0, 1, vcc_lo
	v_cmp_gt_f32_e32 vcc_lo, 0, v7
	v_lshlrev_b16 v5, 3, v5
	v_cndmask_b32_e64 v7, 0, 1, vcc_lo
	v_cmp_gt_f32_e32 vcc_lo, 0, v10
	s_delay_alu instid0(VALU_DEP_3) | instskip(NEXT) | instid1(VALU_DEP_3)
	v_or_b32_e32 v4, v5, v4
	v_lshlrev_b16 v7, 7, v7
	v_cndmask_b32_e64 v10, 0, 1, vcc_lo
	v_cmp_gt_f32_e32 vcc_lo, 0, v14
	s_delay_alu instid0(VALU_DEP_3)
	v_or_b32_e32 v5, v7, v6
	v_lshlrev_b16 v6, 4, v11
	v_cndmask_b32_e64 v14, 0, 1, vcc_lo
	v_cmp_gt_f32_e32 vcc_lo, 0, v20
	v_lshlrev_b16 v10, 3, v10
	v_or_b32_e32 v4, v5, v4
	v_or_b32_e32 v11, v24, v23
	v_lshlrev_b16 v7, 7, v14
	v_or_b32_e32 v14, v18, v17
	v_or_b32_e32 v9, v10, v9
	v_lshlrev_b16 v10, 4, v22
	v_lshlrev_b16 v22, 4, v33
	v_or_b32_e32 v5, v7, v6
	v_cndmask_b32_e64 v6, 0, 1, vcc_lo
	v_cmp_gt_f32_e32 vcc_lo, 0, v26
	v_lshlrev_b16 v23, 4, v40
	s_delay_alu instid0(VALU_DEP_4)
	v_or_b32_e32 v9, v5, v9
	v_lshlrev_b16 v5, 4, v16
	v_cndmask_b32_e64 v7, 0, 1, vcc_lo
	v_cmp_gt_f32_e32 vcc_lo, 0, v31
	v_lshlrev_b16 v6, 7, v6
	v_lshlrev_b16 v16, 4, v28
	;; [unrolled: 1-line block ×4, first 2 shown]
	v_cndmask_b32_e64 v17, 0, 1, vcc_lo
	v_cmp_gt_f32_e32 vcc_lo, 0, v37
	v_or_b32_e32 v5, v6, v5
	v_or_b32_e32 v4, v4, v9
	;; [unrolled: 1-line block ×3, first 2 shown]
	v_lshlrev_b16 v17, 7, v17
	v_cndmask_b32_e64 v18, 0, 1, vcc_lo
	v_cmp_gt_f32_e32 vcc_lo, 0, v41
	v_or_b32_e32 v14, v5, v14
	v_or_b32_e32 v11, v6, v11
	;; [unrolled: 1-line block ×3, first 2 shown]
	v_lshlrev_b16 v18, 7, v18
	v_cndmask_b32_e64 v20, 0, 1, vcc_lo
	v_cmp_gt_f32_e32 vcc_lo, 0, v52
	v_lshlrev_b16 v6, 4, v51
	v_lshlrev_b16 v5, 4, v45
	v_or_b32_e32 v10, v18, v22
	v_lshlrev_b16 v20, 7, v20
	v_cndmask_b32_e64 v17, 0, 1, vcc_lo
	v_cmp_gt_f32_e32 vcc_lo, 0, v46
	v_lshlrev_b16 v22, 4, v48
	v_or_b32_e32 v10, v10, v35
	v_or_b32_e32 v16, v20, v23
	v_lshlrev_b16 v17, 7, v17
	v_cndmask_b32_e64 v18, 0, 1, vcc_lo
	v_cmp_gt_f32_e32 vcc_lo, 0, v39
	v_lshlrev_b16 v23, 4, v43
	v_or_b32_e32 v7, v7, v29
	v_or_b32_e32 v6, v17, v6
	v_lshlrev_b16 v18, 7, v18
	v_cndmask_b32_e64 v20, 0, 1, vcc_lo
	v_cmp_gt_f32_e32 vcc_lo, 0, v47
	v_or_b32_e32 v16, v16, v42
	v_or_b32_e32 v6, v6, v53
	;; [unrolled: 1-line block ×3, first 2 shown]
	v_lshlrev_b16 v20, 7, v20
	v_cndmask_b32_e64 v24, 0, 1, vcc_lo
	v_cmp_gt_f32_e32 vcc_lo, 0, v34
	v_lshlrev_b16 v22, 4, v38
	v_or_b32_e32 v17, v17, v55
	v_or_b32_e32 v18, v20, v23
	v_lshlrev_b16 v23, 4, v32
	v_cndmask_b32_e64 v20, 0, 1, vcc_lo
	v_cmp_gt_f32_e32 vcc_lo, 0, v21
	v_lshlrev_b16 v17, 8, v17
	v_or_b32_e32 v18, v18, v57
	v_lshlrev_b16 v11, 8, v11
	v_lshlrev_b16 v20, 7, v20
	v_cndmask_b32_e64 v21, 0, 1, vcc_lo
	v_cmp_gt_f32_e32 vcc_lo, 0, v27
	v_or_b32_e32 v6, v6, v17
	s_delay_alu instid0(VALU_DEP_3) | instskip(SKIP_2) | instid1(VALU_DEP_3)
	v_lshlrev_b16 v21, 7, v21
	v_cndmask_b32_e64 v26, 0, 1, vcc_lo
	v_cmp_gt_f32_e32 vcc_lo, 0, v8
	v_or_b32_e32 v21, v21, v25
	s_delay_alu instid0(VALU_DEP_3) | instskip(SKIP_2) | instid1(VALU_DEP_2)
	v_lshlrev_b16 v26, 7, v26
	v_cndmask_b32_e64 v8, 0, 1, vcc_lo
	v_cmp_gt_f32_e32 vcc_lo, 0, v15
	v_lshlrev_b16 v8, 7, v8
	v_cndmask_b32_e64 v15, 0, 1, vcc_lo
	s_delay_alu instid0(VALU_DEP_2) | instskip(NEXT) | instid1(VALU_DEP_2)
	v_or_b32_e32 v8, v8, v13
	v_lshlrev_b16 v15, 7, v15
	v_or_b32_e32 v13, v20, v22
	v_or_b32_e32 v20, v26, v23
	s_delay_alu instid0(VALU_DEP_4) | instskip(NEXT) | instid1(VALU_DEP_4)
	v_or_b32_e32 v8, v8, v12
	v_or_b32_e32 v15, v15, v19
	;; [unrolled: 1-line block ×5, first 2 shown]
	v_lshlrev_b16 v8, 8, v8
	v_or_b32_e32 v15, v15, v65
	v_lshlrev_b16 v19, 8, v19
	v_lshlrev_b16 v12, 8, v12
	;; [unrolled: 1-line block ×3, first 2 shown]
	s_delay_alu instid0(VALU_DEP_4) | instskip(NEXT) | instid1(VALU_DEP_4)
	v_or_b32_e32 v8, v15, v8
	v_or_b32_e32 v13, v13, v19
	s_delay_alu instid0(VALU_DEP_4) | instskip(NEXT) | instid1(VALU_DEP_4)
	v_or_b32_e32 v12, v18, v12
	v_or_b32_e32 v5, v20, v5
	v_ashrrev_i32_e32 v18, 31, v0
	v_lshlrev_b32_e32 v8, 16, v8
	v_and_b32_e32 v13, 0xffff, v13
	v_and_b32_e32 v15, 0xffff, v6
	v_lshlrev_b32_e32 v12, 16, v12
	v_or_b32_e32 v17, v5, v49
	v_lshrrev_b32_e32 v19, 23, v3
	v_or_b32_e32 v6, v13, v8
	v_lshrrev_b32_e32 v8, 27, v18
	v_or_b32_e32 v5, v15, v12
	v_lshlrev_b16 v3, 8, v10
	v_lshlrev_b16 v10, 8, v17
	s_delay_alu instid0(VALU_DEP_4) | instskip(SKIP_1) | instid1(VALU_DEP_4)
	v_add_nc_u32_e32 v12, v0, v8
	v_or_b32_e32 v8, v14, v11
	v_or_b32_e32 v3, v7, v3
	s_delay_alu instid0(VALU_DEP_4)
	v_or_b32_e32 v7, v16, v10
	v_and_b32_e32 v10, 0xffff, v4
	v_and_b32_e32 v9, 0xffe0, v12
	v_lshlrev_b32_e32 v8, 16, v8
	v_and_b32_e32 v3, 0xffff, v3
	v_lshlrev_b32_e32 v7, 16, v7
	v_lshrrev_b32_e32 v11, 28, v18
	v_sub_nc_u32_e32 v9, v0, v9
	v_lshlrev_b32_e32 v14, 8, v2
	s_delay_alu instid0(VALU_DEP_4) | instskip(SKIP_1) | instid1(VALU_DEP_4)
	v_or_b32_e32 v4, v3, v7
	v_or_b32_e32 v3, v10, v8
	v_bfe_i32 v7, v9, 0, 8
	v_lshlrev_b32_e32 v8, 4, v0
	v_and_b32_e32 v10, -16, v0
	v_add_nc_u32_e32 v11, v0, v11
	s_delay_alu instid0(VALU_DEP_4) | instskip(NEXT) | instid1(VALU_DEP_4)
	v_lshrrev_b16 v7, 11, v7
	v_and_b32_e32 v13, 0xf0, v8
	s_delay_alu instid0(VALU_DEP_4) | instskip(NEXT) | instid1(VALU_DEP_4)
	v_mul_lo_u32 v15, v10, s5
	v_and_b32_e32 v11, 0x3ffffff0, v11
	s_delay_alu instid0(VALU_DEP_4)
	v_and_b32_e32 v16, 15, v7
	s_waitcnt lgkmcnt(0)
	v_mad_u64_u32 v[7:8], null, v10, s4, s[0:1]
	v_lshrrev_b32_e32 v10, 5, v12
	v_lshlrev_b32_e32 v12, 6, v2
	v_add_nc_u16 v9, v9, v16
	v_sub_nc_u32_e32 v0, v0, v11
	v_and_b32_e32 v16, 0x3fffff8, v2
	v_mul_lo_u32 v10, v10, s6
	v_and_b32_e32 v12, 0xc0, v12
	v_bfe_i32 v9, v9, 0, 8
	v_lshrrev_b32_e32 v2, 1, v2
	v_add3_u32 v1, v1, v8, v15
	v_and_b32_e32 v11, 0x7ffffe00, v14
	v_lshl_add_u32 v0, v0, 2, v12
	v_ashrrev_i16 v9, 4, v9
	v_add_lshl_u32 v8, v10, v16, 5
	v_and_b32_e32 v12, 0x100, v14
	s_delay_alu instid0(VALU_DEP_4) | instskip(NEXT) | instid1(VALU_DEP_4)
	v_and_or_b32 v0, v2, 2, v0
	v_bfe_i32 v9, v9, 0, 16
	v_add_co_u32 v2, vcc_lo, v7, v13
	v_add_co_ci_u32_e32 v1, vcc_lo, 0, v1, vcc_lo
	s_delay_alu instid0(VALU_DEP_3) | instskip(NEXT) | instid1(VALU_DEP_3)
	v_add3_u32 v7, v0, v8, v9
	v_add_co_u32 v0, vcc_lo, v2, v11
	s_delay_alu instid0(VALU_DEP_3) | instskip(NEXT) | instid1(VALU_DEP_3)
	v_add_co_ci_u32_e32 v1, vcc_lo, 0, v1, vcc_lo
	v_ashrrev_i32_e32 v2, 31, v7
	s_delay_alu instid0(VALU_DEP_3) | instskip(NEXT) | instid1(VALU_DEP_3)
	v_add_co_u32 v0, vcc_lo, v0, v12
	v_add_co_ci_u32_e32 v1, vcc_lo, 0, v1, vcc_lo
	v_add_co_u32 v7, vcc_lo, s2, v7
	s_delay_alu instid0(VALU_DEP_4)
	v_add_co_ci_u32_e32 v8, vcc_lo, s3, v2, vcc_lo
	global_store_b128 v[0:1], v[3:6], off
	global_store_b8 v[7:8], v19, off
.LBB26_390:
	s_nop 0
	s_sendmsg sendmsg(MSG_DEALLOC_VGPRS)
	s_endpgm
	.section	.rodata,"a",@progbits
	.p2align	6, 0x0
	.amdhsa_kernel _ZN5aiter18quant_mxfp4_kernelI12hip_bfloat16LNS_16MxScaleRoundModeE1ELb1ELb0ELb1EEEvPKT_PhPfliiib
		.amdhsa_group_segment_fixed_size 0
		.amdhsa_private_segment_fixed_size 0
		.amdhsa_kernarg_size 304
		.amdhsa_user_sgpr_count 15
		.amdhsa_user_sgpr_dispatch_ptr 0
		.amdhsa_user_sgpr_queue_ptr 0
		.amdhsa_user_sgpr_kernarg_segment_ptr 1
		.amdhsa_user_sgpr_dispatch_id 0
		.amdhsa_user_sgpr_private_segment_size 0
		.amdhsa_wavefront_size32 1
		.amdhsa_uses_dynamic_stack 0
		.amdhsa_enable_private_segment 0
		.amdhsa_system_sgpr_workgroup_id_x 1
		.amdhsa_system_sgpr_workgroup_id_y 0
		.amdhsa_system_sgpr_workgroup_id_z 0
		.amdhsa_system_sgpr_workgroup_info 0
		.amdhsa_system_vgpr_workitem_id 0
		.amdhsa_next_free_vgpr 69
		.amdhsa_next_free_sgpr 16
		.amdhsa_reserve_vcc 1
		.amdhsa_float_round_mode_32 0
		.amdhsa_float_round_mode_16_64 0
		.amdhsa_float_denorm_mode_32 3
		.amdhsa_float_denorm_mode_16_64 3
		.amdhsa_dx10_clamp 1
		.amdhsa_ieee_mode 1
		.amdhsa_fp16_overflow 0
		.amdhsa_workgroup_processor_mode 1
		.amdhsa_memory_ordered 1
		.amdhsa_forward_progress 0
		.amdhsa_shared_vgpr_count 0
		.amdhsa_exception_fp_ieee_invalid_op 0
		.amdhsa_exception_fp_denorm_src 0
		.amdhsa_exception_fp_ieee_div_zero 0
		.amdhsa_exception_fp_ieee_overflow 0
		.amdhsa_exception_fp_ieee_underflow 0
		.amdhsa_exception_fp_ieee_inexact 0
		.amdhsa_exception_int_div_zero 0
	.end_amdhsa_kernel
	.section	.text._ZN5aiter18quant_mxfp4_kernelI12hip_bfloat16LNS_16MxScaleRoundModeE1ELb1ELb0ELb1EEEvPKT_PhPfliiib,"axG",@progbits,_ZN5aiter18quant_mxfp4_kernelI12hip_bfloat16LNS_16MxScaleRoundModeE1ELb1ELb0ELb1EEEvPKT_PhPfliiib,comdat
.Lfunc_end26:
	.size	_ZN5aiter18quant_mxfp4_kernelI12hip_bfloat16LNS_16MxScaleRoundModeE1ELb1ELb0ELb1EEEvPKT_PhPfliiib, .Lfunc_end26-_ZN5aiter18quant_mxfp4_kernelI12hip_bfloat16LNS_16MxScaleRoundModeE1ELb1ELb0ELb1EEEvPKT_PhPfliiib
                                        ; -- End function
	.section	.AMDGPU.csdata,"",@progbits
; Kernel info:
; codeLenInByte = 10184
; NumSgprs: 18
; NumVgprs: 69
; ScratchSize: 0
; MemoryBound: 0
; FloatMode: 240
; IeeeMode: 1
; LDSByteSize: 0 bytes/workgroup (compile time only)
; SGPRBlocks: 2
; VGPRBlocks: 8
; NumSGPRsForWavesPerEU: 18
; NumVGPRsForWavesPerEU: 69
; Occupancy: 16
; WaveLimiterHint : 0
; COMPUTE_PGM_RSRC2:SCRATCH_EN: 0
; COMPUTE_PGM_RSRC2:USER_SGPR: 15
; COMPUTE_PGM_RSRC2:TRAP_HANDLER: 0
; COMPUTE_PGM_RSRC2:TGID_X_EN: 1
; COMPUTE_PGM_RSRC2:TGID_Y_EN: 0
; COMPUTE_PGM_RSRC2:TGID_Z_EN: 0
; COMPUTE_PGM_RSRC2:TIDIG_COMP_CNT: 0
	.section	.text._ZN5aiter18quant_mxfp4_kernelI12hip_bfloat16LNS_16MxScaleRoundModeE1ELb1ELb0ELb0EEEvPKT_PhPfliiib,"axG",@progbits,_ZN5aiter18quant_mxfp4_kernelI12hip_bfloat16LNS_16MxScaleRoundModeE1ELb1ELb0ELb0EEEvPKT_PhPfliiib,comdat
	.protected	_ZN5aiter18quant_mxfp4_kernelI12hip_bfloat16LNS_16MxScaleRoundModeE1ELb1ELb0ELb0EEEvPKT_PhPfliiib ; -- Begin function _ZN5aiter18quant_mxfp4_kernelI12hip_bfloat16LNS_16MxScaleRoundModeE1ELb1ELb0ELb0EEEvPKT_PhPfliiib
	.globl	_ZN5aiter18quant_mxfp4_kernelI12hip_bfloat16LNS_16MxScaleRoundModeE1ELb1ELb0ELb0EEEvPKT_PhPfliiib
	.p2align	8
	.type	_ZN5aiter18quant_mxfp4_kernelI12hip_bfloat16LNS_16MxScaleRoundModeE1ELb1ELb0ELb0EEEvPKT_PhPfliiib,@function
_ZN5aiter18quant_mxfp4_kernelI12hip_bfloat16LNS_16MxScaleRoundModeE1ELb1ELb0ELb0EEEvPKT_PhPfliiib: ; @_ZN5aiter18quant_mxfp4_kernelI12hip_bfloat16LNS_16MxScaleRoundModeE1ELb1ELb0ELb0EEEvPKT_PhPfliiib
; %bb.0:
	s_clause 0x1
	s_load_b32 s2, s[0:1], 0x3c
	s_load_b128 s[4:7], s[0:1], 0x20
	v_mov_b32_e32 v1, 0
	s_mov_b32 s3, exec_lo
	s_delay_alu instid0(VALU_DEP_1) | instskip(SKIP_2) | instid1(SALU_CYCLE_1)
	v_mov_b32_e32 v4, v1
	s_waitcnt lgkmcnt(0)
	s_and_b32 s2, s2, 0xffff
	v_mad_u64_u32 v[2:3], null, s2, s15, v[0:1]
	s_ashr_i32 s2, s6, 31
                                        ; implicit-def: $vgpr0_vgpr1
	s_delay_alu instid0(VALU_DEP_1) | instid1(SALU_CYCLE_1)
	v_or_b32_e32 v5, s2, v3
	s_delay_alu instid0(VALU_DEP_1)
	v_cmpx_ne_u64_e32 0, v[4:5]
	s_xor_b32 s3, exec_lo, s3
	s_cbranch_execz .LBB27_2
; %bb.1:
	s_add_u32 s10, s6, s2
	s_mov_b32 s8, s2
	s_mov_b32 s9, s2
	s_addc_u32 s11, s2, s2
	s_delay_alu instid0(SALU_CYCLE_1) | instskip(NEXT) | instid1(SALU_CYCLE_1)
	s_xor_b64 s[10:11], s[10:11], s[8:9]
	v_cvt_f32_u32_e32 v0, s10
	v_cvt_f32_u32_e32 v1, s11
	s_sub_u32 s2, 0, s10
	s_subb_u32 s7, 0, s11
	s_delay_alu instid0(VALU_DEP_1) | instskip(NEXT) | instid1(VALU_DEP_1)
	v_fmamk_f32 v0, v1, 0x4f800000, v0
	v_rcp_f32_e32 v0, v0
	s_waitcnt_depctr 0xfff
	v_mul_f32_e32 v0, 0x5f7ffffc, v0
	s_delay_alu instid0(VALU_DEP_1) | instskip(NEXT) | instid1(VALU_DEP_1)
	v_mul_f32_e32 v1, 0x2f800000, v0
	v_trunc_f32_e32 v1, v1
	s_delay_alu instid0(VALU_DEP_1) | instskip(SKIP_1) | instid1(VALU_DEP_2)
	v_fmamk_f32 v0, v1, 0xcf800000, v0
	v_cvt_u32_f32_e32 v1, v1
	v_cvt_u32_f32_e32 v0, v0
	s_delay_alu instid0(VALU_DEP_2) | instskip(NEXT) | instid1(VALU_DEP_2)
	v_mul_lo_u32 v4, s2, v1
	v_mul_hi_u32 v5, s2, v0
	v_mul_lo_u32 v6, s7, v0
	s_delay_alu instid0(VALU_DEP_2) | instskip(SKIP_1) | instid1(VALU_DEP_2)
	v_add_nc_u32_e32 v4, v5, v4
	v_mul_lo_u32 v5, s2, v0
	v_add_nc_u32_e32 v4, v4, v6
	s_delay_alu instid0(VALU_DEP_2) | instskip(NEXT) | instid1(VALU_DEP_2)
	v_mul_hi_u32 v6, v0, v5
	v_mul_lo_u32 v7, v0, v4
	v_mul_hi_u32 v8, v0, v4
	v_mul_hi_u32 v9, v1, v5
	v_mul_lo_u32 v5, v1, v5
	v_mul_hi_u32 v10, v1, v4
	v_mul_lo_u32 v4, v1, v4
	v_add_co_u32 v6, vcc_lo, v6, v7
	v_add_co_ci_u32_e32 v7, vcc_lo, 0, v8, vcc_lo
	s_delay_alu instid0(VALU_DEP_2) | instskip(NEXT) | instid1(VALU_DEP_2)
	v_add_co_u32 v5, vcc_lo, v6, v5
	v_add_co_ci_u32_e32 v5, vcc_lo, v7, v9, vcc_lo
	v_add_co_ci_u32_e32 v6, vcc_lo, 0, v10, vcc_lo
	v_ashrrev_i32_e32 v9, 31, v3
	s_delay_alu instid0(VALU_DEP_3) | instskip(NEXT) | instid1(VALU_DEP_3)
	v_add_co_u32 v4, vcc_lo, v5, v4
	v_add_co_ci_u32_e32 v5, vcc_lo, 0, v6, vcc_lo
	s_delay_alu instid0(VALU_DEP_2) | instskip(NEXT) | instid1(VALU_DEP_2)
	v_add_co_u32 v0, vcc_lo, v0, v4
	v_add_co_ci_u32_e32 v1, vcc_lo, v1, v5, vcc_lo
	s_delay_alu instid0(VALU_DEP_2) | instskip(SKIP_1) | instid1(VALU_DEP_3)
	v_mul_hi_u32 v4, s2, v0
	v_mul_lo_u32 v6, s7, v0
	v_mul_lo_u32 v5, s2, v1
	s_delay_alu instid0(VALU_DEP_1) | instskip(SKIP_1) | instid1(VALU_DEP_2)
	v_add_nc_u32_e32 v4, v4, v5
	v_mul_lo_u32 v5, s2, v0
	v_add_nc_u32_e32 v4, v4, v6
	s_delay_alu instid0(VALU_DEP_2) | instskip(NEXT) | instid1(VALU_DEP_2)
	v_mul_hi_u32 v6, v0, v5
	v_mul_lo_u32 v7, v0, v4
	v_mul_hi_u32 v8, v0, v4
	v_mul_hi_u32 v10, v1, v5
	v_mul_lo_u32 v5, v1, v5
	v_mul_hi_u32 v11, v1, v4
	v_mul_lo_u32 v4, v1, v4
	v_add_co_u32 v6, vcc_lo, v6, v7
	v_add_co_ci_u32_e32 v7, vcc_lo, 0, v8, vcc_lo
	s_delay_alu instid0(VALU_DEP_2) | instskip(NEXT) | instid1(VALU_DEP_2)
	v_add_co_u32 v5, vcc_lo, v6, v5
	v_add_co_ci_u32_e32 v5, vcc_lo, v7, v10, vcc_lo
	v_add_co_ci_u32_e32 v6, vcc_lo, 0, v11, vcc_lo
	v_add_co_u32 v7, vcc_lo, v2, v9
	v_add_co_ci_u32_e32 v3, vcc_lo, v3, v9, vcc_lo
	s_delay_alu instid0(VALU_DEP_4) | instskip(NEXT) | instid1(VALU_DEP_4)
	v_add_co_u32 v4, vcc_lo, v5, v4
	v_add_co_ci_u32_e32 v5, vcc_lo, 0, v6, vcc_lo
	s_delay_alu instid0(VALU_DEP_4) | instskip(NEXT) | instid1(VALU_DEP_3)
	v_xor_b32_e32 v7, v7, v9
	v_add_co_u32 v6, vcc_lo, v0, v4
	s_delay_alu instid0(VALU_DEP_3) | instskip(SKIP_1) | instid1(VALU_DEP_3)
	v_add_co_ci_u32_e32 v8, vcc_lo, v1, v5, vcc_lo
	v_xor_b32_e32 v10, v3, v9
	v_mul_hi_u32 v11, v7, v6
	s_delay_alu instid0(VALU_DEP_3) | instskip(NEXT) | instid1(VALU_DEP_3)
	v_mad_u64_u32 v[0:1], null, v7, v8, 0
	v_mad_u64_u32 v[3:4], null, v10, v6, 0
	;; [unrolled: 1-line block ×3, first 2 shown]
	s_delay_alu instid0(VALU_DEP_3) | instskip(NEXT) | instid1(VALU_DEP_4)
	v_add_co_u32 v0, vcc_lo, v11, v0
	v_add_co_ci_u32_e32 v1, vcc_lo, 0, v1, vcc_lo
	s_delay_alu instid0(VALU_DEP_2) | instskip(NEXT) | instid1(VALU_DEP_2)
	v_add_co_u32 v0, vcc_lo, v0, v3
	v_add_co_ci_u32_e32 v0, vcc_lo, v1, v4, vcc_lo
	v_add_co_ci_u32_e32 v1, vcc_lo, 0, v6, vcc_lo
	s_delay_alu instid0(VALU_DEP_2) | instskip(NEXT) | instid1(VALU_DEP_2)
	v_add_co_u32 v3, vcc_lo, v0, v5
	v_add_co_ci_u32_e32 v4, vcc_lo, 0, v1, vcc_lo
	s_delay_alu instid0(VALU_DEP_2) | instskip(SKIP_1) | instid1(VALU_DEP_3)
	v_mul_lo_u32 v5, s11, v3
	v_mad_u64_u32 v[0:1], null, s10, v3, 0
	v_mul_lo_u32 v6, s10, v4
	s_delay_alu instid0(VALU_DEP_2) | instskip(NEXT) | instid1(VALU_DEP_2)
	v_sub_co_u32 v0, vcc_lo, v7, v0
	v_add3_u32 v1, v1, v6, v5
	s_delay_alu instid0(VALU_DEP_1) | instskip(NEXT) | instid1(VALU_DEP_1)
	v_sub_nc_u32_e32 v5, v10, v1
	v_subrev_co_ci_u32_e64 v5, s2, s11, v5, vcc_lo
	v_add_co_u32 v6, s2, v3, 2
	s_delay_alu instid0(VALU_DEP_1) | instskip(SKIP_3) | instid1(VALU_DEP_3)
	v_add_co_ci_u32_e64 v7, s2, 0, v4, s2
	v_sub_co_u32 v8, s2, v0, s10
	v_sub_co_ci_u32_e32 v1, vcc_lo, v10, v1, vcc_lo
	v_subrev_co_ci_u32_e64 v5, s2, 0, v5, s2
	v_cmp_le_u32_e32 vcc_lo, s10, v8
	s_delay_alu instid0(VALU_DEP_3) | instskip(SKIP_1) | instid1(VALU_DEP_4)
	v_cmp_eq_u32_e64 s2, s11, v1
	v_cndmask_b32_e64 v8, 0, -1, vcc_lo
	v_cmp_le_u32_e32 vcc_lo, s11, v5
	v_cndmask_b32_e64 v10, 0, -1, vcc_lo
	v_cmp_le_u32_e32 vcc_lo, s10, v0
	;; [unrolled: 2-line block ×3, first 2 shown]
	v_cndmask_b32_e64 v11, 0, -1, vcc_lo
	v_cmp_eq_u32_e32 vcc_lo, s11, v5
	s_delay_alu instid0(VALU_DEP_2) | instskip(SKIP_3) | instid1(VALU_DEP_3)
	v_cndmask_b32_e64 v0, v11, v0, s2
	v_cndmask_b32_e32 v5, v10, v8, vcc_lo
	v_add_co_u32 v8, vcc_lo, v3, 1
	v_add_co_ci_u32_e32 v10, vcc_lo, 0, v4, vcc_lo
	v_cmp_ne_u32_e32 vcc_lo, 0, v5
	s_delay_alu instid0(VALU_DEP_2) | instskip(NEXT) | instid1(VALU_DEP_4)
	v_cndmask_b32_e32 v1, v10, v7, vcc_lo
	v_cndmask_b32_e32 v5, v8, v6, vcc_lo
	v_cmp_ne_u32_e32 vcc_lo, 0, v0
	v_xor_b32_e32 v0, s8, v9
	s_delay_alu instid0(VALU_DEP_3) | instskip(SKIP_2) | instid1(VALU_DEP_3)
	v_cndmask_b32_e32 v3, v3, v5, vcc_lo
	v_cndmask_b32_e32 v1, v4, v1, vcc_lo
	v_xor_b32_e32 v4, s9, v9
	v_xor_b32_e32 v3, v3, v0
	s_delay_alu instid0(VALU_DEP_2) | instskip(NEXT) | instid1(VALU_DEP_2)
	v_xor_b32_e32 v1, v1, v4
	v_sub_co_u32 v0, vcc_lo, v3, v0
	s_delay_alu instid0(VALU_DEP_2)
	v_sub_co_ci_u32_e32 v1, vcc_lo, v1, v4, vcc_lo
.LBB27_2:
	s_and_not1_saveexec_b32 s2, s3
	s_cbranch_execz .LBB27_4
; %bb.3:
	v_cvt_f32_u32_e32 v0, s6
	s_sub_i32 s3, 0, s6
	s_delay_alu instid0(VALU_DEP_1) | instskip(SKIP_2) | instid1(VALU_DEP_1)
	v_rcp_iflag_f32_e32 v0, v0
	s_waitcnt_depctr 0xfff
	v_mul_f32_e32 v0, 0x4f7ffffe, v0
	v_cvt_u32_f32_e32 v0, v0
	s_delay_alu instid0(VALU_DEP_1) | instskip(NEXT) | instid1(VALU_DEP_1)
	v_mul_lo_u32 v1, s3, v0
	v_mul_hi_u32 v1, v0, v1
	s_delay_alu instid0(VALU_DEP_1) | instskip(NEXT) | instid1(VALU_DEP_1)
	v_add_nc_u32_e32 v0, v0, v1
	v_mul_hi_u32 v0, v2, v0
	s_delay_alu instid0(VALU_DEP_1) | instskip(SKIP_1) | instid1(VALU_DEP_2)
	v_mul_lo_u32 v1, v0, s6
	v_add_nc_u32_e32 v3, 1, v0
	v_sub_nc_u32_e32 v1, v2, v1
	s_delay_alu instid0(VALU_DEP_1) | instskip(SKIP_1) | instid1(VALU_DEP_2)
	v_subrev_nc_u32_e32 v4, s6, v1
	v_cmp_le_u32_e32 vcc_lo, s6, v1
	v_dual_cndmask_b32 v1, v1, v4 :: v_dual_cndmask_b32 v0, v0, v3
	s_delay_alu instid0(VALU_DEP_1) | instskip(NEXT) | instid1(VALU_DEP_2)
	v_cmp_le_u32_e32 vcc_lo, s6, v1
	v_add_nc_u32_e32 v3, 1, v0
	s_delay_alu instid0(VALU_DEP_1)
	v_dual_mov_b32 v1, 0 :: v_dual_cndmask_b32 v0, v0, v3
.LBB27_4:
	s_or_b32 exec_lo, exec_lo, s2
	s_load_b64 s[2:3], s[0:1], 0x18
	s_delay_alu instid0(VALU_DEP_1) | instskip(NEXT) | instid1(VALU_DEP_1)
	v_mad_u64_u32 v[3:4], null, v0, s6, 0
	v_sub_co_u32 v2, null, v2, v3
	s_waitcnt lgkmcnt(0)
	v_cmp_gt_i64_e32 vcc_lo, s[2:3], v[0:1]
	s_delay_alu instid0(VALU_DEP_2) | instskip(NEXT) | instid1(VALU_DEP_1)
	v_cmp_gt_i32_e64 s2, s5, v2
	s_and_b32 s2, vcc_lo, s2
	s_delay_alu instid0(SALU_CYCLE_1)
	s_and_saveexec_b32 s3, s2
	s_cbranch_execz .LBB27_390
; %bb.5:
	s_ashr_i32 s5, s4, 31
	s_load_b64 s[2:3], s[0:1], 0x0
	v_mul_lo_u32 v5, v1, s4
	v_mad_u64_u32 v[3:4], null, v0, s4, 0
	v_mul_lo_u32 v6, v0, s5
	s_delay_alu instid0(VALU_DEP_1) | instskip(SKIP_1) | instid1(VALU_DEP_2)
	v_add3_u32 v4, v4, v6, v5
	v_dual_mov_b32 v6, 0 :: v_dual_lshlrev_b32 v5, 5, v2
	v_lshlrev_b64 v[3:4], 1, v[3:4]
	s_delay_alu instid0(VALU_DEP_2) | instskip(SKIP_1) | instid1(VALU_DEP_2)
	v_lshlrev_b64 v[5:6], 1, v[5:6]
	s_waitcnt lgkmcnt(0)
	v_add_co_u32 v3, vcc_lo, s2, v3
	s_delay_alu instid0(VALU_DEP_3) | instskip(SKIP_1) | instid1(VALU_DEP_2)
	v_add_co_ci_u32_e32 v4, vcc_lo, s3, v4, vcc_lo
	s_mov_b32 s2, exec_lo
	v_add_co_u32 v7, vcc_lo, v3, v5
	s_delay_alu instid0(VALU_DEP_2)
	v_add_co_ci_u32_e32 v8, vcc_lo, v4, v6, vcc_lo
	s_clause 0x3
	global_load_b128 v[3:6], v[7:8], off
	global_load_b128 v[10:13], v[7:8], off offset:16
	global_load_b128 v[52:55], v[7:8], off offset:32
	;; [unrolled: 1-line block ×3, first 2 shown]
	s_waitcnt vmcnt(3)
	v_lshlrev_b32_e32 v17, 16, v3
	v_and_b32_e32 v7, 0xffff0000, v3
	v_lshlrev_b32_e32 v9, 16, v4
	v_and_b32_e32 v14, 0xffff0000, v4
	;; [unrolled: 2-line block ×3, first 2 shown]
	v_max3_f32 v3, |v17|, 0, |v7|
	v_lshlrev_b32_e32 v22, 16, v6
	v_and_b32_e32 v26, 0xffff0000, v6
	s_waitcnt vmcnt(2)
	v_lshlrev_b32_e32 v28, 16, v10
	v_and_b32_e32 v32, 0xffff0000, v10
	v_max3_f32 v3, v3, |v9|, |v14|
	v_lshlrev_b32_e32 v33, 16, v11
	v_and_b32_e32 v36, 0xffff0000, v11
	v_lshlrev_b32_e32 v39, 16, v12
	v_and_b32_e32 v41, 0xffff0000, v12
	v_max3_f32 v3, v3, |v16|, |v20|
	v_lshlrev_b32_e32 v45, 16, v13
	v_and_b32_e32 v47, 0xffff0000, v13
	s_waitcnt vmcnt(1)
	v_lshlrev_b32_e32 v51, 16, v52
	v_and_b32_e32 v52, 0xffff0000, v52
	v_max3_f32 v3, v3, |v22|, |v26|
	v_lshlrev_b32_e32 v48, 16, v53
	v_and_b32_e32 v46, 0xffff0000, v53
	v_lshlrev_b32_e32 v43, 16, v54
	v_and_b32_e32 v40, 0xffff0000, v54
	v_max3_f32 v3, v3, |v28|, |v32|
	;; [unrolled: 11-line block ×3, first 2 shown]
	v_lshlrev_b32_e32 v13, 16, v59
	v_and_b32_e32 v8, 0xffff0000, v59
	s_delay_alu instid0(VALU_DEP_3) | instskip(NEXT) | instid1(VALU_DEP_1)
	v_max3_f32 v3, v3, |v45|, |v47|
	v_max3_f32 v3, v3, |v51|, |v52|
	s_delay_alu instid0(VALU_DEP_1) | instskip(NEXT) | instid1(VALU_DEP_1)
	v_max3_f32 v3, v3, |v48|, |v46|
	v_max3_f32 v3, v3, |v43|, |v40|
	s_delay_alu instid0(VALU_DEP_1) | instskip(NEXT) | instid1(VALU_DEP_1)
	;; [unrolled: 3-line block ×4, first 2 shown]
	v_max3_f32 v3, v3, |v13|, |v8|
	v_mul_f32_e32 v3, 0x3e2aaaab, v3
	s_delay_alu instid0(VALU_DEP_1) | instskip(SKIP_1) | instid1(VALU_DEP_2)
	v_and_b32_e32 v4, 0x7fffff, v3
	v_bfe_u32 v3, v3, 23, 8
	v_cmp_ne_u32_e32 vcc_lo, 0, v4
	s_delay_alu instid0(VALU_DEP_2) | instskip(SKIP_1) | instid1(VALU_DEP_2)
	v_add_co_ci_u32_e32 v4, vcc_lo, 0, v3, vcc_lo
	v_cmp_ne_u32_e32 vcc_lo, 0xff, v3
	v_lshlrev_b32_e32 v4, 23, v4
	s_delay_alu instid0(VALU_DEP_1) | instskip(NEXT) | instid1(VALU_DEP_1)
	v_cndmask_b32_e32 v3, 0x7f800000, v4, vcc_lo
	v_div_scale_f32 v4, null, v3, v3, 1.0
	v_div_scale_f32 v10, vcc_lo, 1.0, v3, 1.0
	s_delay_alu instid0(VALU_DEP_2) | instskip(SKIP_2) | instid1(VALU_DEP_1)
	v_rcp_f32_e32 v5, v4
	s_waitcnt_depctr 0xfff
	v_fma_f32 v6, -v4, v5, 1.0
	v_fmac_f32_e32 v5, v6, v5
	s_delay_alu instid0(VALU_DEP_1) | instskip(NEXT) | instid1(VALU_DEP_1)
	v_mul_f32_e32 v6, v10, v5
	v_fma_f32 v11, -v4, v6, v10
	s_delay_alu instid0(VALU_DEP_1) | instskip(NEXT) | instid1(VALU_DEP_1)
	v_fmac_f32_e32 v6, v11, v5
	v_fma_f32 v4, -v4, v6, v10
	s_delay_alu instid0(VALU_DEP_1) | instskip(SKIP_3) | instid1(VALU_DEP_4)
	v_div_fmas_f32 v4, v4, v5, v6
	v_mov_b32_e32 v6, 7
	v_cmp_neq_f32_e32 vcc_lo, 0, v3
	v_mov_b32_e32 v5, 7
	v_div_fixup_f32 v4, v4, v3, 1.0
	s_delay_alu instid0(VALU_DEP_1) | instskip(NEXT) | instid1(VALU_DEP_1)
	v_cndmask_b32_e32 v12, 0, v4, vcc_lo
	v_mul_f32_e32 v4, v12, v17
	s_delay_alu instid0(VALU_DEP_1)
	v_cmpx_nle_f32_e64 0x40a00000, |v4|
	s_cbranch_execz .LBB27_17
; %bb.6:
	v_mov_b32_e32 v5, 6
	s_mov_b32 s3, exec_lo
	v_cmpx_nle_f32_e64 0x40600000, |v4|
	s_cbranch_execz .LBB27_16
; %bb.7:
	v_mov_b32_e32 v5, 5
	s_mov_b32 s5, exec_lo
	;; [unrolled: 5-line block ×5, first 2 shown]
	v_cmpx_nle_f32_e64 0x3f400000, |v4|
; %bb.11:
	v_cmp_le_f32_e64 s10, 0x3e800000, |v4|
	s_delay_alu instid0(VALU_DEP_1)
	v_cndmask_b32_e64 v5, 0, 1, s10
; %bb.12:
	s_or_b32 exec_lo, exec_lo, s9
.LBB27_13:
	s_delay_alu instid0(SALU_CYCLE_1)
	s_or_b32 exec_lo, exec_lo, s8
.LBB27_14:
	s_delay_alu instid0(SALU_CYCLE_1)
	s_or_b32 exec_lo, exec_lo, s7
.LBB27_15:
	s_delay_alu instid0(SALU_CYCLE_1)
	s_or_b32 exec_lo, exec_lo, s5
.LBB27_16:
	s_delay_alu instid0(SALU_CYCLE_1)
	s_or_b32 exec_lo, exec_lo, s3
.LBB27_17:
	s_delay_alu instid0(SALU_CYCLE_1) | instskip(SKIP_2) | instid1(VALU_DEP_1)
	s_or_b32 exec_lo, exec_lo, s2
	v_mul_f32_e32 v7, v12, v7
	s_mov_b32 s2, exec_lo
	v_cmpx_nle_f32_e64 0x40a00000, |v7|
	s_cbranch_execz .LBB27_29
; %bb.18:
	v_mov_b32_e32 v6, 6
	s_mov_b32 s3, exec_lo
	v_cmpx_nle_f32_e64 0x40600000, |v7|
	s_cbranch_execz .LBB27_28
; %bb.19:
	v_mov_b32_e32 v6, 5
	;; [unrolled: 5-line block ×5, first 2 shown]
	s_mov_b32 s9, exec_lo
	v_cmpx_nle_f32_e64 0x3f400000, |v7|
; %bb.23:
	v_cmp_le_f32_e64 s10, 0x3e800000, |v7|
	s_delay_alu instid0(VALU_DEP_1)
	v_cndmask_b32_e64 v6, 0, 1, s10
; %bb.24:
	s_or_b32 exec_lo, exec_lo, s9
.LBB27_25:
	s_delay_alu instid0(SALU_CYCLE_1)
	s_or_b32 exec_lo, exec_lo, s8
.LBB27_26:
	s_delay_alu instid0(SALU_CYCLE_1)
	s_or_b32 exec_lo, exec_lo, s7
.LBB27_27:
	s_delay_alu instid0(SALU_CYCLE_1)
	s_or_b32 exec_lo, exec_lo, s5
.LBB27_28:
	s_delay_alu instid0(SALU_CYCLE_1)
	s_or_b32 exec_lo, exec_lo, s3
.LBB27_29:
	s_delay_alu instid0(SALU_CYCLE_1) | instskip(SKIP_3) | instid1(VALU_DEP_2)
	s_or_b32 exec_lo, exec_lo, s2
	v_dual_mul_f32 v10, v12, v9 :: v_dual_mov_b32 v9, 7
	v_mov_b32_e32 v11, 7
	s_mov_b32 s2, exec_lo
	v_cmpx_nle_f32_e64 0x40a00000, |v10|
	s_cbranch_execz .LBB27_41
; %bb.30:
	v_mov_b32_e32 v11, 6
	s_mov_b32 s3, exec_lo
	v_cmpx_nle_f32_e64 0x40600000, |v10|
	s_cbranch_execz .LBB27_40
; %bb.31:
	;; [unrolled: 5-line block ×5, first 2 shown]
	v_mov_b32_e32 v11, 2
	s_mov_b32 s9, exec_lo
	v_cmpx_nle_f32_e64 0x3f400000, |v10|
; %bb.35:
	v_cmp_le_f32_e64 s10, 0x3e800000, |v10|
	s_delay_alu instid0(VALU_DEP_1)
	v_cndmask_b32_e64 v11, 0, 1, s10
; %bb.36:
	s_or_b32 exec_lo, exec_lo, s9
.LBB27_37:
	s_delay_alu instid0(SALU_CYCLE_1)
	s_or_b32 exec_lo, exec_lo, s8
.LBB27_38:
	s_delay_alu instid0(SALU_CYCLE_1)
	s_or_b32 exec_lo, exec_lo, s7
.LBB27_39:
	s_delay_alu instid0(SALU_CYCLE_1)
	s_or_b32 exec_lo, exec_lo, s5
.LBB27_40:
	s_delay_alu instid0(SALU_CYCLE_1)
	s_or_b32 exec_lo, exec_lo, s3
.LBB27_41:
	s_delay_alu instid0(SALU_CYCLE_1) | instskip(SKIP_2) | instid1(VALU_DEP_1)
	s_or_b32 exec_lo, exec_lo, s2
	v_mul_f32_e32 v14, v12, v14
	s_mov_b32 s2, exec_lo
	v_cmpx_nle_f32_e64 0x40a00000, |v14|
	s_cbranch_execz .LBB27_53
; %bb.42:
	v_mov_b32_e32 v9, 6
	s_mov_b32 s3, exec_lo
	v_cmpx_nle_f32_e64 0x40600000, |v14|
	s_cbranch_execz .LBB27_52
; %bb.43:
	v_mov_b32_e32 v9, 5
	;; [unrolled: 5-line block ×5, first 2 shown]
	s_mov_b32 s9, exec_lo
	v_cmpx_nle_f32_e64 0x3f400000, |v14|
; %bb.47:
	v_cmp_le_f32_e64 s10, 0x3e800000, |v14|
	s_delay_alu instid0(VALU_DEP_1)
	v_cndmask_b32_e64 v9, 0, 1, s10
; %bb.48:
	s_or_b32 exec_lo, exec_lo, s9
.LBB27_49:
	s_delay_alu instid0(SALU_CYCLE_1)
	s_or_b32 exec_lo, exec_lo, s8
.LBB27_50:
	s_delay_alu instid0(SALU_CYCLE_1)
	s_or_b32 exec_lo, exec_lo, s7
.LBB27_51:
	s_delay_alu instid0(SALU_CYCLE_1)
	s_or_b32 exec_lo, exec_lo, s5
.LBB27_52:
	s_delay_alu instid0(SALU_CYCLE_1)
	s_or_b32 exec_lo, exec_lo, s3
.LBB27_53:
	s_delay_alu instid0(SALU_CYCLE_1) | instskip(SKIP_3) | instid1(VALU_DEP_2)
	s_or_b32 exec_lo, exec_lo, s2
	v_dual_mul_f32 v18, v12, v16 :: v_dual_mov_b32 v17, 7
	v_mov_b32_e32 v16, 7
	s_mov_b32 s2, exec_lo
	v_cmpx_nle_f32_e64 0x40a00000, |v18|
	s_cbranch_execz .LBB27_65
; %bb.54:
	v_mov_b32_e32 v17, 6
	s_mov_b32 s3, exec_lo
	v_cmpx_nle_f32_e64 0x40600000, |v18|
	s_cbranch_execz .LBB27_64
; %bb.55:
	;; [unrolled: 5-line block ×5, first 2 shown]
	v_mov_b32_e32 v17, 2
	s_mov_b32 s9, exec_lo
	v_cmpx_nle_f32_e64 0x3f400000, |v18|
; %bb.59:
	v_cmp_le_f32_e64 s10, 0x3e800000, |v18|
	s_delay_alu instid0(VALU_DEP_1)
	v_cndmask_b32_e64 v17, 0, 1, s10
; %bb.60:
	s_or_b32 exec_lo, exec_lo, s9
.LBB27_61:
	s_delay_alu instid0(SALU_CYCLE_1)
	s_or_b32 exec_lo, exec_lo, s8
.LBB27_62:
	s_delay_alu instid0(SALU_CYCLE_1)
	s_or_b32 exec_lo, exec_lo, s7
.LBB27_63:
	s_delay_alu instid0(SALU_CYCLE_1)
	s_or_b32 exec_lo, exec_lo, s5
.LBB27_64:
	s_delay_alu instid0(SALU_CYCLE_1)
	s_or_b32 exec_lo, exec_lo, s3
.LBB27_65:
	s_delay_alu instid0(SALU_CYCLE_1) | instskip(SKIP_2) | instid1(VALU_DEP_1)
	s_or_b32 exec_lo, exec_lo, s2
	v_mul_f32_e32 v20, v12, v20
	s_mov_b32 s2, exec_lo
	v_cmpx_nle_f32_e64 0x40a00000, |v20|
	s_cbranch_execz .LBB27_77
; %bb.66:
	v_mov_b32_e32 v16, 6
	s_mov_b32 s3, exec_lo
	v_cmpx_nle_f32_e64 0x40600000, |v20|
	s_cbranch_execz .LBB27_76
; %bb.67:
	v_mov_b32_e32 v16, 5
	;; [unrolled: 5-line block ×5, first 2 shown]
	s_mov_b32 s9, exec_lo
	v_cmpx_nle_f32_e64 0x3f400000, |v20|
; %bb.71:
	v_cmp_le_f32_e64 s10, 0x3e800000, |v20|
	s_delay_alu instid0(VALU_DEP_1)
	v_cndmask_b32_e64 v16, 0, 1, s10
; %bb.72:
	s_or_b32 exec_lo, exec_lo, s9
.LBB27_73:
	s_delay_alu instid0(SALU_CYCLE_1)
	s_or_b32 exec_lo, exec_lo, s8
.LBB27_74:
	s_delay_alu instid0(SALU_CYCLE_1)
	s_or_b32 exec_lo, exec_lo, s7
.LBB27_75:
	s_delay_alu instid0(SALU_CYCLE_1)
	s_or_b32 exec_lo, exec_lo, s5
.LBB27_76:
	s_delay_alu instid0(SALU_CYCLE_1)
	s_or_b32 exec_lo, exec_lo, s3
.LBB27_77:
	s_delay_alu instid0(SALU_CYCLE_1) | instskip(SKIP_3) | instid1(VALU_DEP_2)
	s_or_b32 exec_lo, exec_lo, s2
	v_dual_mul_f32 v24, v12, v22 :: v_dual_mov_b32 v23, 7
	v_mov_b32_e32 v22, 7
	s_mov_b32 s2, exec_lo
	v_cmpx_nle_f32_e64 0x40a00000, |v24|
	s_cbranch_execz .LBB27_89
; %bb.78:
	v_mov_b32_e32 v23, 6
	s_mov_b32 s3, exec_lo
	v_cmpx_nle_f32_e64 0x40600000, |v24|
	s_cbranch_execz .LBB27_88
; %bb.79:
	;; [unrolled: 5-line block ×5, first 2 shown]
	v_mov_b32_e32 v23, 2
	s_mov_b32 s9, exec_lo
	v_cmpx_nle_f32_e64 0x3f400000, |v24|
; %bb.83:
	v_cmp_le_f32_e64 s10, 0x3e800000, |v24|
	s_delay_alu instid0(VALU_DEP_1)
	v_cndmask_b32_e64 v23, 0, 1, s10
; %bb.84:
	s_or_b32 exec_lo, exec_lo, s9
.LBB27_85:
	s_delay_alu instid0(SALU_CYCLE_1)
	s_or_b32 exec_lo, exec_lo, s8
.LBB27_86:
	s_delay_alu instid0(SALU_CYCLE_1)
	s_or_b32 exec_lo, exec_lo, s7
.LBB27_87:
	s_delay_alu instid0(SALU_CYCLE_1)
	s_or_b32 exec_lo, exec_lo, s5
.LBB27_88:
	s_delay_alu instid0(SALU_CYCLE_1)
	s_or_b32 exec_lo, exec_lo, s3
.LBB27_89:
	s_delay_alu instid0(SALU_CYCLE_1) | instskip(SKIP_2) | instid1(VALU_DEP_1)
	s_or_b32 exec_lo, exec_lo, s2
	v_mul_f32_e32 v26, v12, v26
	s_mov_b32 s2, exec_lo
	v_cmpx_nle_f32_e64 0x40a00000, |v26|
	s_cbranch_execz .LBB27_101
; %bb.90:
	v_mov_b32_e32 v22, 6
	s_mov_b32 s3, exec_lo
	v_cmpx_nle_f32_e64 0x40600000, |v26|
	s_cbranch_execz .LBB27_100
; %bb.91:
	v_mov_b32_e32 v22, 5
	;; [unrolled: 5-line block ×5, first 2 shown]
	s_mov_b32 s9, exec_lo
	v_cmpx_nle_f32_e64 0x3f400000, |v26|
; %bb.95:
	v_cmp_le_f32_e64 s10, 0x3e800000, |v26|
	s_delay_alu instid0(VALU_DEP_1)
	v_cndmask_b32_e64 v22, 0, 1, s10
; %bb.96:
	s_or_b32 exec_lo, exec_lo, s9
.LBB27_97:
	s_delay_alu instid0(SALU_CYCLE_1)
	s_or_b32 exec_lo, exec_lo, s8
.LBB27_98:
	s_delay_alu instid0(SALU_CYCLE_1)
	s_or_b32 exec_lo, exec_lo, s7
.LBB27_99:
	s_delay_alu instid0(SALU_CYCLE_1)
	s_or_b32 exec_lo, exec_lo, s5
.LBB27_100:
	s_delay_alu instid0(SALU_CYCLE_1)
	s_or_b32 exec_lo, exec_lo, s3
.LBB27_101:
	s_delay_alu instid0(SALU_CYCLE_1) | instskip(SKIP_3) | instid1(VALU_DEP_2)
	s_or_b32 exec_lo, exec_lo, s2
	v_dual_mul_f32 v29, v12, v28 :: v_dual_mov_b32 v28, 7
	v_mov_b32_e32 v30, 7
	s_mov_b32 s2, exec_lo
	v_cmpx_nle_f32_e64 0x40a00000, |v29|
	s_cbranch_execz .LBB27_113
; %bb.102:
	v_mov_b32_e32 v30, 6
	s_mov_b32 s3, exec_lo
	v_cmpx_nle_f32_e64 0x40600000, |v29|
	s_cbranch_execz .LBB27_112
; %bb.103:
	v_mov_b32_e32 v30, 5
	s_mov_b32 s5, exec_lo
	v_cmpx_nle_f32_e64 0x40200000, |v29|
	s_cbranch_execz .LBB27_111
; %bb.104:
	v_mov_b32_e32 v30, 4
	s_mov_b32 s7, exec_lo
	v_cmpx_nle_f32_e64 0x3fe00000, |v29|
	s_cbranch_execz .LBB27_110
; %bb.105:
	v_mov_b32_e32 v30, 3
	s_mov_b32 s8, exec_lo
	v_cmpx_nle_f32_e64 0x3fa00000, |v29|
	s_cbranch_execz .LBB27_109
; %bb.106:
	v_mov_b32_e32 v30, 2
	s_mov_b32 s9, exec_lo
	v_cmpx_nle_f32_e64 0x3f400000, |v29|
; %bb.107:
	v_cmp_le_f32_e64 s10, 0x3e800000, |v29|
	s_delay_alu instid0(VALU_DEP_1)
	v_cndmask_b32_e64 v30, 0, 1, s10
; %bb.108:
	s_or_b32 exec_lo, exec_lo, s9
.LBB27_109:
	s_delay_alu instid0(SALU_CYCLE_1)
	s_or_b32 exec_lo, exec_lo, s8
.LBB27_110:
	s_delay_alu instid0(SALU_CYCLE_1)
	s_or_b32 exec_lo, exec_lo, s7
.LBB27_111:
	s_delay_alu instid0(SALU_CYCLE_1)
	s_or_b32 exec_lo, exec_lo, s5
.LBB27_112:
	s_delay_alu instid0(SALU_CYCLE_1)
	s_or_b32 exec_lo, exec_lo, s3
.LBB27_113:
	s_delay_alu instid0(SALU_CYCLE_1) | instskip(SKIP_2) | instid1(VALU_DEP_1)
	s_or_b32 exec_lo, exec_lo, s2
	v_mul_f32_e32 v32, v12, v32
	s_mov_b32 s2, exec_lo
	v_cmpx_nle_f32_e64 0x40a00000, |v32|
	s_cbranch_execz .LBB27_125
; %bb.114:
	v_mov_b32_e32 v28, 6
	s_mov_b32 s3, exec_lo
	v_cmpx_nle_f32_e64 0x40600000, |v32|
	s_cbranch_execz .LBB27_124
; %bb.115:
	v_mov_b32_e32 v28, 5
	;; [unrolled: 5-line block ×5, first 2 shown]
	s_mov_b32 s9, exec_lo
	v_cmpx_nle_f32_e64 0x3f400000, |v32|
; %bb.119:
	v_cmp_le_f32_e64 s10, 0x3e800000, |v32|
	s_delay_alu instid0(VALU_DEP_1)
	v_cndmask_b32_e64 v28, 0, 1, s10
; %bb.120:
	s_or_b32 exec_lo, exec_lo, s9
.LBB27_121:
	s_delay_alu instid0(SALU_CYCLE_1)
	s_or_b32 exec_lo, exec_lo, s8
.LBB27_122:
	s_delay_alu instid0(SALU_CYCLE_1)
	s_or_b32 exec_lo, exec_lo, s7
.LBB27_123:
	s_delay_alu instid0(SALU_CYCLE_1)
	s_or_b32 exec_lo, exec_lo, s5
.LBB27_124:
	s_delay_alu instid0(SALU_CYCLE_1)
	s_or_b32 exec_lo, exec_lo, s3
.LBB27_125:
	s_delay_alu instid0(SALU_CYCLE_1) | instskip(SKIP_4) | instid1(VALU_DEP_3)
	s_or_b32 exec_lo, exec_lo, s2
	v_mul_f32_e32 v35, v12, v33
	v_mov_b32_e32 v33, 7
	v_mov_b32_e32 v37, 7
	s_mov_b32 s2, exec_lo
	v_cmpx_nle_f32_e64 0x40a00000, |v35|
	s_cbranch_execz .LBB27_137
; %bb.126:
	v_mov_b32_e32 v37, 6
	s_mov_b32 s3, exec_lo
	v_cmpx_nle_f32_e64 0x40600000, |v35|
	s_cbranch_execz .LBB27_136
; %bb.127:
	;; [unrolled: 5-line block ×5, first 2 shown]
	v_mov_b32_e32 v37, 2
	s_mov_b32 s9, exec_lo
	v_cmpx_nle_f32_e64 0x3f400000, |v35|
; %bb.131:
	v_cmp_le_f32_e64 s10, 0x3e800000, |v35|
	s_delay_alu instid0(VALU_DEP_1)
	v_cndmask_b32_e64 v37, 0, 1, s10
; %bb.132:
	s_or_b32 exec_lo, exec_lo, s9
.LBB27_133:
	s_delay_alu instid0(SALU_CYCLE_1)
	s_or_b32 exec_lo, exec_lo, s8
.LBB27_134:
	s_delay_alu instid0(SALU_CYCLE_1)
	s_or_b32 exec_lo, exec_lo, s7
.LBB27_135:
	s_delay_alu instid0(SALU_CYCLE_1)
	s_or_b32 exec_lo, exec_lo, s5
.LBB27_136:
	s_delay_alu instid0(SALU_CYCLE_1)
	s_or_b32 exec_lo, exec_lo, s3
.LBB27_137:
	s_delay_alu instid0(SALU_CYCLE_1) | instskip(SKIP_2) | instid1(VALU_DEP_1)
	s_or_b32 exec_lo, exec_lo, s2
	v_mul_f32_e32 v36, v12, v36
	s_mov_b32 s2, exec_lo
	v_cmpx_nle_f32_e64 0x40a00000, |v36|
	s_cbranch_execz .LBB27_149
; %bb.138:
	v_mov_b32_e32 v33, 6
	s_mov_b32 s3, exec_lo
	v_cmpx_nle_f32_e64 0x40600000, |v36|
	s_cbranch_execz .LBB27_148
; %bb.139:
	v_mov_b32_e32 v33, 5
	;; [unrolled: 5-line block ×5, first 2 shown]
	s_mov_b32 s9, exec_lo
	v_cmpx_nle_f32_e64 0x3f400000, |v36|
; %bb.143:
	v_cmp_le_f32_e64 s10, 0x3e800000, |v36|
	s_delay_alu instid0(VALU_DEP_1)
	v_cndmask_b32_e64 v33, 0, 1, s10
; %bb.144:
	s_or_b32 exec_lo, exec_lo, s9
.LBB27_145:
	s_delay_alu instid0(SALU_CYCLE_1)
	s_or_b32 exec_lo, exec_lo, s8
.LBB27_146:
	s_delay_alu instid0(SALU_CYCLE_1)
	s_or_b32 exec_lo, exec_lo, s7
.LBB27_147:
	s_delay_alu instid0(SALU_CYCLE_1)
	s_or_b32 exec_lo, exec_lo, s5
.LBB27_148:
	s_delay_alu instid0(SALU_CYCLE_1)
	s_or_b32 exec_lo, exec_lo, s3
.LBB27_149:
	s_delay_alu instid0(SALU_CYCLE_1) | instskip(SKIP_3) | instid1(VALU_DEP_2)
	s_or_b32 exec_lo, exec_lo, s2
	v_dual_mul_f32 v44, v12, v39 :: v_dual_mov_b32 v39, 7
	v_mov_b32_e32 v42, 7
	s_mov_b32 s2, exec_lo
	v_cmpx_nle_f32_e64 0x40a00000, |v44|
	s_cbranch_execz .LBB27_161
; %bb.150:
	v_mov_b32_e32 v42, 6
	s_mov_b32 s3, exec_lo
	v_cmpx_nle_f32_e64 0x40600000, |v44|
	s_cbranch_execz .LBB27_160
; %bb.151:
	;; [unrolled: 5-line block ×5, first 2 shown]
	v_mov_b32_e32 v42, 2
	s_mov_b32 s9, exec_lo
	v_cmpx_nle_f32_e64 0x3f400000, |v44|
; %bb.155:
	v_cmp_le_f32_e64 s10, 0x3e800000, |v44|
	s_delay_alu instid0(VALU_DEP_1)
	v_cndmask_b32_e64 v42, 0, 1, s10
; %bb.156:
	s_or_b32 exec_lo, exec_lo, s9
.LBB27_157:
	s_delay_alu instid0(SALU_CYCLE_1)
	s_or_b32 exec_lo, exec_lo, s8
.LBB27_158:
	s_delay_alu instid0(SALU_CYCLE_1)
	s_or_b32 exec_lo, exec_lo, s7
.LBB27_159:
	s_delay_alu instid0(SALU_CYCLE_1)
	s_or_b32 exec_lo, exec_lo, s5
.LBB27_160:
	s_delay_alu instid0(SALU_CYCLE_1)
	s_or_b32 exec_lo, exec_lo, s3
.LBB27_161:
	s_delay_alu instid0(SALU_CYCLE_1) | instskip(SKIP_2) | instid1(VALU_DEP_1)
	s_or_b32 exec_lo, exec_lo, s2
	v_mul_f32_e32 v41, v12, v41
	s_mov_b32 s2, exec_lo
	v_cmpx_nle_f32_e64 0x40a00000, |v41|
	s_cbranch_execz .LBB27_173
; %bb.162:
	v_mov_b32_e32 v39, 6
	s_mov_b32 s3, exec_lo
	v_cmpx_nle_f32_e64 0x40600000, |v41|
	s_cbranch_execz .LBB27_172
; %bb.163:
	v_mov_b32_e32 v39, 5
	;; [unrolled: 5-line block ×5, first 2 shown]
	s_mov_b32 s9, exec_lo
	v_cmpx_nle_f32_e64 0x3f400000, |v41|
; %bb.167:
	v_cmp_le_f32_e64 s10, 0x3e800000, |v41|
	s_delay_alu instid0(VALU_DEP_1)
	v_cndmask_b32_e64 v39, 0, 1, s10
; %bb.168:
	s_or_b32 exec_lo, exec_lo, s9
.LBB27_169:
	s_delay_alu instid0(SALU_CYCLE_1)
	s_or_b32 exec_lo, exec_lo, s8
.LBB27_170:
	s_delay_alu instid0(SALU_CYCLE_1)
	s_or_b32 exec_lo, exec_lo, s7
.LBB27_171:
	s_delay_alu instid0(SALU_CYCLE_1)
	s_or_b32 exec_lo, exec_lo, s5
.LBB27_172:
	s_delay_alu instid0(SALU_CYCLE_1)
	s_or_b32 exec_lo, exec_lo, s3
.LBB27_173:
	s_delay_alu instid0(SALU_CYCLE_1) | instskip(SKIP_3) | instid1(VALU_DEP_2)
	s_or_b32 exec_lo, exec_lo, s2
	v_dual_mul_f32 v50, v12, v45 :: v_dual_mov_b32 v45, 7
	v_mov_b32_e32 v49, 7
	s_mov_b32 s2, exec_lo
	v_cmpx_nle_f32_e64 0x40a00000, |v50|
	s_cbranch_execz .LBB27_185
; %bb.174:
	v_mov_b32_e32 v49, 6
	s_mov_b32 s3, exec_lo
	v_cmpx_nle_f32_e64 0x40600000, |v50|
	s_cbranch_execz .LBB27_184
; %bb.175:
	;; [unrolled: 5-line block ×5, first 2 shown]
	v_mov_b32_e32 v49, 2
	s_mov_b32 s9, exec_lo
	v_cmpx_nle_f32_e64 0x3f400000, |v50|
; %bb.179:
	v_cmp_le_f32_e64 s10, 0x3e800000, |v50|
	s_delay_alu instid0(VALU_DEP_1)
	v_cndmask_b32_e64 v49, 0, 1, s10
; %bb.180:
	s_or_b32 exec_lo, exec_lo, s9
.LBB27_181:
	s_delay_alu instid0(SALU_CYCLE_1)
	s_or_b32 exec_lo, exec_lo, s8
.LBB27_182:
	s_delay_alu instid0(SALU_CYCLE_1)
	s_or_b32 exec_lo, exec_lo, s7
.LBB27_183:
	s_delay_alu instid0(SALU_CYCLE_1)
	s_or_b32 exec_lo, exec_lo, s5
.LBB27_184:
	s_delay_alu instid0(SALU_CYCLE_1)
	s_or_b32 exec_lo, exec_lo, s3
.LBB27_185:
	s_delay_alu instid0(SALU_CYCLE_1) | instskip(SKIP_2) | instid1(VALU_DEP_1)
	s_or_b32 exec_lo, exec_lo, s2
	v_mul_f32_e32 v47, v12, v47
	s_mov_b32 s2, exec_lo
	v_cmpx_nle_f32_e64 0x40a00000, |v47|
	s_cbranch_execz .LBB27_197
; %bb.186:
	v_mov_b32_e32 v45, 6
	s_mov_b32 s3, exec_lo
	v_cmpx_nle_f32_e64 0x40600000, |v47|
	s_cbranch_execz .LBB27_196
; %bb.187:
	v_mov_b32_e32 v45, 5
	;; [unrolled: 5-line block ×5, first 2 shown]
	s_mov_b32 s9, exec_lo
	v_cmpx_nle_f32_e64 0x3f400000, |v47|
; %bb.191:
	v_cmp_le_f32_e64 s10, 0x3e800000, |v47|
	s_delay_alu instid0(VALU_DEP_1)
	v_cndmask_b32_e64 v45, 0, 1, s10
; %bb.192:
	s_or_b32 exec_lo, exec_lo, s9
.LBB27_193:
	s_delay_alu instid0(SALU_CYCLE_1)
	s_or_b32 exec_lo, exec_lo, s8
.LBB27_194:
	s_delay_alu instid0(SALU_CYCLE_1)
	s_or_b32 exec_lo, exec_lo, s7
.LBB27_195:
	s_delay_alu instid0(SALU_CYCLE_1)
	s_or_b32 exec_lo, exec_lo, s5
.LBB27_196:
	s_delay_alu instid0(SALU_CYCLE_1)
	s_or_b32 exec_lo, exec_lo, s3
.LBB27_197:
	s_delay_alu instid0(SALU_CYCLE_1) | instskip(SKIP_3) | instid1(VALU_DEP_2)
	s_or_b32 exec_lo, exec_lo, s2
	v_dual_mul_f32 v54, v12, v51 :: v_dual_mov_b32 v51, 7
	v_mov_b32_e32 v53, 7
	s_mov_b32 s2, exec_lo
	v_cmpx_nle_f32_e64 0x40a00000, |v54|
	s_cbranch_execz .LBB27_209
; %bb.198:
	v_mov_b32_e32 v53, 6
	s_mov_b32 s3, exec_lo
	v_cmpx_nle_f32_e64 0x40600000, |v54|
	s_cbranch_execz .LBB27_208
; %bb.199:
	;; [unrolled: 5-line block ×5, first 2 shown]
	v_mov_b32_e32 v53, 2
	s_mov_b32 s9, exec_lo
	v_cmpx_nle_f32_e64 0x3f400000, |v54|
; %bb.203:
	v_cmp_le_f32_e64 s10, 0x3e800000, |v54|
	s_delay_alu instid0(VALU_DEP_1)
	v_cndmask_b32_e64 v53, 0, 1, s10
; %bb.204:
	s_or_b32 exec_lo, exec_lo, s9
.LBB27_205:
	s_delay_alu instid0(SALU_CYCLE_1)
	s_or_b32 exec_lo, exec_lo, s8
.LBB27_206:
	s_delay_alu instid0(SALU_CYCLE_1)
	s_or_b32 exec_lo, exec_lo, s7
.LBB27_207:
	s_delay_alu instid0(SALU_CYCLE_1)
	s_or_b32 exec_lo, exec_lo, s5
.LBB27_208:
	s_delay_alu instid0(SALU_CYCLE_1)
	s_or_b32 exec_lo, exec_lo, s3
.LBB27_209:
	s_delay_alu instid0(SALU_CYCLE_1) | instskip(SKIP_2) | instid1(VALU_DEP_1)
	s_or_b32 exec_lo, exec_lo, s2
	v_mul_f32_e32 v52, v12, v52
	s_mov_b32 s2, exec_lo
	v_cmpx_nle_f32_e64 0x40a00000, |v52|
	s_cbranch_execz .LBB27_221
; %bb.210:
	v_mov_b32_e32 v51, 6
	s_mov_b32 s3, exec_lo
	v_cmpx_nle_f32_e64 0x40600000, |v52|
	s_cbranch_execz .LBB27_220
; %bb.211:
	v_mov_b32_e32 v51, 5
	;; [unrolled: 5-line block ×5, first 2 shown]
	s_mov_b32 s9, exec_lo
	v_cmpx_nle_f32_e64 0x3f400000, |v52|
; %bb.215:
	v_cmp_le_f32_e64 s10, 0x3e800000, |v52|
	s_delay_alu instid0(VALU_DEP_1)
	v_cndmask_b32_e64 v51, 0, 1, s10
; %bb.216:
	s_or_b32 exec_lo, exec_lo, s9
.LBB27_217:
	s_delay_alu instid0(SALU_CYCLE_1)
	s_or_b32 exec_lo, exec_lo, s8
.LBB27_218:
	s_delay_alu instid0(SALU_CYCLE_1)
	s_or_b32 exec_lo, exec_lo, s7
.LBB27_219:
	s_delay_alu instid0(SALU_CYCLE_1)
	s_or_b32 exec_lo, exec_lo, s5
.LBB27_220:
	s_delay_alu instid0(SALU_CYCLE_1)
	s_or_b32 exec_lo, exec_lo, s3
.LBB27_221:
	s_delay_alu instid0(SALU_CYCLE_1) | instskip(SKIP_3) | instid1(VALU_DEP_2)
	s_or_b32 exec_lo, exec_lo, s2
	v_dual_mul_f32 v55, v12, v48 :: v_dual_mov_b32 v48, 7
	v_mov_b32_e32 v56, 7
	s_mov_b32 s2, exec_lo
	v_cmpx_nle_f32_e64 0x40a00000, |v55|
	s_cbranch_execz .LBB27_233
; %bb.222:
	v_mov_b32_e32 v56, 6
	s_mov_b32 s3, exec_lo
	v_cmpx_nle_f32_e64 0x40600000, |v55|
	s_cbranch_execz .LBB27_232
; %bb.223:
	;; [unrolled: 5-line block ×5, first 2 shown]
	v_mov_b32_e32 v56, 2
	s_mov_b32 s9, exec_lo
	v_cmpx_nle_f32_e64 0x3f400000, |v55|
; %bb.227:
	v_cmp_le_f32_e64 s10, 0x3e800000, |v55|
	s_delay_alu instid0(VALU_DEP_1)
	v_cndmask_b32_e64 v56, 0, 1, s10
; %bb.228:
	s_or_b32 exec_lo, exec_lo, s9
.LBB27_229:
	s_delay_alu instid0(SALU_CYCLE_1)
	s_or_b32 exec_lo, exec_lo, s8
.LBB27_230:
	s_delay_alu instid0(SALU_CYCLE_1)
	s_or_b32 exec_lo, exec_lo, s7
.LBB27_231:
	s_delay_alu instid0(SALU_CYCLE_1)
	s_or_b32 exec_lo, exec_lo, s5
.LBB27_232:
	s_delay_alu instid0(SALU_CYCLE_1)
	s_or_b32 exec_lo, exec_lo, s3
.LBB27_233:
	s_delay_alu instid0(SALU_CYCLE_1) | instskip(SKIP_2) | instid1(VALU_DEP_1)
	s_or_b32 exec_lo, exec_lo, s2
	v_mul_f32_e32 v46, v12, v46
	s_mov_b32 s2, exec_lo
	v_cmpx_nle_f32_e64 0x40a00000, |v46|
	s_cbranch_execz .LBB27_245
; %bb.234:
	v_mov_b32_e32 v48, 6
	s_mov_b32 s3, exec_lo
	v_cmpx_nle_f32_e64 0x40600000, |v46|
	s_cbranch_execz .LBB27_244
; %bb.235:
	v_mov_b32_e32 v48, 5
	;; [unrolled: 5-line block ×5, first 2 shown]
	s_mov_b32 s9, exec_lo
	v_cmpx_nle_f32_e64 0x3f400000, |v46|
; %bb.239:
	v_cmp_le_f32_e64 s10, 0x3e800000, |v46|
	s_delay_alu instid0(VALU_DEP_1)
	v_cndmask_b32_e64 v48, 0, 1, s10
; %bb.240:
	s_or_b32 exec_lo, exec_lo, s9
.LBB27_241:
	s_delay_alu instid0(SALU_CYCLE_1)
	s_or_b32 exec_lo, exec_lo, s8
.LBB27_242:
	s_delay_alu instid0(SALU_CYCLE_1)
	s_or_b32 exec_lo, exec_lo, s7
.LBB27_243:
	s_delay_alu instid0(SALU_CYCLE_1)
	s_or_b32 exec_lo, exec_lo, s5
.LBB27_244:
	s_delay_alu instid0(SALU_CYCLE_1)
	s_or_b32 exec_lo, exec_lo, s3
.LBB27_245:
	s_delay_alu instid0(SALU_CYCLE_1) | instskip(SKIP_3) | instid1(VALU_DEP_2)
	s_or_b32 exec_lo, exec_lo, s2
	v_dual_mul_f32 v57, v12, v43 :: v_dual_mov_b32 v58, 7
	v_mov_b32_e32 v43, 7
	s_mov_b32 s2, exec_lo
	v_cmpx_nle_f32_e64 0x40a00000, |v57|
	s_cbranch_execz .LBB27_257
; %bb.246:
	v_mov_b32_e32 v58, 6
	s_mov_b32 s3, exec_lo
	v_cmpx_nle_f32_e64 0x40600000, |v57|
	s_cbranch_execz .LBB27_256
; %bb.247:
	;; [unrolled: 5-line block ×5, first 2 shown]
	v_mov_b32_e32 v58, 2
	s_mov_b32 s9, exec_lo
	v_cmpx_nle_f32_e64 0x3f400000, |v57|
; %bb.251:
	v_cmp_le_f32_e64 s10, 0x3e800000, |v57|
	s_delay_alu instid0(VALU_DEP_1)
	v_cndmask_b32_e64 v58, 0, 1, s10
; %bb.252:
	s_or_b32 exec_lo, exec_lo, s9
.LBB27_253:
	s_delay_alu instid0(SALU_CYCLE_1)
	s_or_b32 exec_lo, exec_lo, s8
.LBB27_254:
	s_delay_alu instid0(SALU_CYCLE_1)
	s_or_b32 exec_lo, exec_lo, s7
.LBB27_255:
	s_delay_alu instid0(SALU_CYCLE_1)
	s_or_b32 exec_lo, exec_lo, s5
.LBB27_256:
	s_delay_alu instid0(SALU_CYCLE_1)
	s_or_b32 exec_lo, exec_lo, s3
.LBB27_257:
	s_delay_alu instid0(SALU_CYCLE_1) | instskip(SKIP_2) | instid1(VALU_DEP_1)
	s_or_b32 exec_lo, exec_lo, s2
	v_mul_f32_e32 v40, v12, v40
	s_mov_b32 s2, exec_lo
	v_cmpx_nle_f32_e64 0x40a00000, |v40|
	s_cbranch_execz .LBB27_269
; %bb.258:
	v_mov_b32_e32 v43, 6
	s_mov_b32 s3, exec_lo
	v_cmpx_nle_f32_e64 0x40600000, |v40|
	s_cbranch_execz .LBB27_268
; %bb.259:
	v_mov_b32_e32 v43, 5
	s_mov_b32 s5, exec_lo
	v_cmpx_nle_f32_e64 0x40200000, |v40|
	s_cbranch_execz .LBB27_267
; %bb.260:
	v_mov_b32_e32 v43, 4
	s_mov_b32 s7, exec_lo
	v_cmpx_nle_f32_e64 0x3fe00000, |v40|
	s_cbranch_execz .LBB27_266
; %bb.261:
	v_mov_b32_e32 v43, 3
	s_mov_b32 s8, exec_lo
	v_cmpx_nle_f32_e64 0x3fa00000, |v40|
	s_cbranch_execz .LBB27_265
; %bb.262:
	v_mov_b32_e32 v43, 2
	s_mov_b32 s9, exec_lo
	v_cmpx_nle_f32_e64 0x3f400000, |v40|
; %bb.263:
	v_cmp_le_f32_e64 s10, 0x3e800000, |v40|
	s_delay_alu instid0(VALU_DEP_1)
	v_cndmask_b32_e64 v43, 0, 1, s10
; %bb.264:
	s_or_b32 exec_lo, exec_lo, s9
.LBB27_265:
	s_delay_alu instid0(SALU_CYCLE_1)
	s_or_b32 exec_lo, exec_lo, s8
.LBB27_266:
	s_delay_alu instid0(SALU_CYCLE_1)
	s_or_b32 exec_lo, exec_lo, s7
.LBB27_267:
	s_delay_alu instid0(SALU_CYCLE_1)
	s_or_b32 exec_lo, exec_lo, s5
.LBB27_268:
	s_delay_alu instid0(SALU_CYCLE_1)
	s_or_b32 exec_lo, exec_lo, s3
.LBB27_269:
	s_delay_alu instid0(SALU_CYCLE_1) | instskip(SKIP_3) | instid1(VALU_DEP_2)
	s_or_b32 exec_lo, exec_lo, s2
	v_dual_mul_f32 v60, v12, v38 :: v_dual_mov_b32 v59, 7
	v_mov_b32_e32 v38, 7
	s_mov_b32 s2, exec_lo
	v_cmpx_nle_f32_e64 0x40a00000, |v60|
	s_cbranch_execz .LBB27_281
; %bb.270:
	v_mov_b32_e32 v59, 6
	s_mov_b32 s3, exec_lo
	v_cmpx_nle_f32_e64 0x40600000, |v60|
	s_cbranch_execz .LBB27_280
; %bb.271:
	;; [unrolled: 5-line block ×5, first 2 shown]
	v_mov_b32_e32 v59, 2
	s_mov_b32 s9, exec_lo
	v_cmpx_nle_f32_e64 0x3f400000, |v60|
; %bb.275:
	v_cmp_le_f32_e64 s10, 0x3e800000, |v60|
	s_delay_alu instid0(VALU_DEP_1)
	v_cndmask_b32_e64 v59, 0, 1, s10
; %bb.276:
	s_or_b32 exec_lo, exec_lo, s9
.LBB27_277:
	s_delay_alu instid0(SALU_CYCLE_1)
	s_or_b32 exec_lo, exec_lo, s8
.LBB27_278:
	s_delay_alu instid0(SALU_CYCLE_1)
	s_or_b32 exec_lo, exec_lo, s7
.LBB27_279:
	s_delay_alu instid0(SALU_CYCLE_1)
	s_or_b32 exec_lo, exec_lo, s5
.LBB27_280:
	s_delay_alu instid0(SALU_CYCLE_1)
	s_or_b32 exec_lo, exec_lo, s3
.LBB27_281:
	s_delay_alu instid0(SALU_CYCLE_1) | instskip(SKIP_2) | instid1(VALU_DEP_1)
	s_or_b32 exec_lo, exec_lo, s2
	v_mul_f32_e32 v34, v12, v34
	s_mov_b32 s2, exec_lo
	v_cmpx_nle_f32_e64 0x40a00000, |v34|
	s_cbranch_execz .LBB27_293
; %bb.282:
	v_mov_b32_e32 v38, 6
	s_mov_b32 s3, exec_lo
	v_cmpx_nle_f32_e64 0x40600000, |v34|
	s_cbranch_execz .LBB27_292
; %bb.283:
	v_mov_b32_e32 v38, 5
	;; [unrolled: 5-line block ×5, first 2 shown]
	s_mov_b32 s9, exec_lo
	v_cmpx_nle_f32_e64 0x3f400000, |v34|
; %bb.287:
	v_cmp_le_f32_e64 s10, 0x3e800000, |v34|
	s_delay_alu instid0(VALU_DEP_1)
	v_cndmask_b32_e64 v38, 0, 1, s10
; %bb.288:
	s_or_b32 exec_lo, exec_lo, s9
.LBB27_289:
	s_delay_alu instid0(SALU_CYCLE_1)
	s_or_b32 exec_lo, exec_lo, s8
.LBB27_290:
	s_delay_alu instid0(SALU_CYCLE_1)
	s_or_b32 exec_lo, exec_lo, s7
.LBB27_291:
	s_delay_alu instid0(SALU_CYCLE_1)
	s_or_b32 exec_lo, exec_lo, s5
.LBB27_292:
	s_delay_alu instid0(SALU_CYCLE_1)
	s_or_b32 exec_lo, exec_lo, s3
.LBB27_293:
	s_delay_alu instid0(SALU_CYCLE_1) | instskip(SKIP_3) | instid1(VALU_DEP_2)
	s_or_b32 exec_lo, exec_lo, s2
	v_dual_mul_f32 v62, v12, v31 :: v_dual_mov_b32 v31, 7
	v_mov_b32_e32 v61, 7
	s_mov_b32 s2, exec_lo
	v_cmpx_nle_f32_e64 0x40a00000, |v62|
	s_cbranch_execz .LBB27_305
; %bb.294:
	v_mov_b32_e32 v61, 6
	s_mov_b32 s3, exec_lo
	v_cmpx_nle_f32_e64 0x40600000, |v62|
	s_cbranch_execz .LBB27_304
; %bb.295:
	;; [unrolled: 5-line block ×5, first 2 shown]
	v_mov_b32_e32 v61, 2
	s_mov_b32 s9, exec_lo
	v_cmpx_nle_f32_e64 0x3f400000, |v62|
; %bb.299:
	v_cmp_le_f32_e64 s10, 0x3e800000, |v62|
	s_delay_alu instid0(VALU_DEP_1)
	v_cndmask_b32_e64 v61, 0, 1, s10
; %bb.300:
	s_or_b32 exec_lo, exec_lo, s9
.LBB27_301:
	s_delay_alu instid0(SALU_CYCLE_1)
	s_or_b32 exec_lo, exec_lo, s8
.LBB27_302:
	s_delay_alu instid0(SALU_CYCLE_1)
	s_or_b32 exec_lo, exec_lo, s7
.LBB27_303:
	s_delay_alu instid0(SALU_CYCLE_1)
	s_or_b32 exec_lo, exec_lo, s5
.LBB27_304:
	s_delay_alu instid0(SALU_CYCLE_1)
	s_or_b32 exec_lo, exec_lo, s3
.LBB27_305:
	s_delay_alu instid0(SALU_CYCLE_1) | instskip(SKIP_2) | instid1(VALU_DEP_1)
	s_or_b32 exec_lo, exec_lo, s2
	v_mul_f32_e32 v27, v12, v27
	s_mov_b32 s2, exec_lo
	v_cmpx_nle_f32_e64 0x40a00000, |v27|
	s_cbranch_execz .LBB27_317
; %bb.306:
	v_mov_b32_e32 v31, 6
	s_mov_b32 s3, exec_lo
	v_cmpx_nle_f32_e64 0x40600000, |v27|
	s_cbranch_execz .LBB27_316
; %bb.307:
	v_mov_b32_e32 v31, 5
	s_mov_b32 s5, exec_lo
	v_cmpx_nle_f32_e64 0x40200000, |v27|
	s_cbranch_execz .LBB27_315
; %bb.308:
	v_mov_b32_e32 v31, 4
	s_mov_b32 s7, exec_lo
	v_cmpx_nle_f32_e64 0x3fe00000, |v27|
	s_cbranch_execz .LBB27_314
; %bb.309:
	v_mov_b32_e32 v31, 3
	s_mov_b32 s8, exec_lo
	v_cmpx_nle_f32_e64 0x3fa00000, |v27|
	s_cbranch_execz .LBB27_313
; %bb.310:
	v_mov_b32_e32 v31, 2
	s_mov_b32 s9, exec_lo
	v_cmpx_nle_f32_e64 0x3f400000, |v27|
; %bb.311:
	v_cmp_le_f32_e64 s10, 0x3e800000, |v27|
	s_delay_alu instid0(VALU_DEP_1)
	v_cndmask_b32_e64 v31, 0, 1, s10
; %bb.312:
	s_or_b32 exec_lo, exec_lo, s9
.LBB27_313:
	s_delay_alu instid0(SALU_CYCLE_1)
	s_or_b32 exec_lo, exec_lo, s8
.LBB27_314:
	s_delay_alu instid0(SALU_CYCLE_1)
	s_or_b32 exec_lo, exec_lo, s7
.LBB27_315:
	s_delay_alu instid0(SALU_CYCLE_1)
	s_or_b32 exec_lo, exec_lo, s5
.LBB27_316:
	s_delay_alu instid0(SALU_CYCLE_1)
	s_or_b32 exec_lo, exec_lo, s3
.LBB27_317:
	s_delay_alu instid0(SALU_CYCLE_1) | instskip(SKIP_3) | instid1(VALU_DEP_2)
	s_or_b32 exec_lo, exec_lo, s2
	v_dual_mul_f32 v64, v12, v25 :: v_dual_mov_b32 v25, 7
	v_mov_b32_e32 v63, 7
	s_mov_b32 s2, exec_lo
	v_cmpx_nle_f32_e64 0x40a00000, |v64|
	s_cbranch_execz .LBB27_329
; %bb.318:
	v_mov_b32_e32 v63, 6
	s_mov_b32 s3, exec_lo
	v_cmpx_nle_f32_e64 0x40600000, |v64|
	s_cbranch_execz .LBB27_328
; %bb.319:
	;; [unrolled: 5-line block ×5, first 2 shown]
	v_mov_b32_e32 v63, 2
	s_mov_b32 s9, exec_lo
	v_cmpx_nle_f32_e64 0x3f400000, |v64|
; %bb.323:
	v_cmp_le_f32_e64 s10, 0x3e800000, |v64|
	s_delay_alu instid0(VALU_DEP_1)
	v_cndmask_b32_e64 v63, 0, 1, s10
; %bb.324:
	s_or_b32 exec_lo, exec_lo, s9
.LBB27_325:
	s_delay_alu instid0(SALU_CYCLE_1)
	s_or_b32 exec_lo, exec_lo, s8
.LBB27_326:
	s_delay_alu instid0(SALU_CYCLE_1)
	s_or_b32 exec_lo, exec_lo, s7
.LBB27_327:
	s_delay_alu instid0(SALU_CYCLE_1)
	s_or_b32 exec_lo, exec_lo, s5
.LBB27_328:
	s_delay_alu instid0(SALU_CYCLE_1)
	s_or_b32 exec_lo, exec_lo, s3
.LBB27_329:
	s_delay_alu instid0(SALU_CYCLE_1) | instskip(SKIP_2) | instid1(VALU_DEP_1)
	s_or_b32 exec_lo, exec_lo, s2
	v_mul_f32_e32 v21, v12, v21
	s_mov_b32 s2, exec_lo
	v_cmpx_nle_f32_e64 0x40a00000, |v21|
	s_cbranch_execz .LBB27_341
; %bb.330:
	v_mov_b32_e32 v25, 6
	s_mov_b32 s3, exec_lo
	v_cmpx_nle_f32_e64 0x40600000, |v21|
	s_cbranch_execz .LBB27_340
; %bb.331:
	v_mov_b32_e32 v25, 5
	;; [unrolled: 5-line block ×5, first 2 shown]
	s_mov_b32 s9, exec_lo
	v_cmpx_nle_f32_e64 0x3f400000, |v21|
; %bb.335:
	v_cmp_le_f32_e64 s10, 0x3e800000, |v21|
	s_delay_alu instid0(VALU_DEP_1)
	v_cndmask_b32_e64 v25, 0, 1, s10
; %bb.336:
	s_or_b32 exec_lo, exec_lo, s9
.LBB27_337:
	s_delay_alu instid0(SALU_CYCLE_1)
	s_or_b32 exec_lo, exec_lo, s8
.LBB27_338:
	s_delay_alu instid0(SALU_CYCLE_1)
	s_or_b32 exec_lo, exec_lo, s7
.LBB27_339:
	s_delay_alu instid0(SALU_CYCLE_1)
	s_or_b32 exec_lo, exec_lo, s5
.LBB27_340:
	s_delay_alu instid0(SALU_CYCLE_1)
	s_or_b32 exec_lo, exec_lo, s3
.LBB27_341:
	s_delay_alu instid0(SALU_CYCLE_1) | instskip(SKIP_3) | instid1(VALU_DEP_2)
	s_or_b32 exec_lo, exec_lo, s2
	v_dual_mul_f32 v65, v12, v19 :: v_dual_mov_b32 v66, 7
	v_mov_b32_e32 v19, 7
	s_mov_b32 s2, exec_lo
	v_cmpx_nle_f32_e64 0x40a00000, |v65|
	s_cbranch_execz .LBB27_353
; %bb.342:
	v_mov_b32_e32 v66, 6
	s_mov_b32 s3, exec_lo
	v_cmpx_nle_f32_e64 0x40600000, |v65|
	s_cbranch_execz .LBB27_352
; %bb.343:
	;; [unrolled: 5-line block ×5, first 2 shown]
	v_mov_b32_e32 v66, 2
	s_mov_b32 s9, exec_lo
	v_cmpx_nle_f32_e64 0x3f400000, |v65|
; %bb.347:
	v_cmp_le_f32_e64 s10, 0x3e800000, |v65|
	s_delay_alu instid0(VALU_DEP_1)
	v_cndmask_b32_e64 v66, 0, 1, s10
; %bb.348:
	s_or_b32 exec_lo, exec_lo, s9
.LBB27_349:
	s_delay_alu instid0(SALU_CYCLE_1)
	s_or_b32 exec_lo, exec_lo, s8
.LBB27_350:
	s_delay_alu instid0(SALU_CYCLE_1)
	s_or_b32 exec_lo, exec_lo, s7
.LBB27_351:
	s_delay_alu instid0(SALU_CYCLE_1)
	s_or_b32 exec_lo, exec_lo, s5
.LBB27_352:
	s_delay_alu instid0(SALU_CYCLE_1)
	s_or_b32 exec_lo, exec_lo, s3
.LBB27_353:
	s_delay_alu instid0(SALU_CYCLE_1) | instskip(SKIP_2) | instid1(VALU_DEP_1)
	s_or_b32 exec_lo, exec_lo, s2
	v_mul_f32_e32 v15, v12, v15
	s_mov_b32 s2, exec_lo
	v_cmpx_nle_f32_e64 0x40a00000, |v15|
	s_cbranch_execz .LBB27_365
; %bb.354:
	v_mov_b32_e32 v19, 6
	s_mov_b32 s3, exec_lo
	v_cmpx_nle_f32_e64 0x40600000, |v15|
	s_cbranch_execz .LBB27_364
; %bb.355:
	v_mov_b32_e32 v19, 5
	;; [unrolled: 5-line block ×5, first 2 shown]
	s_mov_b32 s9, exec_lo
	v_cmpx_nle_f32_e64 0x3f400000, |v15|
; %bb.359:
	v_cmp_le_f32_e64 s10, 0x3e800000, |v15|
	s_delay_alu instid0(VALU_DEP_1)
	v_cndmask_b32_e64 v19, 0, 1, s10
; %bb.360:
	s_or_b32 exec_lo, exec_lo, s9
.LBB27_361:
	s_delay_alu instid0(SALU_CYCLE_1)
	s_or_b32 exec_lo, exec_lo, s8
.LBB27_362:
	s_delay_alu instid0(SALU_CYCLE_1)
	s_or_b32 exec_lo, exec_lo, s7
.LBB27_363:
	s_delay_alu instid0(SALU_CYCLE_1)
	s_or_b32 exec_lo, exec_lo, s5
.LBB27_364:
	s_delay_alu instid0(SALU_CYCLE_1)
	s_or_b32 exec_lo, exec_lo, s3
.LBB27_365:
	s_delay_alu instid0(SALU_CYCLE_1) | instskip(SKIP_4) | instid1(VALU_DEP_2)
	s_or_b32 exec_lo, exec_lo, s2
	s_load_b64 s[2:3], s[0:1], 0x10
	v_dual_mul_f32 v67, v12, v13 :: v_dual_mov_b32 v68, 7
	v_mov_b32_e32 v13, 7
	s_mov_b32 s5, exec_lo
	v_cmpx_nle_f32_e64 0x40a00000, |v67|
	s_cbranch_execz .LBB27_377
; %bb.366:
	v_mov_b32_e32 v68, 6
	s_mov_b32 s7, exec_lo
	v_cmpx_nle_f32_e64 0x40600000, |v67|
	s_cbranch_execz .LBB27_376
; %bb.367:
	;; [unrolled: 5-line block ×5, first 2 shown]
	v_mov_b32_e32 v68, 2
	s_mov_b32 s11, exec_lo
	v_cmpx_nle_f32_e64 0x3f400000, |v67|
; %bb.371:
	v_cmp_le_f32_e64 s12, 0x3e800000, |v67|
	s_delay_alu instid0(VALU_DEP_1)
	v_cndmask_b32_e64 v68, 0, 1, s12
; %bb.372:
	s_or_b32 exec_lo, exec_lo, s11
.LBB27_373:
	s_delay_alu instid0(SALU_CYCLE_1)
	s_or_b32 exec_lo, exec_lo, s10
.LBB27_374:
	s_delay_alu instid0(SALU_CYCLE_1)
	s_or_b32 exec_lo, exec_lo, s9
.LBB27_375:
	s_delay_alu instid0(SALU_CYCLE_1)
	s_or_b32 exec_lo, exec_lo, s8
.LBB27_376:
	s_delay_alu instid0(SALU_CYCLE_1)
	s_or_b32 exec_lo, exec_lo, s7
.LBB27_377:
	s_delay_alu instid0(SALU_CYCLE_1) | instskip(SKIP_3) | instid1(VALU_DEP_1)
	s_or_b32 exec_lo, exec_lo, s5
	s_load_b64 s[0:1], s[0:1], 0x8
	v_mul_f32_e32 v8, v12, v8
	s_mov_b32 s5, exec_lo
	v_cmpx_nle_f32_e64 0x40a00000, |v8|
	s_cbranch_execz .LBB27_389
; %bb.378:
	v_mov_b32_e32 v13, 6
	s_mov_b32 s7, exec_lo
	v_cmpx_nle_f32_e64 0x40600000, |v8|
	s_cbranch_execz .LBB27_388
; %bb.379:
	v_mov_b32_e32 v13, 5
	;; [unrolled: 5-line block ×5, first 2 shown]
	s_mov_b32 s11, exec_lo
	v_cmpx_nle_f32_e64 0x3f400000, |v8|
; %bb.383:
	v_cmp_le_f32_e64 s12, 0x3e800000, |v8|
	s_delay_alu instid0(VALU_DEP_1)
	v_cndmask_b32_e64 v13, 0, 1, s12
; %bb.384:
	s_or_b32 exec_lo, exec_lo, s11
.LBB27_385:
	s_delay_alu instid0(SALU_CYCLE_1)
	s_or_b32 exec_lo, exec_lo, s10
.LBB27_386:
	s_delay_alu instid0(SALU_CYCLE_1)
	s_or_b32 exec_lo, exec_lo, s9
.LBB27_387:
	s_delay_alu instid0(SALU_CYCLE_1)
	s_or_b32 exec_lo, exec_lo, s8
.LBB27_388:
	s_delay_alu instid0(SALU_CYCLE_1)
	s_or_b32 exec_lo, exec_lo, s7
.LBB27_389:
	s_delay_alu instid0(SALU_CYCLE_1)
	s_or_b32 exec_lo, exec_lo, s5
	v_cmp_gt_f32_e32 vcc_lo, 0, v67
	v_lshlrev_b16 v6, 4, v6
	v_lshlrev_b16 v25, 4, v25
	;; [unrolled: 1-line block ×4, first 2 shown]
	v_cndmask_b32_e64 v12, 0, 1, vcc_lo
	v_cmp_gt_f32_e32 vcc_lo, 0, v65
	s_lshr_b32 s5, s4, 31
	s_delay_alu instid0(SALU_CYCLE_1) | instskip(NEXT) | instid1(VALU_DEP_2)
	s_add_i32 s4, s4, s5
	v_lshlrev_b16 v12, 3, v12
	v_cndmask_b32_e64 v65, 0, 1, vcc_lo
	v_cmp_gt_f32_e32 vcc_lo, 0, v64
	s_ashr_i32 s4, s4, 1
	s_delay_alu instid0(SALU_CYCLE_1) | instskip(NEXT) | instid1(VALU_DEP_2)
	s_ashr_i32 s5, s4, 31
	v_lshlrev_b16 v65, 3, v65
	v_cndmask_b32_e64 v64, 0, 1, vcc_lo
	v_cmp_gt_f32_e32 vcc_lo, 0, v62
	v_or_b32_e32 v12, v12, v68
	v_mul_lo_u32 v1, v1, s4
	v_or_b32_e32 v65, v65, v66
	v_lshlrev_b16 v64, 3, v64
	v_cndmask_b32_e64 v62, 0, 1, vcc_lo
	v_cmp_gt_f32_e32 vcc_lo, 0, v60
	s_delay_alu instid0(VALU_DEP_3) | instskip(NEXT) | instid1(VALU_DEP_3)
	v_or_b32_e32 v63, v64, v63
	v_lshlrev_b16 v62, 3, v62
	v_cndmask_b32_e64 v60, 0, 1, vcc_lo
	v_cmp_gt_f32_e32 vcc_lo, 0, v57
	s_delay_alu instid0(VALU_DEP_3) | instskip(NEXT) | instid1(VALU_DEP_3)
	;; [unrolled: 5-line block ×11, first 2 shown]
	v_or_b32_e32 v23, v24, v23
	v_lshlrev_b16 v18, 3, v18
	v_cndmask_b32_e64 v4, 0, 1, vcc_lo
	v_cmp_gt_f32_e32 vcc_lo, 0, v7
	s_delay_alu instid0(VALU_DEP_2) | instskip(SKIP_2) | instid1(VALU_DEP_3)
	v_lshlrev_b16 v4, 3, v4
	v_cndmask_b32_e64 v7, 0, 1, vcc_lo
	v_cmp_gt_f32_e32 vcc_lo, 0, v10
	v_or_b32_e32 v4, v4, v5
	s_delay_alu instid0(VALU_DEP_3)
	v_lshlrev_b16 v7, 7, v7
	v_cndmask_b32_e64 v10, 0, 1, vcc_lo
	v_cmp_gt_f32_e32 vcc_lo, 0, v14
	v_lshlrev_b16 v14, 4, v22
	v_lshlrev_b16 v22, 4, v48
	v_or_b32_e32 v5, v7, v6
	v_lshlrev_b16 v10, 3, v10
	v_cndmask_b32_e64 v6, 0, 1, vcc_lo
	v_cmp_gt_f32_e32 vcc_lo, 0, v20
	v_or_b32_e32 v7, v18, v17
	v_or_b32_e32 v4, v5, v4
	v_lshlrev_b16 v5, 4, v9
	v_or_b32_e32 v10, v10, v11
	v_cndmask_b32_e64 v9, 0, 1, vcc_lo
	v_cmp_gt_f32_e32 vcc_lo, 0, v26
	v_lshlrev_b16 v6, 7, v6
	v_lshlrev_b16 v17, 4, v39
	;; [unrolled: 1-line block ×4, first 2 shown]
	v_cndmask_b32_e64 v11, 0, 1, vcc_lo
	v_cmp_gt_f32_e32 vcc_lo, 0, v32
	v_or_b32_e32 v5, v6, v5
	v_lshlrev_b16 v6, 4, v16
	s_delay_alu instid0(VALU_DEP_4)
	v_lshlrev_b16 v11, 7, v11
	v_cndmask_b32_e64 v16, 0, 1, vcc_lo
	v_cmp_gt_f32_e32 vcc_lo, 0, v36
	v_or_b32_e32 v10, v5, v10
	v_or_b32_e32 v5, v9, v6
	;; [unrolled: 1-line block ×3, first 2 shown]
	v_lshlrev_b16 v9, 4, v28
	v_cndmask_b32_e64 v14, 0, 1, vcc_lo
	v_cmp_gt_f32_e32 vcc_lo, 0, v41
	v_lshlrev_b16 v11, 7, v16
	v_or_b32_e32 v7, v5, v7
	v_or_b32_e32 v6, v6, v23
	v_lshlrev_b16 v14, 7, v14
	v_cndmask_b32_e64 v16, 0, 1, vcc_lo
	v_or_b32_e32 v9, v11, v9
	v_lshlrev_b16 v11, 4, v33
	v_cmp_gt_f32_e32 vcc_lo, 0, v47
	v_lshlrev_b16 v10, 8, v10
	v_lshlrev_b16 v16, 7, v16
	v_or_b32_e32 v9, v9, v29
	v_or_b32_e32 v5, v14, v11
	v_lshlrev_b16 v14, 4, v45
	v_lshlrev_b16 v6, 8, v6
	v_or_b32_e32 v11, v16, v17
	v_cndmask_b32_e64 v16, 0, 1, vcc_lo
	v_cmp_gt_f32_e32 vcc_lo, 0, v52
	v_or_b32_e32 v23, v5, v35
	v_or_b32_e32 v4, v4, v10
	;; [unrolled: 1-line block ×3, first 2 shown]
	v_lshlrev_b16 v16, 7, v16
	v_cndmask_b32_e64 v17, 0, 1, vcc_lo
	v_cmp_gt_f32_e32 vcc_lo, 0, v46
	v_or_b32_e32 v10, v7, v6
	s_delay_alu instid0(VALU_DEP_4) | instskip(NEXT) | instid1(VALU_DEP_4)
	v_or_b32_e32 v5, v16, v14
	v_lshlrev_b16 v17, 7, v17
	v_cndmask_b32_e64 v18, 0, 1, vcc_lo
	v_cmp_gt_f32_e32 vcc_lo, 0, v40
	v_lshlrev_b32_e32 v10, 16, v10
	s_delay_alu instid0(VALU_DEP_4) | instskip(NEXT) | instid1(VALU_DEP_4)
	v_or_b32_e32 v14, v17, v20
	v_lshlrev_b16 v18, 7, v18
	v_cndmask_b32_e64 v17, 0, 1, vcc_lo
	v_cmp_gt_f32_e32 vcc_lo, 0, v21
	v_lshlrev_b16 v20, 4, v38
	v_or_b32_e32 v14, v14, v53
	v_or_b32_e32 v16, v18, v22
	v_lshlrev_b16 v22, 4, v31
	v_cndmask_b32_e64 v21, 0, 1, vcc_lo
	v_cmp_gt_f32_e32 vcc_lo, 0, v27
	v_or_b32_e32 v18, v5, v49
	v_or_b32_e32 v5, v16, v55
	v_lshlrev_b16 v16, 4, v43
	v_lshlrev_b16 v21, 7, v21
	v_cndmask_b32_e64 v24, 0, 1, vcc_lo
	v_cmp_gt_f32_e32 vcc_lo, 0, v8
	v_lshlrev_b16 v17, 7, v17
	s_delay_alu instid0(VALU_DEP_4) | instskip(NEXT) | instid1(VALU_DEP_4)
	v_or_b32_e32 v21, v21, v25
	v_lshlrev_b16 v24, 7, v24
	v_cndmask_b32_e64 v8, 0, 1, vcc_lo
	v_cmp_gt_f32_e32 vcc_lo, 0, v15
	v_or_b32_e32 v16, v17, v16
	v_lshrrev_b32_e32 v17, 23, v3
	v_or_b32_e32 v22, v24, v22
	v_lshlrev_b16 v8, 7, v8
	v_cndmask_b32_e64 v15, 0, 1, vcc_lo
	v_cmp_gt_f32_e32 vcc_lo, 0, v34
	v_lshlrev_b16 v3, 8, v5
	v_or_b32_e32 v16, v16, v57
	v_or_b32_e32 v8, v8, v13
	v_lshlrev_b16 v15, 7, v15
	v_cndmask_b32_e64 v13, 0, 1, vcc_lo
	v_or_b32_e32 v3, v14, v3
	v_lshlrev_b16 v14, 8, v18
	v_or_b32_e32 v8, v8, v12
	v_or_b32_e32 v15, v15, v19
	;; [unrolled: 1-line block ×3, first 2 shown]
	v_lshlrev_b16 v12, 7, v13
	v_or_b32_e32 v13, v22, v61
	v_lshlrev_b16 v8, 8, v8
	v_or_b32_e32 v15, v15, v65
	v_lshlrev_b16 v19, 8, v19
	v_ashrrev_i32_e32 v21, 31, v0
	v_or_b32_e32 v11, v11, v14
	v_or_b32_e32 v12, v12, v20
	;; [unrolled: 1-line block ×4, first 2 shown]
	v_lshrrev_b32_e32 v15, 27, v21
	v_lshrrev_b32_e32 v14, 28, v21
	v_or_b32_e32 v12, v12, v59
	v_lshlrev_b32_e32 v8, 16, v8
	v_and_b32_e32 v13, 0xffff, v13
	v_add_nc_u32_e32 v15, v0, v15
	v_add_nc_u32_e32 v7, v0, v14
	v_lshlrev_b32_e32 v14, 6, v2
	v_lshlrev_b16 v12, 8, v12
	v_or_b32_e32 v5, v13, v8
	v_and_b32_e32 v8, 0xffe0, v15
	v_lshlrev_b16 v13, 8, v23
	v_and_b32_e32 v7, 0x3ffffff0, v7
	v_or_b32_e32 v12, v16, v12
	v_and_b32_e32 v3, 0xffff, v3
	v_sub_nc_u32_e32 v8, v0, v8
	v_or_b32_e32 v9, v9, v13
	v_sub_nc_u32_e32 v7, v0, v7
	v_lshlrev_b32_e32 v12, 16, v12
	v_lshlrev_b32_e32 v11, 16, v11
	v_bfe_i32 v13, v8, 0, 8
	v_and_b32_e32 v9, 0xffff, v9
	s_delay_alu instid0(VALU_DEP_2) | instskip(NEXT) | instid1(VALU_DEP_1)
	v_lshrrev_b16 v13, 11, v13
	v_and_b32_e32 v6, 15, v13
	v_lshrrev_b32_e32 v13, 5, v15
	v_lshrrev_b32_e32 v15, 1, v2
	s_delay_alu instid0(VALU_DEP_3) | instskip(NEXT) | instid1(VALU_DEP_3)
	v_add_nc_u16 v6, v8, v6
	v_mul_lo_u32 v8, v13, s6
	v_and_b32_e32 v13, 0xc0, v14
	v_and_b32_e32 v14, 0x3fffff8, v2
	s_delay_alu instid0(VALU_DEP_4) | instskip(NEXT) | instid1(VALU_DEP_3)
	v_bfe_i32 v6, v6, 0, 8
	v_lshl_add_u32 v7, v7, 2, v13
	v_mul_lo_u32 v13, v0, s5
	s_delay_alu instid0(VALU_DEP_4) | instskip(NEXT) | instid1(VALU_DEP_4)
	v_add_lshl_u32 v8, v8, v14, 5
	v_ashrrev_i16 v6, 4, v6
	s_delay_alu instid0(VALU_DEP_4) | instskip(NEXT) | instid1(VALU_DEP_2)
	v_and_or_b32 v15, v15, 2, v7
	v_bfe_i32 v14, v6, 0, 16
	s_waitcnt lgkmcnt(0)
	v_mad_u64_u32 v[6:7], null, v0, s4, s[0:1]
	v_and_b32_e32 v0, 0xffff, v4
	v_or_b32_e32 v4, v3, v12
	v_add3_u32 v8, v15, v8, v14
	v_or_b32_e32 v3, v9, v11
	v_lshlrev_b32_e32 v9, 4, v2
	v_or_b32_e32 v2, v0, v10
	v_add3_u32 v1, v1, v7, v13
	v_ashrrev_i32_e32 v7, 31, v8
	s_delay_alu instid0(VALU_DEP_4) | instskip(NEXT) | instid1(VALU_DEP_3)
	v_add_co_u32 v0, vcc_lo, v6, v9
	v_add_co_ci_u32_e32 v1, vcc_lo, 0, v1, vcc_lo
	v_add_co_u32 v6, vcc_lo, s2, v8
	s_delay_alu instid0(VALU_DEP_4)
	v_add_co_ci_u32_e32 v7, vcc_lo, s3, v7, vcc_lo
	global_store_b128 v[0:1], v[2:5], off
	global_store_b8 v[6:7], v17, off
.LBB27_390:
	s_nop 0
	s_sendmsg sendmsg(MSG_DEALLOC_VGPRS)
	s_endpgm
	.section	.rodata,"a",@progbits
	.p2align	6, 0x0
	.amdhsa_kernel _ZN5aiter18quant_mxfp4_kernelI12hip_bfloat16LNS_16MxScaleRoundModeE1ELb1ELb0ELb0EEEvPKT_PhPfliiib
		.amdhsa_group_segment_fixed_size 0
		.amdhsa_private_segment_fixed_size 0
		.amdhsa_kernarg_size 304
		.amdhsa_user_sgpr_count 15
		.amdhsa_user_sgpr_dispatch_ptr 0
		.amdhsa_user_sgpr_queue_ptr 0
		.amdhsa_user_sgpr_kernarg_segment_ptr 1
		.amdhsa_user_sgpr_dispatch_id 0
		.amdhsa_user_sgpr_private_segment_size 0
		.amdhsa_wavefront_size32 1
		.amdhsa_uses_dynamic_stack 0
		.amdhsa_enable_private_segment 0
		.amdhsa_system_sgpr_workgroup_id_x 1
		.amdhsa_system_sgpr_workgroup_id_y 0
		.amdhsa_system_sgpr_workgroup_id_z 0
		.amdhsa_system_sgpr_workgroup_info 0
		.amdhsa_system_vgpr_workitem_id 0
		.amdhsa_next_free_vgpr 69
		.amdhsa_next_free_sgpr 16
		.amdhsa_reserve_vcc 1
		.amdhsa_float_round_mode_32 0
		.amdhsa_float_round_mode_16_64 0
		.amdhsa_float_denorm_mode_32 3
		.amdhsa_float_denorm_mode_16_64 3
		.amdhsa_dx10_clamp 1
		.amdhsa_ieee_mode 1
		.amdhsa_fp16_overflow 0
		.amdhsa_workgroup_processor_mode 1
		.amdhsa_memory_ordered 1
		.amdhsa_forward_progress 0
		.amdhsa_shared_vgpr_count 0
		.amdhsa_exception_fp_ieee_invalid_op 0
		.amdhsa_exception_fp_denorm_src 0
		.amdhsa_exception_fp_ieee_div_zero 0
		.amdhsa_exception_fp_ieee_overflow 0
		.amdhsa_exception_fp_ieee_underflow 0
		.amdhsa_exception_fp_ieee_inexact 0
		.amdhsa_exception_int_div_zero 0
	.end_amdhsa_kernel
	.section	.text._ZN5aiter18quant_mxfp4_kernelI12hip_bfloat16LNS_16MxScaleRoundModeE1ELb1ELb0ELb0EEEvPKT_PhPfliiib,"axG",@progbits,_ZN5aiter18quant_mxfp4_kernelI12hip_bfloat16LNS_16MxScaleRoundModeE1ELb1ELb0ELb0EEEvPKT_PhPfliiib,comdat
.Lfunc_end27:
	.size	_ZN5aiter18quant_mxfp4_kernelI12hip_bfloat16LNS_16MxScaleRoundModeE1ELb1ELb0ELb0EEEvPKT_PhPfliiib, .Lfunc_end27-_ZN5aiter18quant_mxfp4_kernelI12hip_bfloat16LNS_16MxScaleRoundModeE1ELb1ELb0ELb0EEEvPKT_PhPfliiib
                                        ; -- End function
	.section	.AMDGPU.csdata,"",@progbits
; Kernel info:
; codeLenInByte = 10100
; NumSgprs: 18
; NumVgprs: 69
; ScratchSize: 0
; MemoryBound: 0
; FloatMode: 240
; IeeeMode: 1
; LDSByteSize: 0 bytes/workgroup (compile time only)
; SGPRBlocks: 2
; VGPRBlocks: 8
; NumSGPRsForWavesPerEU: 18
; NumVGPRsForWavesPerEU: 69
; Occupancy: 16
; WaveLimiterHint : 0
; COMPUTE_PGM_RSRC2:SCRATCH_EN: 0
; COMPUTE_PGM_RSRC2:USER_SGPR: 15
; COMPUTE_PGM_RSRC2:TRAP_HANDLER: 0
; COMPUTE_PGM_RSRC2:TGID_X_EN: 1
; COMPUTE_PGM_RSRC2:TGID_Y_EN: 0
; COMPUTE_PGM_RSRC2:TGID_Z_EN: 0
; COMPUTE_PGM_RSRC2:TIDIG_COMP_CNT: 0
	.section	.text._ZN5aiter18quant_mxfp4_kernelI12hip_bfloat16LNS_16MxScaleRoundModeE1ELb0ELb1ELb1EEEvPKT_PhPfliiib,"axG",@progbits,_ZN5aiter18quant_mxfp4_kernelI12hip_bfloat16LNS_16MxScaleRoundModeE1ELb0ELb1ELb1EEEvPKT_PhPfliiib,comdat
	.protected	_ZN5aiter18quant_mxfp4_kernelI12hip_bfloat16LNS_16MxScaleRoundModeE1ELb0ELb1ELb1EEEvPKT_PhPfliiib ; -- Begin function _ZN5aiter18quant_mxfp4_kernelI12hip_bfloat16LNS_16MxScaleRoundModeE1ELb0ELb1ELb1EEEvPKT_PhPfliiib
	.globl	_ZN5aiter18quant_mxfp4_kernelI12hip_bfloat16LNS_16MxScaleRoundModeE1ELb0ELb1ELb1EEEvPKT_PhPfliiib
	.p2align	8
	.type	_ZN5aiter18quant_mxfp4_kernelI12hip_bfloat16LNS_16MxScaleRoundModeE1ELb0ELb1ELb1EEEvPKT_PhPfliiib,@function
_ZN5aiter18quant_mxfp4_kernelI12hip_bfloat16LNS_16MxScaleRoundModeE1ELb0ELb1ELb1EEEvPKT_PhPfliiib: ; @_ZN5aiter18quant_mxfp4_kernelI12hip_bfloat16LNS_16MxScaleRoundModeE1ELb0ELb1ELb1EEEvPKT_PhPfliiib
; %bb.0:
	s_clause 0x1
	s_load_b32 s2, s[0:1], 0x3c
	s_load_b128 s[4:7], s[0:1], 0x20
	v_mov_b32_e32 v1, 0
	s_delay_alu instid0(VALU_DEP_1)
	v_mov_b32_e32 v4, v1
	s_waitcnt lgkmcnt(0)
	s_and_b32 s2, s2, 0xffff
	s_mov_b32 s3, s6
	v_mad_u64_u32 v[2:3], null, s2, s15, v[0:1]
	s_ashr_i32 s2, s6, 31
	s_mov_b32 s6, exec_lo
                                        ; implicit-def: $vgpr0_vgpr1
	s_delay_alu instid0(VALU_DEP_1) | instskip(NEXT) | instid1(VALU_DEP_1)
	v_or_b32_e32 v5, s2, v3
	v_cmpx_ne_u64_e32 0, v[4:5]
	s_xor_b32 s6, exec_lo, s6
	s_cbranch_execz .LBB28_2
; %bb.1:
	s_add_u32 s10, s3, s2
	s_mov_b32 s8, s2
	s_mov_b32 s9, s2
	s_addc_u32 s11, s2, s2
	s_delay_alu instid0(SALU_CYCLE_1) | instskip(NEXT) | instid1(SALU_CYCLE_1)
	s_xor_b64 s[10:11], s[10:11], s[8:9]
	v_cvt_f32_u32_e32 v0, s10
	v_cvt_f32_u32_e32 v1, s11
	s_sub_u32 s2, 0, s10
	s_subb_u32 s12, 0, s11
	s_delay_alu instid0(VALU_DEP_1) | instskip(NEXT) | instid1(VALU_DEP_1)
	v_fmamk_f32 v0, v1, 0x4f800000, v0
	v_rcp_f32_e32 v0, v0
	s_waitcnt_depctr 0xfff
	v_mul_f32_e32 v0, 0x5f7ffffc, v0
	s_delay_alu instid0(VALU_DEP_1) | instskip(NEXT) | instid1(VALU_DEP_1)
	v_mul_f32_e32 v1, 0x2f800000, v0
	v_trunc_f32_e32 v1, v1
	s_delay_alu instid0(VALU_DEP_1) | instskip(SKIP_1) | instid1(VALU_DEP_2)
	v_fmamk_f32 v0, v1, 0xcf800000, v0
	v_cvt_u32_f32_e32 v1, v1
	v_cvt_u32_f32_e32 v0, v0
	s_delay_alu instid0(VALU_DEP_2) | instskip(NEXT) | instid1(VALU_DEP_2)
	v_mul_lo_u32 v4, s2, v1
	v_mul_hi_u32 v5, s2, v0
	v_mul_lo_u32 v6, s12, v0
	s_delay_alu instid0(VALU_DEP_2) | instskip(SKIP_1) | instid1(VALU_DEP_2)
	v_add_nc_u32_e32 v4, v5, v4
	v_mul_lo_u32 v5, s2, v0
	v_add_nc_u32_e32 v4, v4, v6
	s_delay_alu instid0(VALU_DEP_2) | instskip(NEXT) | instid1(VALU_DEP_2)
	v_mul_hi_u32 v6, v0, v5
	v_mul_lo_u32 v7, v0, v4
	v_mul_hi_u32 v8, v0, v4
	v_mul_hi_u32 v9, v1, v5
	v_mul_lo_u32 v5, v1, v5
	v_mul_hi_u32 v10, v1, v4
	v_mul_lo_u32 v4, v1, v4
	v_add_co_u32 v6, vcc_lo, v6, v7
	v_add_co_ci_u32_e32 v7, vcc_lo, 0, v8, vcc_lo
	s_delay_alu instid0(VALU_DEP_2) | instskip(NEXT) | instid1(VALU_DEP_2)
	v_add_co_u32 v5, vcc_lo, v6, v5
	v_add_co_ci_u32_e32 v5, vcc_lo, v7, v9, vcc_lo
	v_add_co_ci_u32_e32 v6, vcc_lo, 0, v10, vcc_lo
	v_ashrrev_i32_e32 v9, 31, v3
	s_delay_alu instid0(VALU_DEP_3) | instskip(NEXT) | instid1(VALU_DEP_3)
	v_add_co_u32 v4, vcc_lo, v5, v4
	v_add_co_ci_u32_e32 v5, vcc_lo, 0, v6, vcc_lo
	s_delay_alu instid0(VALU_DEP_2) | instskip(NEXT) | instid1(VALU_DEP_2)
	v_add_co_u32 v0, vcc_lo, v0, v4
	v_add_co_ci_u32_e32 v1, vcc_lo, v1, v5, vcc_lo
	s_delay_alu instid0(VALU_DEP_2) | instskip(SKIP_1) | instid1(VALU_DEP_3)
	v_mul_hi_u32 v4, s2, v0
	v_mul_lo_u32 v6, s12, v0
	v_mul_lo_u32 v5, s2, v1
	s_delay_alu instid0(VALU_DEP_1) | instskip(SKIP_1) | instid1(VALU_DEP_2)
	v_add_nc_u32_e32 v4, v4, v5
	v_mul_lo_u32 v5, s2, v0
	v_add_nc_u32_e32 v4, v4, v6
	s_delay_alu instid0(VALU_DEP_2) | instskip(NEXT) | instid1(VALU_DEP_2)
	v_mul_hi_u32 v6, v0, v5
	v_mul_lo_u32 v7, v0, v4
	v_mul_hi_u32 v8, v0, v4
	v_mul_hi_u32 v10, v1, v5
	v_mul_lo_u32 v5, v1, v5
	v_mul_hi_u32 v11, v1, v4
	v_mul_lo_u32 v4, v1, v4
	v_add_co_u32 v6, vcc_lo, v6, v7
	v_add_co_ci_u32_e32 v7, vcc_lo, 0, v8, vcc_lo
	s_delay_alu instid0(VALU_DEP_2) | instskip(NEXT) | instid1(VALU_DEP_2)
	v_add_co_u32 v5, vcc_lo, v6, v5
	v_add_co_ci_u32_e32 v5, vcc_lo, v7, v10, vcc_lo
	v_add_co_ci_u32_e32 v6, vcc_lo, 0, v11, vcc_lo
	v_add_co_u32 v7, vcc_lo, v2, v9
	v_add_co_ci_u32_e32 v3, vcc_lo, v3, v9, vcc_lo
	s_delay_alu instid0(VALU_DEP_4) | instskip(NEXT) | instid1(VALU_DEP_4)
	v_add_co_u32 v4, vcc_lo, v5, v4
	v_add_co_ci_u32_e32 v5, vcc_lo, 0, v6, vcc_lo
	s_delay_alu instid0(VALU_DEP_4) | instskip(NEXT) | instid1(VALU_DEP_3)
	v_xor_b32_e32 v7, v7, v9
	v_add_co_u32 v6, vcc_lo, v0, v4
	s_delay_alu instid0(VALU_DEP_3) | instskip(SKIP_1) | instid1(VALU_DEP_3)
	v_add_co_ci_u32_e32 v8, vcc_lo, v1, v5, vcc_lo
	v_xor_b32_e32 v10, v3, v9
	v_mul_hi_u32 v11, v7, v6
	s_delay_alu instid0(VALU_DEP_3) | instskip(NEXT) | instid1(VALU_DEP_3)
	v_mad_u64_u32 v[0:1], null, v7, v8, 0
	v_mad_u64_u32 v[3:4], null, v10, v6, 0
	;; [unrolled: 1-line block ×3, first 2 shown]
	s_delay_alu instid0(VALU_DEP_3) | instskip(NEXT) | instid1(VALU_DEP_4)
	v_add_co_u32 v0, vcc_lo, v11, v0
	v_add_co_ci_u32_e32 v1, vcc_lo, 0, v1, vcc_lo
	s_delay_alu instid0(VALU_DEP_2) | instskip(NEXT) | instid1(VALU_DEP_2)
	v_add_co_u32 v0, vcc_lo, v0, v3
	v_add_co_ci_u32_e32 v0, vcc_lo, v1, v4, vcc_lo
	v_add_co_ci_u32_e32 v1, vcc_lo, 0, v6, vcc_lo
	s_delay_alu instid0(VALU_DEP_2) | instskip(NEXT) | instid1(VALU_DEP_2)
	v_add_co_u32 v3, vcc_lo, v0, v5
	v_add_co_ci_u32_e32 v4, vcc_lo, 0, v1, vcc_lo
	s_delay_alu instid0(VALU_DEP_2) | instskip(SKIP_1) | instid1(VALU_DEP_3)
	v_mul_lo_u32 v5, s11, v3
	v_mad_u64_u32 v[0:1], null, s10, v3, 0
	v_mul_lo_u32 v6, s10, v4
	s_delay_alu instid0(VALU_DEP_2) | instskip(NEXT) | instid1(VALU_DEP_2)
	v_sub_co_u32 v0, vcc_lo, v7, v0
	v_add3_u32 v1, v1, v6, v5
	s_delay_alu instid0(VALU_DEP_1) | instskip(NEXT) | instid1(VALU_DEP_1)
	v_sub_nc_u32_e32 v5, v10, v1
	v_subrev_co_ci_u32_e64 v5, s2, s11, v5, vcc_lo
	v_add_co_u32 v6, s2, v3, 2
	s_delay_alu instid0(VALU_DEP_1) | instskip(SKIP_3) | instid1(VALU_DEP_3)
	v_add_co_ci_u32_e64 v7, s2, 0, v4, s2
	v_sub_co_u32 v8, s2, v0, s10
	v_sub_co_ci_u32_e32 v1, vcc_lo, v10, v1, vcc_lo
	v_subrev_co_ci_u32_e64 v5, s2, 0, v5, s2
	v_cmp_le_u32_e32 vcc_lo, s10, v8
	s_delay_alu instid0(VALU_DEP_3) | instskip(SKIP_1) | instid1(VALU_DEP_4)
	v_cmp_eq_u32_e64 s2, s11, v1
	v_cndmask_b32_e64 v8, 0, -1, vcc_lo
	v_cmp_le_u32_e32 vcc_lo, s11, v5
	v_cndmask_b32_e64 v10, 0, -1, vcc_lo
	v_cmp_le_u32_e32 vcc_lo, s10, v0
	;; [unrolled: 2-line block ×3, first 2 shown]
	v_cndmask_b32_e64 v11, 0, -1, vcc_lo
	v_cmp_eq_u32_e32 vcc_lo, s11, v5
	s_delay_alu instid0(VALU_DEP_2) | instskip(SKIP_3) | instid1(VALU_DEP_3)
	v_cndmask_b32_e64 v0, v11, v0, s2
	v_cndmask_b32_e32 v5, v10, v8, vcc_lo
	v_add_co_u32 v8, vcc_lo, v3, 1
	v_add_co_ci_u32_e32 v10, vcc_lo, 0, v4, vcc_lo
	v_cmp_ne_u32_e32 vcc_lo, 0, v5
	s_delay_alu instid0(VALU_DEP_2) | instskip(NEXT) | instid1(VALU_DEP_4)
	v_cndmask_b32_e32 v1, v10, v7, vcc_lo
	v_cndmask_b32_e32 v5, v8, v6, vcc_lo
	v_cmp_ne_u32_e32 vcc_lo, 0, v0
	v_xor_b32_e32 v0, s8, v9
	s_delay_alu instid0(VALU_DEP_3) | instskip(SKIP_2) | instid1(VALU_DEP_3)
	v_cndmask_b32_e32 v3, v3, v5, vcc_lo
	v_cndmask_b32_e32 v1, v4, v1, vcc_lo
	v_xor_b32_e32 v4, s9, v9
	v_xor_b32_e32 v3, v3, v0
	s_delay_alu instid0(VALU_DEP_2) | instskip(NEXT) | instid1(VALU_DEP_2)
	v_xor_b32_e32 v1, v1, v4
	v_sub_co_u32 v0, vcc_lo, v3, v0
	s_delay_alu instid0(VALU_DEP_2)
	v_sub_co_ci_u32_e32 v1, vcc_lo, v1, v4, vcc_lo
.LBB28_2:
	s_and_not1_saveexec_b32 s2, s6
	s_cbranch_execz .LBB28_4
; %bb.3:
	v_cvt_f32_u32_e32 v0, s3
	s_sub_i32 s6, 0, s3
	s_delay_alu instid0(VALU_DEP_1) | instskip(SKIP_2) | instid1(VALU_DEP_1)
	v_rcp_iflag_f32_e32 v0, v0
	s_waitcnt_depctr 0xfff
	v_mul_f32_e32 v0, 0x4f7ffffe, v0
	v_cvt_u32_f32_e32 v0, v0
	s_delay_alu instid0(VALU_DEP_1) | instskip(NEXT) | instid1(VALU_DEP_1)
	v_mul_lo_u32 v1, s6, v0
	v_mul_hi_u32 v1, v0, v1
	s_delay_alu instid0(VALU_DEP_1) | instskip(NEXT) | instid1(VALU_DEP_1)
	v_add_nc_u32_e32 v0, v0, v1
	v_mul_hi_u32 v0, v2, v0
	s_delay_alu instid0(VALU_DEP_1) | instskip(SKIP_1) | instid1(VALU_DEP_2)
	v_mul_lo_u32 v1, v0, s3
	v_add_nc_u32_e32 v3, 1, v0
	v_sub_nc_u32_e32 v1, v2, v1
	s_delay_alu instid0(VALU_DEP_1) | instskip(SKIP_1) | instid1(VALU_DEP_2)
	v_subrev_nc_u32_e32 v4, s3, v1
	v_cmp_le_u32_e32 vcc_lo, s3, v1
	v_dual_cndmask_b32 v1, v1, v4 :: v_dual_cndmask_b32 v0, v0, v3
	s_delay_alu instid0(VALU_DEP_1) | instskip(NEXT) | instid1(VALU_DEP_2)
	v_cmp_le_u32_e32 vcc_lo, s3, v1
	v_add_nc_u32_e32 v3, 1, v0
	s_delay_alu instid0(VALU_DEP_1)
	v_dual_mov_b32 v1, 0 :: v_dual_cndmask_b32 v0, v0, v3
.LBB28_4:
	s_or_b32 exec_lo, exec_lo, s2
	s_load_b64 s[8:9], s[0:1], 0x18
	s_delay_alu instid0(VALU_DEP_1) | instskip(NEXT) | instid1(VALU_DEP_1)
	v_mad_u64_u32 v[3:4], null, v0, s3, 0
	v_sub_co_u32 v5, null, v2, v3
	s_delay_alu instid0(VALU_DEP_1) | instskip(SKIP_2) | instid1(VALU_DEP_2)
	v_cmp_gt_i32_e64 s2, s5, v5
	s_waitcnt lgkmcnt(0)
	v_cmp_gt_i64_e32 vcc_lo, s[8:9], v[0:1]
	s_and_b32 s2, vcc_lo, s2
	s_delay_alu instid0(SALU_CYCLE_1)
	s_and_saveexec_b32 s3, s2
	s_cbranch_execz .LBB28_398
; %bb.5:
	s_ashr_i32 s6, s4, 31
	s_load_b64 s[2:3], s[0:1], 0x0
	v_mul_lo_u32 v2, v1, s4
	v_mad_u64_u32 v[6:7], null, v0, s4, 0
	v_mul_lo_u32 v3, v0, s6
	s_delay_alu instid0(VALU_DEP_1) | instskip(SKIP_1) | instid1(VALU_DEP_2)
	v_add3_u32 v7, v7, v3, v2
	v_dual_mov_b32 v3, 0 :: v_dual_lshlrev_b32 v2, 5, v5
	v_lshlrev_b64 v[6:7], 1, v[6:7]
	s_delay_alu instid0(VALU_DEP_2) | instskip(SKIP_1) | instid1(VALU_DEP_2)
	v_lshlrev_b64 v[3:4], 1, v[2:3]
	s_waitcnt lgkmcnt(0)
	v_add_co_u32 v6, vcc_lo, s2, v6
	s_delay_alu instid0(VALU_DEP_3) | instskip(SKIP_1) | instid1(VALU_DEP_2)
	v_add_co_ci_u32_e32 v7, vcc_lo, s3, v7, vcc_lo
	s_mov_b32 s2, exec_lo
	v_add_co_u32 v3, vcc_lo, v6, v3
	s_delay_alu instid0(VALU_DEP_2)
	v_add_co_ci_u32_e32 v4, vcc_lo, v7, v4, vcc_lo
	s_clause 0x3
	global_load_b128 v[6:9], v[3:4], off
	global_load_b128 v[35:38], v[3:4], off offset:16
	global_load_b128 v[53:56], v[3:4], off offset:32
	;; [unrolled: 1-line block ×3, first 2 shown]
	s_waitcnt vmcnt(3)
	v_lshlrev_b32_e32 v12, 16, v6
	v_and_b32_e32 v10, 0xffff0000, v6
	v_lshlrev_b32_e32 v11, 16, v7
	v_and_b32_e32 v14, 0xffff0000, v7
	;; [unrolled: 2-line block ×3, first 2 shown]
	v_max3_f32 v3, |v12|, 0, |v10|
	v_lshlrev_b32_e32 v21, 16, v9
	v_and_b32_e32 v25, 0xffff0000, v9
	s_waitcnt vmcnt(2)
	v_lshlrev_b32_e32 v27, 16, v35
	v_and_b32_e32 v31, 0xffff0000, v35
	v_max3_f32 v3, v3, |v11|, |v14|
	v_lshlrev_b32_e32 v33, 16, v36
	v_and_b32_e32 v36, 0xffff0000, v36
	v_lshlrev_b32_e32 v39, 16, v37
	v_and_b32_e32 v41, 0xffff0000, v37
	v_max3_f32 v3, v3, |v15|, |v19|
	v_lshlrev_b32_e32 v45, 16, v38
	v_and_b32_e32 v47, 0xffff0000, v38
	s_waitcnt vmcnt(1)
	v_lshlrev_b32_e32 v51, 16, v53
	v_and_b32_e32 v53, 0xffff0000, v53
	v_max3_f32 v3, v3, |v21|, |v25|
	v_lshlrev_b32_e32 v52, 16, v54
	v_and_b32_e32 v50, 0xffff0000, v54
	v_lshlrev_b32_e32 v46, 16, v55
	v_and_b32_e32 v44, 0xffff0000, v55
	v_max3_f32 v3, v3, |v27|, |v31|
	;; [unrolled: 11-line block ×3, first 2 shown]
	v_lshlrev_b32_e32 v18, 16, v60
	s_delay_alu instid0(VALU_DEP_2) | instskip(NEXT) | instid1(VALU_DEP_1)
	v_max3_f32 v3, v3, |v45|, |v47|
	v_max3_f32 v3, v3, |v51|, |v53|
	s_delay_alu instid0(VALU_DEP_1) | instskip(NEXT) | instid1(VALU_DEP_1)
	v_max3_f32 v3, v3, |v52|, |v50|
	v_max3_f32 v3, v3, |v46|, |v44|
	s_delay_alu instid0(VALU_DEP_1) | instskip(NEXT) | instid1(VALU_DEP_1)
	v_max3_f32 v3, v3, |v40|, |v38|
	v_max3_f32 v3, v3, |v34|, |v32|
	s_delay_alu instid0(VALU_DEP_1) | instskip(SKIP_1) | instid1(VALU_DEP_2)
	v_max3_f32 v4, v3, |v28|, |v26|
	v_and_b32_e32 v3, 0xffff0000, v60
	v_max3_f32 v4, v4, |v23|, |v20|
	s_delay_alu instid0(VALU_DEP_1) | instskip(NEXT) | instid1(VALU_DEP_1)
	v_max3_f32 v4, v4, |v18|, |v3|
	v_mul_f32_e32 v4, 0x3e2aaaab, v4
	s_delay_alu instid0(VALU_DEP_1) | instskip(SKIP_1) | instid1(VALU_DEP_2)
	v_and_b32_e32 v6, 0x7fffff, v4
	v_bfe_u32 v4, v4, 23, 8
	v_cmp_ne_u32_e32 vcc_lo, 0, v6
	s_delay_alu instid0(VALU_DEP_2) | instskip(SKIP_1) | instid1(VALU_DEP_2)
	v_add_co_ci_u32_e32 v6, vcc_lo, 0, v4, vcc_lo
	v_cmp_ne_u32_e32 vcc_lo, 0xff, v4
	v_lshlrev_b32_e32 v6, 23, v6
	s_delay_alu instid0(VALU_DEP_1) | instskip(NEXT) | instid1(VALU_DEP_1)
	v_cndmask_b32_e32 v6, 0x7f800000, v6, vcc_lo
	v_div_scale_f32 v4, null, v6, v6, 1.0
	v_div_scale_f32 v9, vcc_lo, 1.0, v6, 1.0
	s_delay_alu instid0(VALU_DEP_2) | instskip(SKIP_2) | instid1(VALU_DEP_1)
	v_rcp_f32_e32 v7, v4
	s_waitcnt_depctr 0xfff
	v_fma_f32 v8, -v4, v7, 1.0
	v_fmac_f32_e32 v7, v8, v7
	s_delay_alu instid0(VALU_DEP_1) | instskip(NEXT) | instid1(VALU_DEP_1)
	v_mul_f32_e32 v8, v9, v7
	v_fma_f32 v13, -v4, v8, v9
	s_delay_alu instid0(VALU_DEP_1) | instskip(NEXT) | instid1(VALU_DEP_1)
	v_fmac_f32_e32 v8, v13, v7
	v_fma_f32 v4, -v4, v8, v9
	v_mov_b32_e32 v9, 7
	s_delay_alu instid0(VALU_DEP_2) | instskip(SKIP_2) | instid1(VALU_DEP_3)
	v_div_fmas_f32 v4, v4, v7, v8
	v_mov_b32_e32 v8, 7
	v_cmp_neq_f32_e32 vcc_lo, 0, v6
	v_div_fixup_f32 v4, v4, v6, 1.0
	s_delay_alu instid0(VALU_DEP_1) | instskip(NEXT) | instid1(VALU_DEP_1)
	v_cndmask_b32_e32 v4, 0, v4, vcc_lo
	v_mul_f32_e32 v7, v4, v12
	s_delay_alu instid0(VALU_DEP_1)
	v_cmpx_nle_f32_e64 0x40a00000, |v7|
	s_cbranch_execz .LBB28_17
; %bb.6:
	v_mov_b32_e32 v8, 6
	s_mov_b32 s3, exec_lo
	v_cmpx_nle_f32_e64 0x40600000, |v7|
	s_cbranch_execz .LBB28_16
; %bb.7:
	v_mov_b32_e32 v8, 5
	s_mov_b32 s6, exec_lo
	;; [unrolled: 5-line block ×5, first 2 shown]
	v_cmpx_nle_f32_e64 0x3f400000, |v7|
; %bb.11:
	v_cmp_le_f32_e64 s12, 0x3e800000, |v7|
	s_delay_alu instid0(VALU_DEP_1)
	v_cndmask_b32_e64 v8, 0, 1, s12
; %bb.12:
	s_or_b32 exec_lo, exec_lo, s11
.LBB28_13:
	s_delay_alu instid0(SALU_CYCLE_1)
	s_or_b32 exec_lo, exec_lo, s10
.LBB28_14:
	s_delay_alu instid0(SALU_CYCLE_1)
	s_or_b32 exec_lo, exec_lo, s9
.LBB28_15:
	s_delay_alu instid0(SALU_CYCLE_1)
	s_or_b32 exec_lo, exec_lo, s6
.LBB28_16:
	s_delay_alu instid0(SALU_CYCLE_1)
	s_or_b32 exec_lo, exec_lo, s3
.LBB28_17:
	s_delay_alu instid0(SALU_CYCLE_1) | instskip(SKIP_2) | instid1(VALU_DEP_1)
	s_or_b32 exec_lo, exec_lo, s2
	v_mul_f32_e32 v10, v4, v10
	s_mov_b32 s2, exec_lo
	v_cmpx_nle_f32_e64 0x40a00000, |v10|
	s_cbranch_execz .LBB28_29
; %bb.18:
	v_mov_b32_e32 v9, 6
	s_mov_b32 s3, exec_lo
	v_cmpx_nle_f32_e64 0x40600000, |v10|
	s_cbranch_execz .LBB28_28
; %bb.19:
	v_mov_b32_e32 v9, 5
	;; [unrolled: 5-line block ×5, first 2 shown]
	s_mov_b32 s11, exec_lo
	v_cmpx_nle_f32_e64 0x3f400000, |v10|
; %bb.23:
	v_cmp_le_f32_e64 s12, 0x3e800000, |v10|
	s_delay_alu instid0(VALU_DEP_1)
	v_cndmask_b32_e64 v9, 0, 1, s12
; %bb.24:
	s_or_b32 exec_lo, exec_lo, s11
.LBB28_25:
	s_delay_alu instid0(SALU_CYCLE_1)
	s_or_b32 exec_lo, exec_lo, s10
.LBB28_26:
	s_delay_alu instid0(SALU_CYCLE_1)
	s_or_b32 exec_lo, exec_lo, s9
.LBB28_27:
	s_delay_alu instid0(SALU_CYCLE_1)
	s_or_b32 exec_lo, exec_lo, s6
.LBB28_28:
	s_delay_alu instid0(SALU_CYCLE_1)
	s_or_b32 exec_lo, exec_lo, s3
.LBB28_29:
	s_delay_alu instid0(SALU_CYCLE_1) | instskip(SKIP_3) | instid1(VALU_DEP_2)
	s_or_b32 exec_lo, exec_lo, s2
	v_dual_mul_f32 v12, v4, v11 :: v_dual_mov_b32 v11, 7
	v_mov_b32_e32 v13, 7
	s_mov_b32 s2, exec_lo
	v_cmpx_nle_f32_e64 0x40a00000, |v12|
	s_cbranch_execz .LBB28_41
; %bb.30:
	v_mov_b32_e32 v13, 6
	s_mov_b32 s3, exec_lo
	v_cmpx_nle_f32_e64 0x40600000, |v12|
	s_cbranch_execz .LBB28_40
; %bb.31:
	;; [unrolled: 5-line block ×5, first 2 shown]
	v_mov_b32_e32 v13, 2
	s_mov_b32 s11, exec_lo
	v_cmpx_nle_f32_e64 0x3f400000, |v12|
; %bb.35:
	v_cmp_le_f32_e64 s12, 0x3e800000, |v12|
	s_delay_alu instid0(VALU_DEP_1)
	v_cndmask_b32_e64 v13, 0, 1, s12
; %bb.36:
	s_or_b32 exec_lo, exec_lo, s11
.LBB28_37:
	s_delay_alu instid0(SALU_CYCLE_1)
	s_or_b32 exec_lo, exec_lo, s10
.LBB28_38:
	s_delay_alu instid0(SALU_CYCLE_1)
	s_or_b32 exec_lo, exec_lo, s9
.LBB28_39:
	s_delay_alu instid0(SALU_CYCLE_1)
	s_or_b32 exec_lo, exec_lo, s6
.LBB28_40:
	s_delay_alu instid0(SALU_CYCLE_1)
	s_or_b32 exec_lo, exec_lo, s3
.LBB28_41:
	s_delay_alu instid0(SALU_CYCLE_1) | instskip(SKIP_2) | instid1(VALU_DEP_1)
	s_or_b32 exec_lo, exec_lo, s2
	v_mul_f32_e32 v14, v4, v14
	s_mov_b32 s2, exec_lo
	v_cmpx_nle_f32_e64 0x40a00000, |v14|
	s_cbranch_execz .LBB28_53
; %bb.42:
	v_mov_b32_e32 v11, 6
	s_mov_b32 s3, exec_lo
	v_cmpx_nle_f32_e64 0x40600000, |v14|
	s_cbranch_execz .LBB28_52
; %bb.43:
	v_mov_b32_e32 v11, 5
	;; [unrolled: 5-line block ×5, first 2 shown]
	s_mov_b32 s11, exec_lo
	v_cmpx_nle_f32_e64 0x3f400000, |v14|
; %bb.47:
	v_cmp_le_f32_e64 s12, 0x3e800000, |v14|
	s_delay_alu instid0(VALU_DEP_1)
	v_cndmask_b32_e64 v11, 0, 1, s12
; %bb.48:
	s_or_b32 exec_lo, exec_lo, s11
.LBB28_49:
	s_delay_alu instid0(SALU_CYCLE_1)
	s_or_b32 exec_lo, exec_lo, s10
.LBB28_50:
	s_delay_alu instid0(SALU_CYCLE_1)
	s_or_b32 exec_lo, exec_lo, s9
.LBB28_51:
	s_delay_alu instid0(SALU_CYCLE_1)
	s_or_b32 exec_lo, exec_lo, s6
.LBB28_52:
	s_delay_alu instid0(SALU_CYCLE_1)
	s_or_b32 exec_lo, exec_lo, s3
.LBB28_53:
	s_delay_alu instid0(SALU_CYCLE_1) | instskip(SKIP_3) | instid1(VALU_DEP_2)
	s_or_b32 exec_lo, exec_lo, s2
	v_dual_mul_f32 v17, v4, v15 :: v_dual_mov_b32 v16, 7
	v_mov_b32_e32 v15, 7
	s_mov_b32 s2, exec_lo
	v_cmpx_nle_f32_e64 0x40a00000, |v17|
	s_cbranch_execz .LBB28_65
; %bb.54:
	v_mov_b32_e32 v16, 6
	s_mov_b32 s3, exec_lo
	v_cmpx_nle_f32_e64 0x40600000, |v17|
	s_cbranch_execz .LBB28_64
; %bb.55:
	;; [unrolled: 5-line block ×5, first 2 shown]
	v_mov_b32_e32 v16, 2
	s_mov_b32 s11, exec_lo
	v_cmpx_nle_f32_e64 0x3f400000, |v17|
; %bb.59:
	v_cmp_le_f32_e64 s12, 0x3e800000, |v17|
	s_delay_alu instid0(VALU_DEP_1)
	v_cndmask_b32_e64 v16, 0, 1, s12
; %bb.60:
	s_or_b32 exec_lo, exec_lo, s11
.LBB28_61:
	s_delay_alu instid0(SALU_CYCLE_1)
	s_or_b32 exec_lo, exec_lo, s10
.LBB28_62:
	s_delay_alu instid0(SALU_CYCLE_1)
	s_or_b32 exec_lo, exec_lo, s9
.LBB28_63:
	s_delay_alu instid0(SALU_CYCLE_1)
	s_or_b32 exec_lo, exec_lo, s6
.LBB28_64:
	s_delay_alu instid0(SALU_CYCLE_1)
	s_or_b32 exec_lo, exec_lo, s3
.LBB28_65:
	s_delay_alu instid0(SALU_CYCLE_1) | instskip(SKIP_2) | instid1(VALU_DEP_1)
	s_or_b32 exec_lo, exec_lo, s2
	v_mul_f32_e32 v19, v4, v19
	s_mov_b32 s2, exec_lo
	v_cmpx_nle_f32_e64 0x40a00000, |v19|
	s_cbranch_execz .LBB28_77
; %bb.66:
	v_mov_b32_e32 v15, 6
	s_mov_b32 s3, exec_lo
	v_cmpx_nle_f32_e64 0x40600000, |v19|
	s_cbranch_execz .LBB28_76
; %bb.67:
	v_mov_b32_e32 v15, 5
	;; [unrolled: 5-line block ×5, first 2 shown]
	s_mov_b32 s11, exec_lo
	v_cmpx_nle_f32_e64 0x3f400000, |v19|
; %bb.71:
	v_cmp_le_f32_e64 s12, 0x3e800000, |v19|
	s_delay_alu instid0(VALU_DEP_1)
	v_cndmask_b32_e64 v15, 0, 1, s12
; %bb.72:
	s_or_b32 exec_lo, exec_lo, s11
.LBB28_73:
	s_delay_alu instid0(SALU_CYCLE_1)
	s_or_b32 exec_lo, exec_lo, s10
.LBB28_74:
	s_delay_alu instid0(SALU_CYCLE_1)
	s_or_b32 exec_lo, exec_lo, s9
.LBB28_75:
	s_delay_alu instid0(SALU_CYCLE_1)
	s_or_b32 exec_lo, exec_lo, s6
.LBB28_76:
	s_delay_alu instid0(SALU_CYCLE_1)
	s_or_b32 exec_lo, exec_lo, s3
.LBB28_77:
	s_delay_alu instid0(SALU_CYCLE_1) | instskip(SKIP_3) | instid1(VALU_DEP_2)
	s_or_b32 exec_lo, exec_lo, s2
	v_dual_mul_f32 v24, v4, v21 :: v_dual_mov_b32 v21, 7
	v_mov_b32_e32 v22, 7
	s_mov_b32 s2, exec_lo
	v_cmpx_nle_f32_e64 0x40a00000, |v24|
	s_cbranch_execz .LBB28_89
; %bb.78:
	v_mov_b32_e32 v22, 6
	s_mov_b32 s3, exec_lo
	v_cmpx_nle_f32_e64 0x40600000, |v24|
	s_cbranch_execz .LBB28_88
; %bb.79:
	;; [unrolled: 5-line block ×5, first 2 shown]
	v_mov_b32_e32 v22, 2
	s_mov_b32 s11, exec_lo
	v_cmpx_nle_f32_e64 0x3f400000, |v24|
; %bb.83:
	v_cmp_le_f32_e64 s12, 0x3e800000, |v24|
	s_delay_alu instid0(VALU_DEP_1)
	v_cndmask_b32_e64 v22, 0, 1, s12
; %bb.84:
	s_or_b32 exec_lo, exec_lo, s11
.LBB28_85:
	s_delay_alu instid0(SALU_CYCLE_1)
	s_or_b32 exec_lo, exec_lo, s10
.LBB28_86:
	s_delay_alu instid0(SALU_CYCLE_1)
	s_or_b32 exec_lo, exec_lo, s9
.LBB28_87:
	s_delay_alu instid0(SALU_CYCLE_1)
	s_or_b32 exec_lo, exec_lo, s6
.LBB28_88:
	s_delay_alu instid0(SALU_CYCLE_1)
	s_or_b32 exec_lo, exec_lo, s3
.LBB28_89:
	s_delay_alu instid0(SALU_CYCLE_1) | instskip(SKIP_2) | instid1(VALU_DEP_1)
	s_or_b32 exec_lo, exec_lo, s2
	v_mul_f32_e32 v25, v4, v25
	s_mov_b32 s2, exec_lo
	v_cmpx_nle_f32_e64 0x40a00000, |v25|
	s_cbranch_execz .LBB28_101
; %bb.90:
	v_mov_b32_e32 v21, 6
	s_mov_b32 s3, exec_lo
	v_cmpx_nle_f32_e64 0x40600000, |v25|
	s_cbranch_execz .LBB28_100
; %bb.91:
	v_mov_b32_e32 v21, 5
	s_mov_b32 s6, exec_lo
	v_cmpx_nle_f32_e64 0x40200000, |v25|
	s_cbranch_execz .LBB28_99
; %bb.92:
	v_mov_b32_e32 v21, 4
	s_mov_b32 s9, exec_lo
	v_cmpx_nle_f32_e64 0x3fe00000, |v25|
	s_cbranch_execz .LBB28_98
; %bb.93:
	v_mov_b32_e32 v21, 3
	s_mov_b32 s10, exec_lo
	v_cmpx_nle_f32_e64 0x3fa00000, |v25|
	s_cbranch_execz .LBB28_97
; %bb.94:
	v_mov_b32_e32 v21, 2
	s_mov_b32 s11, exec_lo
	v_cmpx_nle_f32_e64 0x3f400000, |v25|
; %bb.95:
	v_cmp_le_f32_e64 s12, 0x3e800000, |v25|
	s_delay_alu instid0(VALU_DEP_1)
	v_cndmask_b32_e64 v21, 0, 1, s12
; %bb.96:
	s_or_b32 exec_lo, exec_lo, s11
.LBB28_97:
	s_delay_alu instid0(SALU_CYCLE_1)
	s_or_b32 exec_lo, exec_lo, s10
.LBB28_98:
	s_delay_alu instid0(SALU_CYCLE_1)
	s_or_b32 exec_lo, exec_lo, s9
.LBB28_99:
	s_delay_alu instid0(SALU_CYCLE_1)
	s_or_b32 exec_lo, exec_lo, s6
.LBB28_100:
	s_delay_alu instid0(SALU_CYCLE_1)
	s_or_b32 exec_lo, exec_lo, s3
.LBB28_101:
	s_delay_alu instid0(SALU_CYCLE_1) | instskip(SKIP_3) | instid1(VALU_DEP_2)
	s_or_b32 exec_lo, exec_lo, s2
	v_dual_mul_f32 v29, v4, v27 :: v_dual_mov_b32 v30, 7
	v_mov_b32_e32 v27, 7
	s_mov_b32 s2, exec_lo
	v_cmpx_nle_f32_e64 0x40a00000, |v29|
	s_cbranch_execz .LBB28_113
; %bb.102:
	v_mov_b32_e32 v30, 6
	s_mov_b32 s3, exec_lo
	v_cmpx_nle_f32_e64 0x40600000, |v29|
	s_cbranch_execz .LBB28_112
; %bb.103:
	;; [unrolled: 5-line block ×5, first 2 shown]
	v_mov_b32_e32 v30, 2
	s_mov_b32 s11, exec_lo
	v_cmpx_nle_f32_e64 0x3f400000, |v29|
; %bb.107:
	v_cmp_le_f32_e64 s12, 0x3e800000, |v29|
	s_delay_alu instid0(VALU_DEP_1)
	v_cndmask_b32_e64 v30, 0, 1, s12
; %bb.108:
	s_or_b32 exec_lo, exec_lo, s11
.LBB28_109:
	s_delay_alu instid0(SALU_CYCLE_1)
	s_or_b32 exec_lo, exec_lo, s10
.LBB28_110:
	s_delay_alu instid0(SALU_CYCLE_1)
	s_or_b32 exec_lo, exec_lo, s9
.LBB28_111:
	s_delay_alu instid0(SALU_CYCLE_1)
	s_or_b32 exec_lo, exec_lo, s6
.LBB28_112:
	s_delay_alu instid0(SALU_CYCLE_1)
	s_or_b32 exec_lo, exec_lo, s3
.LBB28_113:
	s_delay_alu instid0(SALU_CYCLE_1) | instskip(SKIP_2) | instid1(VALU_DEP_1)
	s_or_b32 exec_lo, exec_lo, s2
	v_mul_f32_e32 v31, v4, v31
	s_mov_b32 s2, exec_lo
	v_cmpx_nle_f32_e64 0x40a00000, |v31|
	s_cbranch_execz .LBB28_125
; %bb.114:
	v_mov_b32_e32 v27, 6
	s_mov_b32 s3, exec_lo
	v_cmpx_nle_f32_e64 0x40600000, |v31|
	s_cbranch_execz .LBB28_124
; %bb.115:
	v_mov_b32_e32 v27, 5
	s_mov_b32 s6, exec_lo
	v_cmpx_nle_f32_e64 0x40200000, |v31|
	s_cbranch_execz .LBB28_123
; %bb.116:
	v_mov_b32_e32 v27, 4
	s_mov_b32 s9, exec_lo
	v_cmpx_nle_f32_e64 0x3fe00000, |v31|
	s_cbranch_execz .LBB28_122
; %bb.117:
	v_mov_b32_e32 v27, 3
	s_mov_b32 s10, exec_lo
	v_cmpx_nle_f32_e64 0x3fa00000, |v31|
	s_cbranch_execz .LBB28_121
; %bb.118:
	v_mov_b32_e32 v27, 2
	s_mov_b32 s11, exec_lo
	v_cmpx_nle_f32_e64 0x3f400000, |v31|
; %bb.119:
	v_cmp_le_f32_e64 s12, 0x3e800000, |v31|
	s_delay_alu instid0(VALU_DEP_1)
	v_cndmask_b32_e64 v27, 0, 1, s12
; %bb.120:
	s_or_b32 exec_lo, exec_lo, s11
.LBB28_121:
	s_delay_alu instid0(SALU_CYCLE_1)
	s_or_b32 exec_lo, exec_lo, s10
.LBB28_122:
	s_delay_alu instid0(SALU_CYCLE_1)
	s_or_b32 exec_lo, exec_lo, s9
.LBB28_123:
	s_delay_alu instid0(SALU_CYCLE_1)
	s_or_b32 exec_lo, exec_lo, s6
.LBB28_124:
	s_delay_alu instid0(SALU_CYCLE_1)
	s_or_b32 exec_lo, exec_lo, s3
.LBB28_125:
	s_delay_alu instid0(SALU_CYCLE_1) | instskip(SKIP_4) | instid1(VALU_DEP_3)
	s_or_b32 exec_lo, exec_lo, s2
	v_mul_f32_e32 v35, v4, v33
	v_mov_b32_e32 v33, 7
	v_mov_b32_e32 v37, 7
	s_mov_b32 s2, exec_lo
	v_cmpx_nle_f32_e64 0x40a00000, |v35|
	s_cbranch_execz .LBB28_137
; %bb.126:
	v_mov_b32_e32 v37, 6
	s_mov_b32 s3, exec_lo
	v_cmpx_nle_f32_e64 0x40600000, |v35|
	s_cbranch_execz .LBB28_136
; %bb.127:
	;; [unrolled: 5-line block ×5, first 2 shown]
	v_mov_b32_e32 v37, 2
	s_mov_b32 s11, exec_lo
	v_cmpx_nle_f32_e64 0x3f400000, |v35|
; %bb.131:
	v_cmp_le_f32_e64 s12, 0x3e800000, |v35|
	s_delay_alu instid0(VALU_DEP_1)
	v_cndmask_b32_e64 v37, 0, 1, s12
; %bb.132:
	s_or_b32 exec_lo, exec_lo, s11
.LBB28_133:
	s_delay_alu instid0(SALU_CYCLE_1)
	s_or_b32 exec_lo, exec_lo, s10
.LBB28_134:
	s_delay_alu instid0(SALU_CYCLE_1)
	s_or_b32 exec_lo, exec_lo, s9
.LBB28_135:
	s_delay_alu instid0(SALU_CYCLE_1)
	s_or_b32 exec_lo, exec_lo, s6
.LBB28_136:
	s_delay_alu instid0(SALU_CYCLE_1)
	s_or_b32 exec_lo, exec_lo, s3
.LBB28_137:
	s_delay_alu instid0(SALU_CYCLE_1) | instskip(SKIP_2) | instid1(VALU_DEP_1)
	s_or_b32 exec_lo, exec_lo, s2
	v_mul_f32_e32 v36, v4, v36
	s_mov_b32 s2, exec_lo
	v_cmpx_nle_f32_e64 0x40a00000, |v36|
	s_cbranch_execz .LBB28_149
; %bb.138:
	v_mov_b32_e32 v33, 6
	s_mov_b32 s3, exec_lo
	v_cmpx_nle_f32_e64 0x40600000, |v36|
	s_cbranch_execz .LBB28_148
; %bb.139:
	v_mov_b32_e32 v33, 5
	;; [unrolled: 5-line block ×5, first 2 shown]
	s_mov_b32 s11, exec_lo
	v_cmpx_nle_f32_e64 0x3f400000, |v36|
; %bb.143:
	v_cmp_le_f32_e64 s12, 0x3e800000, |v36|
	s_delay_alu instid0(VALU_DEP_1)
	v_cndmask_b32_e64 v33, 0, 1, s12
; %bb.144:
	s_or_b32 exec_lo, exec_lo, s11
.LBB28_145:
	s_delay_alu instid0(SALU_CYCLE_1)
	s_or_b32 exec_lo, exec_lo, s10
.LBB28_146:
	s_delay_alu instid0(SALU_CYCLE_1)
	s_or_b32 exec_lo, exec_lo, s9
.LBB28_147:
	s_delay_alu instid0(SALU_CYCLE_1)
	s_or_b32 exec_lo, exec_lo, s6
.LBB28_148:
	s_delay_alu instid0(SALU_CYCLE_1)
	s_or_b32 exec_lo, exec_lo, s3
.LBB28_149:
	s_delay_alu instid0(SALU_CYCLE_1) | instskip(SKIP_3) | instid1(VALU_DEP_2)
	s_or_b32 exec_lo, exec_lo, s2
	v_dual_mul_f32 v43, v4, v39 :: v_dual_mov_b32 v42, 7
	v_mov_b32_e32 v39, 7
	s_mov_b32 s2, exec_lo
	v_cmpx_nle_f32_e64 0x40a00000, |v43|
	s_cbranch_execz .LBB28_161
; %bb.150:
	v_mov_b32_e32 v42, 6
	s_mov_b32 s3, exec_lo
	v_cmpx_nle_f32_e64 0x40600000, |v43|
	s_cbranch_execz .LBB28_160
; %bb.151:
	;; [unrolled: 5-line block ×5, first 2 shown]
	v_mov_b32_e32 v42, 2
	s_mov_b32 s11, exec_lo
	v_cmpx_nle_f32_e64 0x3f400000, |v43|
; %bb.155:
	v_cmp_le_f32_e64 s12, 0x3e800000, |v43|
	s_delay_alu instid0(VALU_DEP_1)
	v_cndmask_b32_e64 v42, 0, 1, s12
; %bb.156:
	s_or_b32 exec_lo, exec_lo, s11
.LBB28_157:
	s_delay_alu instid0(SALU_CYCLE_1)
	s_or_b32 exec_lo, exec_lo, s10
.LBB28_158:
	s_delay_alu instid0(SALU_CYCLE_1)
	s_or_b32 exec_lo, exec_lo, s9
.LBB28_159:
	s_delay_alu instid0(SALU_CYCLE_1)
	s_or_b32 exec_lo, exec_lo, s6
.LBB28_160:
	s_delay_alu instid0(SALU_CYCLE_1)
	s_or_b32 exec_lo, exec_lo, s3
.LBB28_161:
	s_delay_alu instid0(SALU_CYCLE_1) | instskip(SKIP_2) | instid1(VALU_DEP_1)
	s_or_b32 exec_lo, exec_lo, s2
	v_mul_f32_e32 v41, v4, v41
	s_mov_b32 s2, exec_lo
	v_cmpx_nle_f32_e64 0x40a00000, |v41|
	s_cbranch_execz .LBB28_173
; %bb.162:
	v_mov_b32_e32 v39, 6
	s_mov_b32 s3, exec_lo
	v_cmpx_nle_f32_e64 0x40600000, |v41|
	s_cbranch_execz .LBB28_172
; %bb.163:
	v_mov_b32_e32 v39, 5
	;; [unrolled: 5-line block ×5, first 2 shown]
	s_mov_b32 s11, exec_lo
	v_cmpx_nle_f32_e64 0x3f400000, |v41|
; %bb.167:
	v_cmp_le_f32_e64 s12, 0x3e800000, |v41|
	s_delay_alu instid0(VALU_DEP_1)
	v_cndmask_b32_e64 v39, 0, 1, s12
; %bb.168:
	s_or_b32 exec_lo, exec_lo, s11
.LBB28_169:
	s_delay_alu instid0(SALU_CYCLE_1)
	s_or_b32 exec_lo, exec_lo, s10
.LBB28_170:
	s_delay_alu instid0(SALU_CYCLE_1)
	s_or_b32 exec_lo, exec_lo, s9
.LBB28_171:
	s_delay_alu instid0(SALU_CYCLE_1)
	s_or_b32 exec_lo, exec_lo, s6
.LBB28_172:
	s_delay_alu instid0(SALU_CYCLE_1)
	s_or_b32 exec_lo, exec_lo, s3
.LBB28_173:
	s_delay_alu instid0(SALU_CYCLE_1) | instskip(SKIP_3) | instid1(VALU_DEP_2)
	s_or_b32 exec_lo, exec_lo, s2
	v_dual_mul_f32 v49, v4, v45 :: v_dual_mov_b32 v48, 7
	v_mov_b32_e32 v45, 7
	s_mov_b32 s2, exec_lo
	v_cmpx_nle_f32_e64 0x40a00000, |v49|
	s_cbranch_execz .LBB28_185
; %bb.174:
	v_mov_b32_e32 v48, 6
	s_mov_b32 s3, exec_lo
	v_cmpx_nle_f32_e64 0x40600000, |v49|
	s_cbranch_execz .LBB28_184
; %bb.175:
	v_mov_b32_e32 v48, 5
	s_mov_b32 s6, exec_lo
	v_cmpx_nle_f32_e64 0x40200000, |v49|
	s_cbranch_execz .LBB28_183
; %bb.176:
	v_mov_b32_e32 v48, 4
	s_mov_b32 s9, exec_lo
	v_cmpx_nle_f32_e64 0x3fe00000, |v49|
	s_cbranch_execz .LBB28_182
; %bb.177:
	v_mov_b32_e32 v48, 3
	s_mov_b32 s10, exec_lo
	v_cmpx_nle_f32_e64 0x3fa00000, |v49|
	s_cbranch_execz .LBB28_181
; %bb.178:
	v_mov_b32_e32 v48, 2
	s_mov_b32 s11, exec_lo
	v_cmpx_nle_f32_e64 0x3f400000, |v49|
; %bb.179:
	v_cmp_le_f32_e64 s12, 0x3e800000, |v49|
	s_delay_alu instid0(VALU_DEP_1)
	v_cndmask_b32_e64 v48, 0, 1, s12
; %bb.180:
	s_or_b32 exec_lo, exec_lo, s11
.LBB28_181:
	s_delay_alu instid0(SALU_CYCLE_1)
	s_or_b32 exec_lo, exec_lo, s10
.LBB28_182:
	s_delay_alu instid0(SALU_CYCLE_1)
	s_or_b32 exec_lo, exec_lo, s9
.LBB28_183:
	s_delay_alu instid0(SALU_CYCLE_1)
	s_or_b32 exec_lo, exec_lo, s6
.LBB28_184:
	s_delay_alu instid0(SALU_CYCLE_1)
	s_or_b32 exec_lo, exec_lo, s3
.LBB28_185:
	s_delay_alu instid0(SALU_CYCLE_1) | instskip(SKIP_2) | instid1(VALU_DEP_1)
	s_or_b32 exec_lo, exec_lo, s2
	v_mul_f32_e32 v47, v4, v47
	s_mov_b32 s2, exec_lo
	v_cmpx_nle_f32_e64 0x40a00000, |v47|
	s_cbranch_execz .LBB28_197
; %bb.186:
	v_mov_b32_e32 v45, 6
	s_mov_b32 s3, exec_lo
	v_cmpx_nle_f32_e64 0x40600000, |v47|
	s_cbranch_execz .LBB28_196
; %bb.187:
	v_mov_b32_e32 v45, 5
	s_mov_b32 s6, exec_lo
	v_cmpx_nle_f32_e64 0x40200000, |v47|
	s_cbranch_execz .LBB28_195
; %bb.188:
	v_mov_b32_e32 v45, 4
	s_mov_b32 s9, exec_lo
	v_cmpx_nle_f32_e64 0x3fe00000, |v47|
	s_cbranch_execz .LBB28_194
; %bb.189:
	v_mov_b32_e32 v45, 3
	s_mov_b32 s10, exec_lo
	v_cmpx_nle_f32_e64 0x3fa00000, |v47|
	s_cbranch_execz .LBB28_193
; %bb.190:
	v_mov_b32_e32 v45, 2
	s_mov_b32 s11, exec_lo
	v_cmpx_nle_f32_e64 0x3f400000, |v47|
; %bb.191:
	v_cmp_le_f32_e64 s12, 0x3e800000, |v47|
	s_delay_alu instid0(VALU_DEP_1)
	v_cndmask_b32_e64 v45, 0, 1, s12
; %bb.192:
	s_or_b32 exec_lo, exec_lo, s11
.LBB28_193:
	s_delay_alu instid0(SALU_CYCLE_1)
	s_or_b32 exec_lo, exec_lo, s10
.LBB28_194:
	s_delay_alu instid0(SALU_CYCLE_1)
	s_or_b32 exec_lo, exec_lo, s9
.LBB28_195:
	s_delay_alu instid0(SALU_CYCLE_1)
	s_or_b32 exec_lo, exec_lo, s6
.LBB28_196:
	s_delay_alu instid0(SALU_CYCLE_1)
	s_or_b32 exec_lo, exec_lo, s3
.LBB28_197:
	s_delay_alu instid0(SALU_CYCLE_1) | instskip(SKIP_3) | instid1(VALU_DEP_2)
	s_or_b32 exec_lo, exec_lo, s2
	v_dual_mul_f32 v55, v4, v51 :: v_dual_mov_b32 v54, 7
	v_mov_b32_e32 v51, 7
	s_mov_b32 s2, exec_lo
	v_cmpx_nle_f32_e64 0x40a00000, |v55|
	s_cbranch_execz .LBB28_209
; %bb.198:
	v_mov_b32_e32 v54, 6
	s_mov_b32 s3, exec_lo
	v_cmpx_nle_f32_e64 0x40600000, |v55|
	s_cbranch_execz .LBB28_208
; %bb.199:
	;; [unrolled: 5-line block ×5, first 2 shown]
	v_mov_b32_e32 v54, 2
	s_mov_b32 s11, exec_lo
	v_cmpx_nle_f32_e64 0x3f400000, |v55|
; %bb.203:
	v_cmp_le_f32_e64 s12, 0x3e800000, |v55|
	s_delay_alu instid0(VALU_DEP_1)
	v_cndmask_b32_e64 v54, 0, 1, s12
; %bb.204:
	s_or_b32 exec_lo, exec_lo, s11
.LBB28_205:
	s_delay_alu instid0(SALU_CYCLE_1)
	s_or_b32 exec_lo, exec_lo, s10
.LBB28_206:
	s_delay_alu instid0(SALU_CYCLE_1)
	s_or_b32 exec_lo, exec_lo, s9
.LBB28_207:
	s_delay_alu instid0(SALU_CYCLE_1)
	s_or_b32 exec_lo, exec_lo, s6
.LBB28_208:
	s_delay_alu instid0(SALU_CYCLE_1)
	s_or_b32 exec_lo, exec_lo, s3
.LBB28_209:
	s_delay_alu instid0(SALU_CYCLE_1) | instskip(SKIP_2) | instid1(VALU_DEP_1)
	s_or_b32 exec_lo, exec_lo, s2
	v_mul_f32_e32 v53, v4, v53
	s_mov_b32 s2, exec_lo
	v_cmpx_nle_f32_e64 0x40a00000, |v53|
	s_cbranch_execz .LBB28_221
; %bb.210:
	v_mov_b32_e32 v51, 6
	s_mov_b32 s3, exec_lo
	v_cmpx_nle_f32_e64 0x40600000, |v53|
	s_cbranch_execz .LBB28_220
; %bb.211:
	v_mov_b32_e32 v51, 5
	;; [unrolled: 5-line block ×5, first 2 shown]
	s_mov_b32 s11, exec_lo
	v_cmpx_nle_f32_e64 0x3f400000, |v53|
; %bb.215:
	v_cmp_le_f32_e64 s12, 0x3e800000, |v53|
	s_delay_alu instid0(VALU_DEP_1)
	v_cndmask_b32_e64 v51, 0, 1, s12
; %bb.216:
	s_or_b32 exec_lo, exec_lo, s11
.LBB28_217:
	s_delay_alu instid0(SALU_CYCLE_1)
	s_or_b32 exec_lo, exec_lo, s10
.LBB28_218:
	s_delay_alu instid0(SALU_CYCLE_1)
	s_or_b32 exec_lo, exec_lo, s9
.LBB28_219:
	s_delay_alu instid0(SALU_CYCLE_1)
	s_or_b32 exec_lo, exec_lo, s6
.LBB28_220:
	s_delay_alu instid0(SALU_CYCLE_1)
	s_or_b32 exec_lo, exec_lo, s3
.LBB28_221:
	s_delay_alu instid0(SALU_CYCLE_1) | instskip(SKIP_3) | instid1(VALU_DEP_2)
	s_or_b32 exec_lo, exec_lo, s2
	v_dual_mul_f32 v56, v4, v52 :: v_dual_mov_b32 v57, 7
	v_mov_b32_e32 v52, 7
	s_mov_b32 s2, exec_lo
	v_cmpx_nle_f32_e64 0x40a00000, |v56|
	s_cbranch_execz .LBB28_233
; %bb.222:
	v_mov_b32_e32 v57, 6
	s_mov_b32 s3, exec_lo
	v_cmpx_nle_f32_e64 0x40600000, |v56|
	s_cbranch_execz .LBB28_232
; %bb.223:
	;; [unrolled: 5-line block ×5, first 2 shown]
	v_mov_b32_e32 v57, 2
	s_mov_b32 s11, exec_lo
	v_cmpx_nle_f32_e64 0x3f400000, |v56|
; %bb.227:
	v_cmp_le_f32_e64 s12, 0x3e800000, |v56|
	s_delay_alu instid0(VALU_DEP_1)
	v_cndmask_b32_e64 v57, 0, 1, s12
; %bb.228:
	s_or_b32 exec_lo, exec_lo, s11
.LBB28_229:
	s_delay_alu instid0(SALU_CYCLE_1)
	s_or_b32 exec_lo, exec_lo, s10
.LBB28_230:
	s_delay_alu instid0(SALU_CYCLE_1)
	s_or_b32 exec_lo, exec_lo, s9
.LBB28_231:
	s_delay_alu instid0(SALU_CYCLE_1)
	s_or_b32 exec_lo, exec_lo, s6
.LBB28_232:
	s_delay_alu instid0(SALU_CYCLE_1)
	s_or_b32 exec_lo, exec_lo, s3
.LBB28_233:
	s_delay_alu instid0(SALU_CYCLE_1) | instskip(SKIP_2) | instid1(VALU_DEP_1)
	s_or_b32 exec_lo, exec_lo, s2
	v_mul_f32_e32 v50, v4, v50
	s_mov_b32 s2, exec_lo
	v_cmpx_nle_f32_e64 0x40a00000, |v50|
	s_cbranch_execz .LBB28_245
; %bb.234:
	v_mov_b32_e32 v52, 6
	s_mov_b32 s3, exec_lo
	v_cmpx_nle_f32_e64 0x40600000, |v50|
	s_cbranch_execz .LBB28_244
; %bb.235:
	v_mov_b32_e32 v52, 5
	;; [unrolled: 5-line block ×5, first 2 shown]
	s_mov_b32 s11, exec_lo
	v_cmpx_nle_f32_e64 0x3f400000, |v50|
; %bb.239:
	v_cmp_le_f32_e64 s12, 0x3e800000, |v50|
	s_delay_alu instid0(VALU_DEP_1)
	v_cndmask_b32_e64 v52, 0, 1, s12
; %bb.240:
	s_or_b32 exec_lo, exec_lo, s11
.LBB28_241:
	s_delay_alu instid0(SALU_CYCLE_1)
	s_or_b32 exec_lo, exec_lo, s10
.LBB28_242:
	s_delay_alu instid0(SALU_CYCLE_1)
	s_or_b32 exec_lo, exec_lo, s9
.LBB28_243:
	s_delay_alu instid0(SALU_CYCLE_1)
	s_or_b32 exec_lo, exec_lo, s6
.LBB28_244:
	s_delay_alu instid0(SALU_CYCLE_1)
	s_or_b32 exec_lo, exec_lo, s3
.LBB28_245:
	s_delay_alu instid0(SALU_CYCLE_1) | instskip(SKIP_3) | instid1(VALU_DEP_2)
	s_or_b32 exec_lo, exec_lo, s2
	v_dual_mul_f32 v58, v4, v46 :: v_dual_mov_b32 v59, 7
	v_mov_b32_e32 v46, 7
	s_mov_b32 s2, exec_lo
	v_cmpx_nle_f32_e64 0x40a00000, |v58|
	s_cbranch_execz .LBB28_257
; %bb.246:
	v_mov_b32_e32 v59, 6
	s_mov_b32 s3, exec_lo
	v_cmpx_nle_f32_e64 0x40600000, |v58|
	s_cbranch_execz .LBB28_256
; %bb.247:
	;; [unrolled: 5-line block ×5, first 2 shown]
	v_mov_b32_e32 v59, 2
	s_mov_b32 s11, exec_lo
	v_cmpx_nle_f32_e64 0x3f400000, |v58|
; %bb.251:
	v_cmp_le_f32_e64 s12, 0x3e800000, |v58|
	s_delay_alu instid0(VALU_DEP_1)
	v_cndmask_b32_e64 v59, 0, 1, s12
; %bb.252:
	s_or_b32 exec_lo, exec_lo, s11
.LBB28_253:
	s_delay_alu instid0(SALU_CYCLE_1)
	s_or_b32 exec_lo, exec_lo, s10
.LBB28_254:
	s_delay_alu instid0(SALU_CYCLE_1)
	s_or_b32 exec_lo, exec_lo, s9
.LBB28_255:
	s_delay_alu instid0(SALU_CYCLE_1)
	s_or_b32 exec_lo, exec_lo, s6
.LBB28_256:
	s_delay_alu instid0(SALU_CYCLE_1)
	s_or_b32 exec_lo, exec_lo, s3
.LBB28_257:
	s_delay_alu instid0(SALU_CYCLE_1) | instskip(SKIP_2) | instid1(VALU_DEP_1)
	s_or_b32 exec_lo, exec_lo, s2
	v_mul_f32_e32 v44, v4, v44
	s_mov_b32 s2, exec_lo
	v_cmpx_nle_f32_e64 0x40a00000, |v44|
	s_cbranch_execz .LBB28_269
; %bb.258:
	v_mov_b32_e32 v46, 6
	s_mov_b32 s3, exec_lo
	v_cmpx_nle_f32_e64 0x40600000, |v44|
	s_cbranch_execz .LBB28_268
; %bb.259:
	v_mov_b32_e32 v46, 5
	;; [unrolled: 5-line block ×5, first 2 shown]
	s_mov_b32 s11, exec_lo
	v_cmpx_nle_f32_e64 0x3f400000, |v44|
; %bb.263:
	v_cmp_le_f32_e64 s12, 0x3e800000, |v44|
	s_delay_alu instid0(VALU_DEP_1)
	v_cndmask_b32_e64 v46, 0, 1, s12
; %bb.264:
	s_or_b32 exec_lo, exec_lo, s11
.LBB28_265:
	s_delay_alu instid0(SALU_CYCLE_1)
	s_or_b32 exec_lo, exec_lo, s10
.LBB28_266:
	s_delay_alu instid0(SALU_CYCLE_1)
	s_or_b32 exec_lo, exec_lo, s9
.LBB28_267:
	s_delay_alu instid0(SALU_CYCLE_1)
	s_or_b32 exec_lo, exec_lo, s6
.LBB28_268:
	s_delay_alu instid0(SALU_CYCLE_1)
	s_or_b32 exec_lo, exec_lo, s3
.LBB28_269:
	s_delay_alu instid0(SALU_CYCLE_1) | instskip(SKIP_3) | instid1(VALU_DEP_2)
	s_or_b32 exec_lo, exec_lo, s2
	v_dual_mul_f32 v61, v4, v40 :: v_dual_mov_b32 v40, 7
	v_mov_b32_e32 v60, 7
	s_mov_b32 s2, exec_lo
	v_cmpx_nle_f32_e64 0x40a00000, |v61|
	s_cbranch_execz .LBB28_281
; %bb.270:
	v_mov_b32_e32 v60, 6
	s_mov_b32 s3, exec_lo
	v_cmpx_nle_f32_e64 0x40600000, |v61|
	s_cbranch_execz .LBB28_280
; %bb.271:
	;; [unrolled: 5-line block ×5, first 2 shown]
	v_mov_b32_e32 v60, 2
	s_mov_b32 s11, exec_lo
	v_cmpx_nle_f32_e64 0x3f400000, |v61|
; %bb.275:
	v_cmp_le_f32_e64 s12, 0x3e800000, |v61|
	s_delay_alu instid0(VALU_DEP_1)
	v_cndmask_b32_e64 v60, 0, 1, s12
; %bb.276:
	s_or_b32 exec_lo, exec_lo, s11
.LBB28_277:
	s_delay_alu instid0(SALU_CYCLE_1)
	s_or_b32 exec_lo, exec_lo, s10
.LBB28_278:
	s_delay_alu instid0(SALU_CYCLE_1)
	s_or_b32 exec_lo, exec_lo, s9
.LBB28_279:
	s_delay_alu instid0(SALU_CYCLE_1)
	s_or_b32 exec_lo, exec_lo, s6
.LBB28_280:
	s_delay_alu instid0(SALU_CYCLE_1)
	s_or_b32 exec_lo, exec_lo, s3
.LBB28_281:
	s_delay_alu instid0(SALU_CYCLE_1) | instskip(SKIP_2) | instid1(VALU_DEP_1)
	s_or_b32 exec_lo, exec_lo, s2
	v_mul_f32_e32 v38, v4, v38
	s_mov_b32 s2, exec_lo
	v_cmpx_nle_f32_e64 0x40a00000, |v38|
	s_cbranch_execz .LBB28_293
; %bb.282:
	v_mov_b32_e32 v40, 6
	s_mov_b32 s3, exec_lo
	v_cmpx_nle_f32_e64 0x40600000, |v38|
	s_cbranch_execz .LBB28_292
; %bb.283:
	v_mov_b32_e32 v40, 5
	s_mov_b32 s6, exec_lo
	v_cmpx_nle_f32_e64 0x40200000, |v38|
	s_cbranch_execz .LBB28_291
; %bb.284:
	v_mov_b32_e32 v40, 4
	s_mov_b32 s9, exec_lo
	v_cmpx_nle_f32_e64 0x3fe00000, |v38|
	s_cbranch_execz .LBB28_290
; %bb.285:
	v_mov_b32_e32 v40, 3
	s_mov_b32 s10, exec_lo
	v_cmpx_nle_f32_e64 0x3fa00000, |v38|
	s_cbranch_execz .LBB28_289
; %bb.286:
	v_mov_b32_e32 v40, 2
	s_mov_b32 s11, exec_lo
	v_cmpx_nle_f32_e64 0x3f400000, |v38|
; %bb.287:
	v_cmp_le_f32_e64 s12, 0x3e800000, |v38|
	s_delay_alu instid0(VALU_DEP_1)
	v_cndmask_b32_e64 v40, 0, 1, s12
; %bb.288:
	s_or_b32 exec_lo, exec_lo, s11
.LBB28_289:
	s_delay_alu instid0(SALU_CYCLE_1)
	s_or_b32 exec_lo, exec_lo, s10
.LBB28_290:
	s_delay_alu instid0(SALU_CYCLE_1)
	s_or_b32 exec_lo, exec_lo, s9
.LBB28_291:
	s_delay_alu instid0(SALU_CYCLE_1)
	s_or_b32 exec_lo, exec_lo, s6
.LBB28_292:
	s_delay_alu instid0(SALU_CYCLE_1)
	s_or_b32 exec_lo, exec_lo, s3
.LBB28_293:
	s_delay_alu instid0(SALU_CYCLE_1) | instskip(SKIP_3) | instid1(VALU_DEP_2)
	s_or_b32 exec_lo, exec_lo, s2
	v_dual_mul_f32 v63, v4, v34 :: v_dual_mov_b32 v34, 7
	v_mov_b32_e32 v62, 7
	s_mov_b32 s2, exec_lo
	v_cmpx_nle_f32_e64 0x40a00000, |v63|
	s_cbranch_execz .LBB28_305
; %bb.294:
	v_mov_b32_e32 v62, 6
	s_mov_b32 s3, exec_lo
	v_cmpx_nle_f32_e64 0x40600000, |v63|
	s_cbranch_execz .LBB28_304
; %bb.295:
	;; [unrolled: 5-line block ×5, first 2 shown]
	v_mov_b32_e32 v62, 2
	s_mov_b32 s11, exec_lo
	v_cmpx_nle_f32_e64 0x3f400000, |v63|
; %bb.299:
	v_cmp_le_f32_e64 s12, 0x3e800000, |v63|
	s_delay_alu instid0(VALU_DEP_1)
	v_cndmask_b32_e64 v62, 0, 1, s12
; %bb.300:
	s_or_b32 exec_lo, exec_lo, s11
.LBB28_301:
	s_delay_alu instid0(SALU_CYCLE_1)
	s_or_b32 exec_lo, exec_lo, s10
.LBB28_302:
	s_delay_alu instid0(SALU_CYCLE_1)
	s_or_b32 exec_lo, exec_lo, s9
.LBB28_303:
	s_delay_alu instid0(SALU_CYCLE_1)
	s_or_b32 exec_lo, exec_lo, s6
.LBB28_304:
	s_delay_alu instid0(SALU_CYCLE_1)
	s_or_b32 exec_lo, exec_lo, s3
.LBB28_305:
	s_delay_alu instid0(SALU_CYCLE_1) | instskip(SKIP_2) | instid1(VALU_DEP_1)
	s_or_b32 exec_lo, exec_lo, s2
	v_mul_f32_e32 v32, v4, v32
	s_mov_b32 s2, exec_lo
	v_cmpx_nle_f32_e64 0x40a00000, |v32|
	s_cbranch_execz .LBB28_317
; %bb.306:
	v_mov_b32_e32 v34, 6
	s_mov_b32 s3, exec_lo
	v_cmpx_nle_f32_e64 0x40600000, |v32|
	s_cbranch_execz .LBB28_316
; %bb.307:
	v_mov_b32_e32 v34, 5
	;; [unrolled: 5-line block ×5, first 2 shown]
	s_mov_b32 s11, exec_lo
	v_cmpx_nle_f32_e64 0x3f400000, |v32|
; %bb.311:
	v_cmp_le_f32_e64 s12, 0x3e800000, |v32|
	s_delay_alu instid0(VALU_DEP_1)
	v_cndmask_b32_e64 v34, 0, 1, s12
; %bb.312:
	s_or_b32 exec_lo, exec_lo, s11
.LBB28_313:
	s_delay_alu instid0(SALU_CYCLE_1)
	s_or_b32 exec_lo, exec_lo, s10
.LBB28_314:
	s_delay_alu instid0(SALU_CYCLE_1)
	s_or_b32 exec_lo, exec_lo, s9
.LBB28_315:
	s_delay_alu instid0(SALU_CYCLE_1)
	s_or_b32 exec_lo, exec_lo, s6
.LBB28_316:
	s_delay_alu instid0(SALU_CYCLE_1)
	s_or_b32 exec_lo, exec_lo, s3
.LBB28_317:
	s_delay_alu instid0(SALU_CYCLE_1) | instskip(SKIP_3) | instid1(VALU_DEP_2)
	s_or_b32 exec_lo, exec_lo, s2
	v_dual_mul_f32 v65, v4, v28 :: v_dual_mov_b32 v28, 7
	v_mov_b32_e32 v64, 7
	s_mov_b32 s2, exec_lo
	v_cmpx_nle_f32_e64 0x40a00000, |v65|
	s_cbranch_execz .LBB28_329
; %bb.318:
	v_mov_b32_e32 v64, 6
	s_mov_b32 s3, exec_lo
	v_cmpx_nle_f32_e64 0x40600000, |v65|
	s_cbranch_execz .LBB28_328
; %bb.319:
	;; [unrolled: 5-line block ×5, first 2 shown]
	v_mov_b32_e32 v64, 2
	s_mov_b32 s11, exec_lo
	v_cmpx_nle_f32_e64 0x3f400000, |v65|
; %bb.323:
	v_cmp_le_f32_e64 s12, 0x3e800000, |v65|
	s_delay_alu instid0(VALU_DEP_1)
	v_cndmask_b32_e64 v64, 0, 1, s12
; %bb.324:
	s_or_b32 exec_lo, exec_lo, s11
.LBB28_325:
	s_delay_alu instid0(SALU_CYCLE_1)
	s_or_b32 exec_lo, exec_lo, s10
.LBB28_326:
	s_delay_alu instid0(SALU_CYCLE_1)
	s_or_b32 exec_lo, exec_lo, s9
.LBB28_327:
	s_delay_alu instid0(SALU_CYCLE_1)
	s_or_b32 exec_lo, exec_lo, s6
.LBB28_328:
	s_delay_alu instid0(SALU_CYCLE_1)
	s_or_b32 exec_lo, exec_lo, s3
.LBB28_329:
	s_delay_alu instid0(SALU_CYCLE_1) | instskip(SKIP_2) | instid1(VALU_DEP_1)
	s_or_b32 exec_lo, exec_lo, s2
	v_mul_f32_e32 v26, v4, v26
	s_mov_b32 s2, exec_lo
	v_cmpx_nle_f32_e64 0x40a00000, |v26|
	s_cbranch_execz .LBB28_341
; %bb.330:
	v_mov_b32_e32 v28, 6
	s_mov_b32 s3, exec_lo
	v_cmpx_nle_f32_e64 0x40600000, |v26|
	s_cbranch_execz .LBB28_340
; %bb.331:
	v_mov_b32_e32 v28, 5
	;; [unrolled: 5-line block ×5, first 2 shown]
	s_mov_b32 s11, exec_lo
	v_cmpx_nle_f32_e64 0x3f400000, |v26|
; %bb.335:
	v_cmp_le_f32_e64 s12, 0x3e800000, |v26|
	s_delay_alu instid0(VALU_DEP_1)
	v_cndmask_b32_e64 v28, 0, 1, s12
; %bb.336:
	s_or_b32 exec_lo, exec_lo, s11
.LBB28_337:
	s_delay_alu instid0(SALU_CYCLE_1)
	s_or_b32 exec_lo, exec_lo, s10
.LBB28_338:
	s_delay_alu instid0(SALU_CYCLE_1)
	s_or_b32 exec_lo, exec_lo, s9
.LBB28_339:
	s_delay_alu instid0(SALU_CYCLE_1)
	s_or_b32 exec_lo, exec_lo, s6
.LBB28_340:
	s_delay_alu instid0(SALU_CYCLE_1)
	s_or_b32 exec_lo, exec_lo, s3
.LBB28_341:
	s_delay_alu instid0(SALU_CYCLE_1) | instskip(SKIP_3) | instid1(VALU_DEP_2)
	s_or_b32 exec_lo, exec_lo, s2
	v_dual_mul_f32 v66, v4, v23 :: v_dual_mov_b32 v23, 7
	v_mov_b32_e32 v67, 7
	s_mov_b32 s2, exec_lo
	v_cmpx_nle_f32_e64 0x40a00000, |v66|
	s_cbranch_execz .LBB28_353
; %bb.342:
	v_mov_b32_e32 v67, 6
	s_mov_b32 s3, exec_lo
	v_cmpx_nle_f32_e64 0x40600000, |v66|
	s_cbranch_execz .LBB28_352
; %bb.343:
	;; [unrolled: 5-line block ×5, first 2 shown]
	v_mov_b32_e32 v67, 2
	s_mov_b32 s11, exec_lo
	v_cmpx_nle_f32_e64 0x3f400000, |v66|
; %bb.347:
	v_cmp_le_f32_e64 s12, 0x3e800000, |v66|
	s_delay_alu instid0(VALU_DEP_1)
	v_cndmask_b32_e64 v67, 0, 1, s12
; %bb.348:
	s_or_b32 exec_lo, exec_lo, s11
.LBB28_349:
	s_delay_alu instid0(SALU_CYCLE_1)
	s_or_b32 exec_lo, exec_lo, s10
.LBB28_350:
	s_delay_alu instid0(SALU_CYCLE_1)
	s_or_b32 exec_lo, exec_lo, s9
.LBB28_351:
	s_delay_alu instid0(SALU_CYCLE_1)
	s_or_b32 exec_lo, exec_lo, s6
.LBB28_352:
	s_delay_alu instid0(SALU_CYCLE_1)
	s_or_b32 exec_lo, exec_lo, s3
.LBB28_353:
	s_delay_alu instid0(SALU_CYCLE_1) | instskip(SKIP_2) | instid1(VALU_DEP_1)
	s_or_b32 exec_lo, exec_lo, s2
	v_mul_f32_e32 v20, v4, v20
	s_mov_b32 s2, exec_lo
	v_cmpx_nle_f32_e64 0x40a00000, |v20|
	s_cbranch_execz .LBB28_365
; %bb.354:
	v_mov_b32_e32 v23, 6
	s_mov_b32 s3, exec_lo
	v_cmpx_nle_f32_e64 0x40600000, |v20|
	s_cbranch_execz .LBB28_364
; %bb.355:
	v_mov_b32_e32 v23, 5
	;; [unrolled: 5-line block ×5, first 2 shown]
	s_mov_b32 s11, exec_lo
	v_cmpx_nle_f32_e64 0x3f400000, |v20|
; %bb.359:
	v_cmp_le_f32_e64 s12, 0x3e800000, |v20|
	s_delay_alu instid0(VALU_DEP_1)
	v_cndmask_b32_e64 v23, 0, 1, s12
; %bb.360:
	s_or_b32 exec_lo, exec_lo, s11
.LBB28_361:
	s_delay_alu instid0(SALU_CYCLE_1)
	s_or_b32 exec_lo, exec_lo, s10
.LBB28_362:
	s_delay_alu instid0(SALU_CYCLE_1)
	s_or_b32 exec_lo, exec_lo, s9
.LBB28_363:
	s_delay_alu instid0(SALU_CYCLE_1)
	s_or_b32 exec_lo, exec_lo, s6
.LBB28_364:
	s_delay_alu instid0(SALU_CYCLE_1)
	s_or_b32 exec_lo, exec_lo, s3
.LBB28_365:
	s_delay_alu instid0(SALU_CYCLE_1) | instskip(SKIP_3) | instid1(VALU_DEP_2)
	s_or_b32 exec_lo, exec_lo, s2
	v_dual_mul_f32 v69, v4, v18 :: v_dual_mov_b32 v18, 7
	v_mov_b32_e32 v70, 7
	s_mov_b32 s2, exec_lo
	v_cmpx_nle_f32_e64 0x40a00000, |v69|
	s_cbranch_execz .LBB28_377
; %bb.366:
	v_mov_b32_e32 v70, 6
	s_mov_b32 s3, exec_lo
	v_cmpx_nle_f32_e64 0x40600000, |v69|
	s_cbranch_execz .LBB28_376
; %bb.367:
	;; [unrolled: 5-line block ×5, first 2 shown]
	v_mov_b32_e32 v70, 2
	s_mov_b32 s11, exec_lo
	v_cmpx_nle_f32_e64 0x3f400000, |v69|
; %bb.371:
	v_cmp_le_f32_e64 s12, 0x3e800000, |v69|
	s_delay_alu instid0(VALU_DEP_1)
	v_cndmask_b32_e64 v70, 0, 1, s12
; %bb.372:
	s_or_b32 exec_lo, exec_lo, s11
.LBB28_373:
	s_delay_alu instid0(SALU_CYCLE_1)
	s_or_b32 exec_lo, exec_lo, s10
.LBB28_374:
	s_delay_alu instid0(SALU_CYCLE_1)
	s_or_b32 exec_lo, exec_lo, s9
.LBB28_375:
	s_delay_alu instid0(SALU_CYCLE_1)
	s_or_b32 exec_lo, exec_lo, s6
.LBB28_376:
	s_delay_alu instid0(SALU_CYCLE_1)
	s_or_b32 exec_lo, exec_lo, s3
.LBB28_377:
	s_delay_alu instid0(SALU_CYCLE_1) | instskip(SKIP_2) | instid1(VALU_DEP_1)
	s_or_b32 exec_lo, exec_lo, s2
	v_mul_f32_e32 v68, v4, v3
	s_mov_b32 s2, exec_lo
	v_cmpx_nle_f32_e64 0x40a00000, |v68|
	s_cbranch_execz .LBB28_389
; %bb.378:
	v_mov_b32_e32 v18, 6
	s_mov_b32 s3, exec_lo
	v_cmpx_nle_f32_e64 0x40600000, |v68|
	s_cbranch_execz .LBB28_388
; %bb.379:
	v_mov_b32_e32 v18, 5
	s_mov_b32 s6, exec_lo
	v_cmpx_nle_f32_e64 0x40200000, |v68|
	s_cbranch_execz .LBB28_387
; %bb.380:
	v_mov_b32_e32 v18, 4
	s_mov_b32 s9, exec_lo
	v_cmpx_nle_f32_e64 0x3fe00000, |v68|
	s_cbranch_execz .LBB28_386
; %bb.381:
	v_mov_b32_e32 v18, 3
	s_mov_b32 s10, exec_lo
	v_cmpx_nle_f32_e64 0x3fa00000, |v68|
	s_cbranch_execz .LBB28_385
; %bb.382:
	v_mov_b32_e32 v18, 2
	s_mov_b32 s11, exec_lo
	v_cmpx_nle_f32_e64 0x3f400000, |v68|
; %bb.383:
	v_cmp_le_f32_e64 s12, 0x3e800000, |v68|
	s_delay_alu instid0(VALU_DEP_1)
	v_cndmask_b32_e64 v18, 0, 1, s12
; %bb.384:
	s_or_b32 exec_lo, exec_lo, s11
.LBB28_385:
	s_delay_alu instid0(SALU_CYCLE_1)
	s_or_b32 exec_lo, exec_lo, s10
.LBB28_386:
	s_delay_alu instid0(SALU_CYCLE_1)
	s_or_b32 exec_lo, exec_lo, s9
.LBB28_387:
	s_delay_alu instid0(SALU_CYCLE_1)
	s_or_b32 exec_lo, exec_lo, s6
.LBB28_388:
	s_delay_alu instid0(SALU_CYCLE_1)
	s_or_b32 exec_lo, exec_lo, s3
.LBB28_389:
	s_delay_alu instid0(SALU_CYCLE_1)
	s_or_b32 exec_lo, exec_lo, s2
	s_load_b64 s[2:3], s[0:1], 0x8
	v_lshrrev_b32_e32 v3, 2, v5
	s_bitcmp1_b32 s7, 0
	v_and_b32_e32 v71, 3, v5
	s_cselect_b32 s6, -1, 0
	s_lshr_b32 s9, s4, 31
	v_lshlrev_b32_e32 v72, 10, v3
	s_xor_b32 s6, s6, -1
	s_add_i32 s4, s4, s9
	s_mov_b32 s7, -1
	s_and_b32 vcc_lo, exec_lo, s6
	s_ashr_i32 s4, s4, 1
	s_cbranch_vccz .LBB28_391
; %bb.390:
	v_dual_mov_b32 v4, 0 :: v_dual_lshlrev_b32 v3, 4, v0
	v_and_b32_e32 v75, -16, v0
	s_ashr_i32 s7, s4, 31
	v_mul_lo_u32 v1, v1, s4
	s_delay_alu instid0(VALU_DEP_3) | instskip(NEXT) | instid1(VALU_DEP_3)
	v_and_b32_e32 v3, 0xf0, v3
	v_mul_lo_u32 v76, v75, s7
	s_delay_alu instid0(VALU_DEP_2) | instskip(SKIP_1) | instid1(VALU_DEP_2)
	v_mad_u64_u32 v[73:74], null, v75, s4, v[3:4]
	v_lshlrev_b32_e32 v3, 8, v71
	v_add3_u32 v1, v1, v74, v76
	s_delay_alu instid0(VALU_DEP_3) | instskip(NEXT) | instid1(VALU_DEP_2)
	v_add_co_u32 v4, vcc_lo, v73, v72
	v_add_co_ci_u32_e32 v1, vcc_lo, 0, v1, vcc_lo
	s_delay_alu instid0(VALU_DEP_2) | instskip(NEXT) | instid1(VALU_DEP_2)
	v_add_co_u32 v3, vcc_lo, v4, v3
	v_add_co_ci_u32_e32 v4, vcc_lo, 0, v1, vcc_lo
	s_cbranch_execz .LBB28_392
	s_branch .LBB28_393
.LBB28_391:
                                        ; implicit-def: $vgpr3_vgpr4
	s_and_not1_b32 vcc_lo, exec_lo, s7
	s_cbranch_vccnz .LBB28_393
.LBB28_392:
	s_ashr_i32 s7, s8, 1
	v_sub_nc_u32_e32 v4, 0, v0
	s_abs_i32 s9, s7
	s_ashr_i32 s4, s4, 6
	v_cvt_f32_u32_e32 v1, s9
	s_sub_i32 s10, 0, s9
	v_max_i32_e32 v4, v0, v4
	s_delay_alu instid0(VALU_DEP_2) | instskip(SKIP_2) | instid1(VALU_DEP_1)
	v_rcp_iflag_f32_e32 v1, v1
	s_waitcnt_depctr 0xfff
	v_mul_f32_e32 v1, 0x4f7ffffe, v1
	v_cvt_u32_f32_e32 v1, v1
	s_delay_alu instid0(VALU_DEP_1) | instskip(NEXT) | instid1(VALU_DEP_1)
	v_mul_lo_u32 v3, s10, v1
	v_mul_hi_u32 v3, v1, v3
	s_delay_alu instid0(VALU_DEP_1) | instskip(NEXT) | instid1(VALU_DEP_1)
	v_add_nc_u32_e32 v1, v1, v3
	v_mul_hi_u32 v1, v4, v1
	s_delay_alu instid0(VALU_DEP_1) | instskip(NEXT) | instid1(VALU_DEP_1)
	v_mul_lo_u32 v3, v1, s9
	v_sub_nc_u32_e32 v3, v4, v3
	v_add_nc_u32_e32 v4, 1, v1
	s_delay_alu instid0(VALU_DEP_2) | instskip(SKIP_1) | instid1(VALU_DEP_3)
	v_subrev_nc_u32_e32 v73, s9, v3
	v_cmp_le_u32_e32 vcc_lo, s9, v3
	v_cndmask_b32_e32 v1, v1, v4, vcc_lo
	s_delay_alu instid0(VALU_DEP_3) | instskip(SKIP_1) | instid1(VALU_DEP_3)
	v_cndmask_b32_e32 v3, v3, v73, vcc_lo
	v_xor_b32_e32 v4, s7, v0
	v_add_nc_u32_e32 v73, 1, v1
	s_delay_alu instid0(VALU_DEP_3) | instskip(NEXT) | instid1(VALU_DEP_3)
	v_cmp_le_u32_e32 vcc_lo, s9, v3
	v_ashrrev_i32_e32 v4, 31, v4
	v_lshl_or_b32 v3, v71, 8, v72
	s_delay_alu instid0(VALU_DEP_4) | instskip(NEXT) | instid1(VALU_DEP_1)
	v_cndmask_b32_e32 v1, v1, v73, vcc_lo
	v_xor_b32_e32 v1, v1, v4
	s_delay_alu instid0(VALU_DEP_1) | instskip(SKIP_1) | instid1(VALU_DEP_2)
	v_sub_nc_u32_e32 v1, v1, v4
	v_mov_b32_e32 v4, 0
	v_mul_lo_u32 v73, v1, s7
	s_lshl_b32 s7, s4, 10
	s_lshl_b32 s4, s4, 11
	s_delay_alu instid0(VALU_DEP_2) | instskip(NEXT) | instid1(VALU_DEP_2)
	v_mad_i64_i32 v[71:72], null, v1, s7, v[3:4]
	v_sub_nc_u32_e32 v73, v0, v73
	s_delay_alu instid0(VALU_DEP_1) | instskip(NEXT) | instid1(VALU_DEP_1)
	v_ashrrev_i32_e32 v1, 4, v73
	v_mad_i64_i32 v[3:4], null, v1, s4, v[71:72]
	v_lshlrev_b32_e32 v1, 4, v73
	s_delay_alu instid0(VALU_DEP_1)
	v_and_or_b32 v3, 0xf0, v1, v3
.LBB28_393:
	v_cmp_gt_f32_e32 vcc_lo, 0, v69
	v_lshlrev_b16 v9, 4, v9
	v_lshlrev_b16 v18, 4, v18
	;; [unrolled: 1-line block ×3, first 2 shown]
	s_load_b64 s[0:1], s[0:1], 0x10
	v_cndmask_b32_e64 v1, 0, 1, vcc_lo
	v_cmp_gt_f32_e32 vcc_lo, 0, v66
	s_delay_alu instid0(VALU_DEP_2) | instskip(SKIP_2) | instid1(VALU_DEP_3)
	v_lshlrev_b16 v1, 3, v1
	v_cndmask_b32_e64 v66, 0, 1, vcc_lo
	v_cmp_gt_f32_e32 vcc_lo, 0, v65
	v_or_b32_e32 v1, v1, v70
	s_delay_alu instid0(VALU_DEP_3) | instskip(SKIP_2) | instid1(VALU_DEP_3)
	v_lshlrev_b16 v66, 3, v66
	v_cndmask_b32_e64 v65, 0, 1, vcc_lo
	v_cmp_gt_f32_e32 vcc_lo, 0, v63
	v_or_b32_e32 v66, v66, v67
	s_delay_alu instid0(VALU_DEP_3) | instskip(SKIP_2) | instid1(VALU_DEP_3)
	;; [unrolled: 5-line block ×12, first 2 shown]
	v_lshlrev_b16 v24, 3, v24
	v_cndmask_b32_e64 v17, 0, 1, vcc_lo
	v_cmp_gt_f32_e32 vcc_lo, 0, v7
	v_or_b32_e32 v22, v24, v22
	s_delay_alu instid0(VALU_DEP_3) | instskip(SKIP_2) | instid1(VALU_DEP_2)
	v_lshlrev_b16 v17, 3, v17
	v_cndmask_b32_e64 v7, 0, 1, vcc_lo
	v_cmp_gt_f32_e32 vcc_lo, 0, v10
	v_lshlrev_b16 v7, 3, v7
	v_cndmask_b32_e64 v10, 0, 1, vcc_lo
	v_cmp_gt_f32_e32 vcc_lo, 0, v12
	s_delay_alu instid0(VALU_DEP_3) | instskip(NEXT) | instid1(VALU_DEP_3)
	v_or_b32_e32 v7, v7, v8
	v_lshlrev_b16 v10, 7, v10
	v_cndmask_b32_e64 v12, 0, 1, vcc_lo
	v_cmp_gt_f32_e32 vcc_lo, 0, v14
	v_lshlrev_b16 v14, 4, v21
	v_lshlrev_b16 v21, 4, v52
	v_or_b32_e32 v8, v10, v9
	v_lshlrev_b16 v12, 3, v12
	v_cndmask_b32_e64 v9, 0, 1, vcc_lo
	v_cmp_gt_f32_e32 vcc_lo, 0, v19
	v_or_b32_e32 v10, v17, v16
	v_or_b32_e32 v7, v8, v7
	v_lshlrev_b16 v8, 4, v11
	v_or_b32_e32 v12, v12, v13
	v_cndmask_b32_e64 v11, 0, 1, vcc_lo
	v_cmp_gt_f32_e32 vcc_lo, 0, v25
	v_lshlrev_b16 v9, 7, v9
	v_lshlrev_b16 v16, 4, v39
	;; [unrolled: 1-line block ×4, first 2 shown]
	v_cndmask_b32_e64 v13, 0, 1, vcc_lo
	v_cmp_gt_f32_e32 vcc_lo, 0, v31
	v_or_b32_e32 v8, v9, v8
	v_lshlrev_b16 v9, 4, v15
	s_delay_alu instid0(VALU_DEP_4) | instskip(SKIP_2) | instid1(VALU_DEP_4)
	v_lshlrev_b16 v13, 7, v13
	v_cndmask_b32_e64 v15, 0, 1, vcc_lo
	v_cmp_gt_f32_e32 vcc_lo, 0, v36
	v_or_b32_e32 v9, v11, v9
	v_or_b32_e32 v8, v8, v12
	;; [unrolled: 1-line block ×3, first 2 shown]
	v_lshlrev_b16 v12, 4, v27
	v_cndmask_b32_e64 v14, 0, 1, vcc_lo
	v_cmp_gt_f32_e32 vcc_lo, 0, v41
	v_lshlrev_b16 v13, 7, v15
	v_or_b32_e32 v9, v9, v10
	v_or_b32_e32 v10, v11, v22
	v_lshlrev_b16 v14, 7, v14
	v_cndmask_b32_e64 v15, 0, 1, vcc_lo
	v_or_b32_e32 v12, v13, v12
	v_lshlrev_b16 v13, 4, v33
	v_cmp_gt_f32_e32 vcc_lo, 0, v47
	v_lshlrev_b16 v22, 4, v34
	v_lshlrev_b16 v15, 7, v15
	v_or_b32_e32 v11, v12, v29
	v_or_b32_e32 v12, v14, v13
	v_lshlrev_b16 v14, 4, v45
	v_lshlrev_b16 v8, 8, v8
	v_or_b32_e32 v13, v15, v16
	v_cndmask_b32_e64 v15, 0, 1, vcc_lo
	v_cmp_gt_f32_e32 vcc_lo, 0, v53
	v_or_b32_e32 v12, v12, v35
	v_lshlrev_b16 v10, 8, v10
	v_or_b32_e32 v13, v13, v42
	v_lshlrev_b16 v15, 7, v15
	v_cndmask_b32_e64 v16, 0, 1, vcc_lo
	v_cmp_gt_f32_e32 vcc_lo, 0, v50
	v_lshlrev_b16 v12, 8, v12
	v_or_b32_e32 v7, v7, v8
	v_or_b32_e32 v14, v15, v14
	v_lshlrev_b16 v16, 7, v16
	v_cndmask_b32_e64 v17, 0, 1, vcc_lo
	v_cmp_gt_f32_e32 vcc_lo, 0, v44
	v_or_b32_e32 v11, v11, v12
	v_or_b32_e32 v14, v14, v48
	;; [unrolled: 1-line block ×3, first 2 shown]
	v_lshlrev_b16 v17, 7, v17
	v_lshlrev_b16 v19, 4, v46
	v_or_b32_e32 v8, v9, v10
	v_lshlrev_b16 v14, 8, v14
	v_or_b32_e32 v15, v15, v54
	v_or_b32_e32 v16, v17, v21
	v_cndmask_b32_e64 v17, 0, 1, vcc_lo
	v_cmp_gt_f32_e32 vcc_lo, 0, v26
	v_lshlrev_b16 v26, 4, v28
	v_lshlrev_b16 v21, 4, v40
	v_or_b32_e32 v16, v16, v56
	v_lshlrev_b16 v17, 7, v17
	v_cndmask_b32_e64 v24, 0, 1, vcc_lo
	v_cmp_gt_f32_e32 vcc_lo, 0, v32
	v_or_b32_e32 v12, v13, v14
	v_lshlrev_b16 v16, 8, v16
	v_or_b32_e32 v17, v17, v19
	v_lshlrev_b16 v24, 7, v24
	v_cndmask_b32_e64 v25, 0, 1, vcc_lo
	v_cmp_gt_f32_e32 vcc_lo, 0, v68
	v_or_b32_e32 v15, v15, v16
	v_or_b32_e32 v17, v17, v58
	;; [unrolled: 1-line block ×3, first 2 shown]
	v_lshlrev_b16 v25, 7, v25
	v_cndmask_b32_e64 v27, 0, 1, vcc_lo
	v_cmp_gt_f32_e32 vcc_lo, 0, v20
	v_and_b32_e32 v15, 0xffff, v15
	v_and_b32_e32 v11, 0xffff, v11
	v_or_b32_e32 v22, v25, v22
	v_lshlrev_b16 v27, 7, v27
	v_cndmask_b32_e64 v20, 0, 1, vcc_lo
	v_cmp_gt_f32_e32 vcc_lo, 0, v38
	v_lshlrev_b32_e32 v12, 16, v12
	v_or_b32_e32 v22, v22, v62
	v_or_b32_e32 v18, v27, v18
	v_lshlrev_b16 v20, 7, v20
	v_cndmask_b32_e64 v26, 0, 1, vcc_lo
	v_and_b32_e32 v7, 0xffff, v7
	v_lshlrev_b32_e32 v13, 16, v8
	v_or_b32_e32 v1, v18, v1
	v_or_b32_e32 v20, v20, v23
	v_lshlrev_b16 v18, 7, v26
	v_or_b32_e32 v23, v24, v64
	s_waitcnt lgkmcnt(0)
	v_add_co_u32 v3, vcc_lo, s2, v3
	v_or_b32_e32 v20, v20, v66
	v_or_b32_e32 v18, v18, v21
	v_lshlrev_b16 v23, 8, v23
	v_lshlrev_b16 v1, 8, v1
	v_or_b32_e32 v8, v11, v12
	v_or_b32_e32 v7, v7, v13
	;; [unrolled: 1-line block ×5, first 2 shown]
	v_add_co_ci_u32_e32 v4, vcc_lo, s3, v4, vcc_lo
	s_delay_alu instid0(VALU_DEP_4) | instskip(NEXT) | instid1(VALU_DEP_4)
	v_lshlrev_b16 v16, 8, v16
	v_and_b32_e32 v18, 0xffff, v19
	s_delay_alu instid0(VALU_DEP_4) | instskip(SKIP_3) | instid1(VALU_DEP_2)
	v_lshlrev_b32_e32 v1, 16, v1
	s_mov_b32 s2, 0
	s_and_b32 vcc_lo, exec_lo, s6
	v_or_b32_e32 v16, v17, v16
	v_or_b32_e32 v10, v18, v1
	s_delay_alu instid0(VALU_DEP_2) | instskip(NEXT) | instid1(VALU_DEP_1)
	v_lshlrev_b32_e32 v9, 16, v16
	v_or_b32_e32 v9, v15, v9
	global_store_b128 v[3:4], v[7:10], off
	s_cbranch_vccz .LBB28_395
; %bb.394:
	v_ashrrev_i32_e32 v1, 31, v0
	s_delay_alu instid0(VALU_DEP_1) | instskip(NEXT) | instid1(VALU_DEP_1)
	v_lshrrev_b32_e32 v1, 27, v1
	v_add_nc_u32_e32 v1, v0, v1
	s_delay_alu instid0(VALU_DEP_1) | instskip(NEXT) | instid1(VALU_DEP_1)
	v_and_b32_e32 v3, 0xffe0, v1
	v_sub_nc_u32_e32 v3, v0, v3
	s_delay_alu instid0(VALU_DEP_1) | instskip(NEXT) | instid1(VALU_DEP_1)
	v_bfe_i32 v4, v3, 0, 8
	v_lshrrev_b16 v4, 11, v4
	s_delay_alu instid0(VALU_DEP_1) | instskip(NEXT) | instid1(VALU_DEP_1)
	v_and_b32_e32 v4, 15, v4
	v_add_nc_u16 v3, v3, v4
	s_delay_alu instid0(VALU_DEP_1) | instskip(NEXT) | instid1(VALU_DEP_1)
	v_bfe_i32 v3, v3, 0, 8
	v_ashrrev_i16 v4, 4, v3
	v_ashrrev_i32_e32 v3, 5, v1
	s_delay_alu instid0(VALU_DEP_2)
	v_bfe_i32 v1, v4, 0, 16
	s_and_not1_b32 vcc_lo, exec_lo, s2
	s_cbranch_vccz .LBB28_396
	s_branch .LBB28_397
.LBB28_395:
                                        ; implicit-def: $vgpr3
                                        ; implicit-def: $vgpr1
.LBB28_396:
	s_lshr_b32 s2, s8, 31
	v_sub_nc_u32_e32 v4, 0, v0
	s_add_i32 s2, s8, s2
	s_delay_alu instid0(SALU_CYCLE_1) | instskip(NEXT) | instid1(VALU_DEP_1)
	s_ashr_i32 s2, s2, 1
	v_max_i32_e32 v4, v0, v4
	s_abs_i32 s3, s2
	s_delay_alu instid0(SALU_CYCLE_1) | instskip(SKIP_1) | instid1(VALU_DEP_1)
	v_cvt_f32_u32_e32 v1, s3
	s_sub_i32 s4, 0, s3
	v_rcp_iflag_f32_e32 v1, v1
	s_waitcnt_depctr 0xfff
	v_mul_f32_e32 v1, 0x4f7ffffe, v1
	s_delay_alu instid0(VALU_DEP_1) | instskip(NEXT) | instid1(VALU_DEP_1)
	v_cvt_u32_f32_e32 v1, v1
	v_mul_lo_u32 v3, s4, v1
	s_delay_alu instid0(VALU_DEP_1) | instskip(NEXT) | instid1(VALU_DEP_1)
	v_mul_hi_u32 v3, v1, v3
	v_add_nc_u32_e32 v1, v1, v3
	s_delay_alu instid0(VALU_DEP_1) | instskip(NEXT) | instid1(VALU_DEP_1)
	v_mul_hi_u32 v1, v4, v1
	v_mul_lo_u32 v3, v1, s3
	s_delay_alu instid0(VALU_DEP_1) | instskip(NEXT) | instid1(VALU_DEP_1)
	v_sub_nc_u32_e32 v3, v4, v3
	v_subrev_nc_u32_e32 v7, s3, v3
	v_cmp_le_u32_e32 vcc_lo, s3, v3
	s_delay_alu instid0(VALU_DEP_2) | instskip(NEXT) | instid1(VALU_DEP_1)
	v_dual_cndmask_b32 v3, v3, v7 :: v_dual_add_nc_u32 v4, 1, v1
	v_cndmask_b32_e32 v1, v1, v4, vcc_lo
	v_xor_b32_e32 v4, s2, v0
	s_delay_alu instid0(VALU_DEP_3) | instskip(NEXT) | instid1(VALU_DEP_3)
	v_cmp_le_u32_e32 vcc_lo, s3, v3
	v_add_nc_u32_e32 v7, 1, v1
	s_delay_alu instid0(VALU_DEP_3) | instskip(NEXT) | instid1(VALU_DEP_2)
	v_ashrrev_i32_e32 v4, 31, v4
	v_cndmask_b32_e32 v1, v1, v7, vcc_lo
	s_delay_alu instid0(VALU_DEP_1) | instskip(NEXT) | instid1(VALU_DEP_1)
	v_xor_b32_e32 v1, v1, v4
	v_sub_nc_u32_e32 v1, v1, v4
	s_delay_alu instid0(VALU_DEP_1) | instskip(NEXT) | instid1(VALU_DEP_1)
	v_mul_lo_u32 v3, v1, s2
	v_sub_nc_u32_e32 v0, v0, v3
	s_delay_alu instid0(VALU_DEP_1) | instskip(NEXT) | instid1(VALU_DEP_1)
	v_ashrrev_i32_e32 v3, 31, v0
	v_lshrrev_b32_e32 v3, 28, v3
	s_delay_alu instid0(VALU_DEP_1) | instskip(NEXT) | instid1(VALU_DEP_1)
	v_add_nc_u32_e32 v3, v0, v3
	v_ashrrev_i32_e32 v3, 4, v3
.LBB28_397:
	v_ashrrev_i32_e32 v4, 31, v0
	v_lshlrev_b32_e32 v7, 6, v5
	v_lshrrev_b32_e32 v5, 1, v5
	v_and_b32_e32 v2, 0x7fffff00, v2
	s_lshl_b32 s2, s5, 5
	v_lshrrev_b32_e32 v4, 28, v4
	v_and_b32_e32 v7, 0xc0, v7
	v_and_b32_e32 v5, 2, v5
	s_and_b32 s2, s2, 0x7fffff00
	s_delay_alu instid0(SALU_CYCLE_1) | instskip(SKIP_1) | instid1(VALU_DEP_3)
	v_mul_lo_u32 v3, v3, s2
	v_add_nc_u32_e32 v4, v0, v4
	v_or3_b32 v2, v7, v2, v5
	s_delay_alu instid0(VALU_DEP_2) | instskip(NEXT) | instid1(VALU_DEP_2)
	v_and_b32_e32 v4, 0x3ffffff0, v4
	v_add_nc_u32_e32 v1, v2, v1
	v_lshrrev_b32_e32 v2, 23, v6
	s_delay_alu instid0(VALU_DEP_3) | instskip(NEXT) | instid1(VALU_DEP_1)
	v_sub_nc_u32_e32 v0, v0, v4
	v_lshlrev_b32_e32 v0, 2, v0
	s_delay_alu instid0(VALU_DEP_1) | instskip(NEXT) | instid1(VALU_DEP_1)
	v_add3_u32 v0, v1, v0, v3
	v_ashrrev_i32_e32 v1, 31, v0
	v_add_co_u32 v0, vcc_lo, s0, v0
	s_delay_alu instid0(VALU_DEP_2)
	v_add_co_ci_u32_e32 v1, vcc_lo, s1, v1, vcc_lo
	global_store_b8 v[0:1], v2, off
.LBB28_398:
	s_nop 0
	s_sendmsg sendmsg(MSG_DEALLOC_VGPRS)
	s_endpgm
	.section	.rodata,"a",@progbits
	.p2align	6, 0x0
	.amdhsa_kernel _ZN5aiter18quant_mxfp4_kernelI12hip_bfloat16LNS_16MxScaleRoundModeE1ELb0ELb1ELb1EEEvPKT_PhPfliiib
		.amdhsa_group_segment_fixed_size 0
		.amdhsa_private_segment_fixed_size 0
		.amdhsa_kernarg_size 304
		.amdhsa_user_sgpr_count 15
		.amdhsa_user_sgpr_dispatch_ptr 0
		.amdhsa_user_sgpr_queue_ptr 0
		.amdhsa_user_sgpr_kernarg_segment_ptr 1
		.amdhsa_user_sgpr_dispatch_id 0
		.amdhsa_user_sgpr_private_segment_size 0
		.amdhsa_wavefront_size32 1
		.amdhsa_uses_dynamic_stack 0
		.amdhsa_enable_private_segment 0
		.amdhsa_system_sgpr_workgroup_id_x 1
		.amdhsa_system_sgpr_workgroup_id_y 0
		.amdhsa_system_sgpr_workgroup_id_z 0
		.amdhsa_system_sgpr_workgroup_info 0
		.amdhsa_system_vgpr_workitem_id 0
		.amdhsa_next_free_vgpr 77
		.amdhsa_next_free_sgpr 16
		.amdhsa_reserve_vcc 1
		.amdhsa_float_round_mode_32 0
		.amdhsa_float_round_mode_16_64 0
		.amdhsa_float_denorm_mode_32 3
		.amdhsa_float_denorm_mode_16_64 3
		.amdhsa_dx10_clamp 1
		.amdhsa_ieee_mode 1
		.amdhsa_fp16_overflow 0
		.amdhsa_workgroup_processor_mode 1
		.amdhsa_memory_ordered 1
		.amdhsa_forward_progress 0
		.amdhsa_shared_vgpr_count 0
		.amdhsa_exception_fp_ieee_invalid_op 0
		.amdhsa_exception_fp_denorm_src 0
		.amdhsa_exception_fp_ieee_div_zero 0
		.amdhsa_exception_fp_ieee_overflow 0
		.amdhsa_exception_fp_ieee_underflow 0
		.amdhsa_exception_fp_ieee_inexact 0
		.amdhsa_exception_int_div_zero 0
	.end_amdhsa_kernel
	.section	.text._ZN5aiter18quant_mxfp4_kernelI12hip_bfloat16LNS_16MxScaleRoundModeE1ELb0ELb1ELb1EEEvPKT_PhPfliiib,"axG",@progbits,_ZN5aiter18quant_mxfp4_kernelI12hip_bfloat16LNS_16MxScaleRoundModeE1ELb0ELb1ELb1EEEvPKT_PhPfliiib,comdat
.Lfunc_end28:
	.size	_ZN5aiter18quant_mxfp4_kernelI12hip_bfloat16LNS_16MxScaleRoundModeE1ELb0ELb1ELb1EEEvPKT_PhPfliiib, .Lfunc_end28-_ZN5aiter18quant_mxfp4_kernelI12hip_bfloat16LNS_16MxScaleRoundModeE1ELb0ELb1ELb1EEEvPKT_PhPfliiib
                                        ; -- End function
	.section	.AMDGPU.csdata,"",@progbits
; Kernel info:
; codeLenInByte = 10736
; NumSgprs: 18
; NumVgprs: 77
; ScratchSize: 0
; MemoryBound: 0
; FloatMode: 240
; IeeeMode: 1
; LDSByteSize: 0 bytes/workgroup (compile time only)
; SGPRBlocks: 2
; VGPRBlocks: 9
; NumSGPRsForWavesPerEU: 18
; NumVGPRsForWavesPerEU: 77
; Occupancy: 16
; WaveLimiterHint : 0
; COMPUTE_PGM_RSRC2:SCRATCH_EN: 0
; COMPUTE_PGM_RSRC2:USER_SGPR: 15
; COMPUTE_PGM_RSRC2:TRAP_HANDLER: 0
; COMPUTE_PGM_RSRC2:TGID_X_EN: 1
; COMPUTE_PGM_RSRC2:TGID_Y_EN: 0
; COMPUTE_PGM_RSRC2:TGID_Z_EN: 0
; COMPUTE_PGM_RSRC2:TIDIG_COMP_CNT: 0
	.section	.text._ZN5aiter18quant_mxfp4_kernelI12hip_bfloat16LNS_16MxScaleRoundModeE1ELb0ELb1ELb0EEEvPKT_PhPfliiib,"axG",@progbits,_ZN5aiter18quant_mxfp4_kernelI12hip_bfloat16LNS_16MxScaleRoundModeE1ELb0ELb1ELb0EEEvPKT_PhPfliiib,comdat
	.protected	_ZN5aiter18quant_mxfp4_kernelI12hip_bfloat16LNS_16MxScaleRoundModeE1ELb0ELb1ELb0EEEvPKT_PhPfliiib ; -- Begin function _ZN5aiter18quant_mxfp4_kernelI12hip_bfloat16LNS_16MxScaleRoundModeE1ELb0ELb1ELb0EEEvPKT_PhPfliiib
	.globl	_ZN5aiter18quant_mxfp4_kernelI12hip_bfloat16LNS_16MxScaleRoundModeE1ELb0ELb1ELb0EEEvPKT_PhPfliiib
	.p2align	8
	.type	_ZN5aiter18quant_mxfp4_kernelI12hip_bfloat16LNS_16MxScaleRoundModeE1ELb0ELb1ELb0EEEvPKT_PhPfliiib,@function
_ZN5aiter18quant_mxfp4_kernelI12hip_bfloat16LNS_16MxScaleRoundModeE1ELb0ELb1ELb0EEEvPKT_PhPfliiib: ; @_ZN5aiter18quant_mxfp4_kernelI12hip_bfloat16LNS_16MxScaleRoundModeE1ELb0ELb1ELb0EEEvPKT_PhPfliiib
; %bb.0:
	s_clause 0x1
	s_load_b32 s2, s[0:1], 0x3c
	s_load_b128 s[4:7], s[0:1], 0x20
	v_mov_b32_e32 v1, 0
	s_delay_alu instid0(VALU_DEP_1)
	v_mov_b32_e32 v4, v1
	s_waitcnt lgkmcnt(0)
	s_and_b32 s2, s2, 0xffff
	s_mov_b32 s3, s6
	v_mad_u64_u32 v[2:3], null, s2, s15, v[0:1]
	s_ashr_i32 s2, s6, 31
	s_mov_b32 s6, exec_lo
                                        ; implicit-def: $vgpr0_vgpr1
	s_delay_alu instid0(VALU_DEP_1) | instskip(NEXT) | instid1(VALU_DEP_1)
	v_or_b32_e32 v5, s2, v3
	v_cmpx_ne_u64_e32 0, v[4:5]
	s_xor_b32 s6, exec_lo, s6
	s_cbranch_execz .LBB29_2
; %bb.1:
	s_add_u32 s10, s3, s2
	s_mov_b32 s8, s2
	s_mov_b32 s9, s2
	s_addc_u32 s11, s2, s2
	s_delay_alu instid0(SALU_CYCLE_1) | instskip(NEXT) | instid1(SALU_CYCLE_1)
	s_xor_b64 s[10:11], s[10:11], s[8:9]
	v_cvt_f32_u32_e32 v0, s10
	v_cvt_f32_u32_e32 v1, s11
	s_sub_u32 s2, 0, s10
	s_subb_u32 s12, 0, s11
	s_delay_alu instid0(VALU_DEP_1) | instskip(NEXT) | instid1(VALU_DEP_1)
	v_fmamk_f32 v0, v1, 0x4f800000, v0
	v_rcp_f32_e32 v0, v0
	s_waitcnt_depctr 0xfff
	v_mul_f32_e32 v0, 0x5f7ffffc, v0
	s_delay_alu instid0(VALU_DEP_1) | instskip(NEXT) | instid1(VALU_DEP_1)
	v_mul_f32_e32 v1, 0x2f800000, v0
	v_trunc_f32_e32 v1, v1
	s_delay_alu instid0(VALU_DEP_1) | instskip(SKIP_1) | instid1(VALU_DEP_2)
	v_fmamk_f32 v0, v1, 0xcf800000, v0
	v_cvt_u32_f32_e32 v1, v1
	v_cvt_u32_f32_e32 v0, v0
	s_delay_alu instid0(VALU_DEP_2) | instskip(NEXT) | instid1(VALU_DEP_2)
	v_mul_lo_u32 v4, s2, v1
	v_mul_hi_u32 v5, s2, v0
	v_mul_lo_u32 v6, s12, v0
	s_delay_alu instid0(VALU_DEP_2) | instskip(SKIP_1) | instid1(VALU_DEP_2)
	v_add_nc_u32_e32 v4, v5, v4
	v_mul_lo_u32 v5, s2, v0
	v_add_nc_u32_e32 v4, v4, v6
	s_delay_alu instid0(VALU_DEP_2) | instskip(NEXT) | instid1(VALU_DEP_2)
	v_mul_hi_u32 v6, v0, v5
	v_mul_lo_u32 v7, v0, v4
	v_mul_hi_u32 v8, v0, v4
	v_mul_hi_u32 v9, v1, v5
	v_mul_lo_u32 v5, v1, v5
	v_mul_hi_u32 v10, v1, v4
	v_mul_lo_u32 v4, v1, v4
	v_add_co_u32 v6, vcc_lo, v6, v7
	v_add_co_ci_u32_e32 v7, vcc_lo, 0, v8, vcc_lo
	s_delay_alu instid0(VALU_DEP_2) | instskip(NEXT) | instid1(VALU_DEP_2)
	v_add_co_u32 v5, vcc_lo, v6, v5
	v_add_co_ci_u32_e32 v5, vcc_lo, v7, v9, vcc_lo
	v_add_co_ci_u32_e32 v6, vcc_lo, 0, v10, vcc_lo
	v_ashrrev_i32_e32 v9, 31, v3
	s_delay_alu instid0(VALU_DEP_3) | instskip(NEXT) | instid1(VALU_DEP_3)
	v_add_co_u32 v4, vcc_lo, v5, v4
	v_add_co_ci_u32_e32 v5, vcc_lo, 0, v6, vcc_lo
	s_delay_alu instid0(VALU_DEP_2) | instskip(NEXT) | instid1(VALU_DEP_2)
	v_add_co_u32 v0, vcc_lo, v0, v4
	v_add_co_ci_u32_e32 v1, vcc_lo, v1, v5, vcc_lo
	s_delay_alu instid0(VALU_DEP_2) | instskip(SKIP_1) | instid1(VALU_DEP_3)
	v_mul_hi_u32 v4, s2, v0
	v_mul_lo_u32 v6, s12, v0
	v_mul_lo_u32 v5, s2, v1
	s_delay_alu instid0(VALU_DEP_1) | instskip(SKIP_1) | instid1(VALU_DEP_2)
	v_add_nc_u32_e32 v4, v4, v5
	v_mul_lo_u32 v5, s2, v0
	v_add_nc_u32_e32 v4, v4, v6
	s_delay_alu instid0(VALU_DEP_2) | instskip(NEXT) | instid1(VALU_DEP_2)
	v_mul_hi_u32 v6, v0, v5
	v_mul_lo_u32 v7, v0, v4
	v_mul_hi_u32 v8, v0, v4
	v_mul_hi_u32 v10, v1, v5
	v_mul_lo_u32 v5, v1, v5
	v_mul_hi_u32 v11, v1, v4
	v_mul_lo_u32 v4, v1, v4
	v_add_co_u32 v6, vcc_lo, v6, v7
	v_add_co_ci_u32_e32 v7, vcc_lo, 0, v8, vcc_lo
	s_delay_alu instid0(VALU_DEP_2) | instskip(NEXT) | instid1(VALU_DEP_2)
	v_add_co_u32 v5, vcc_lo, v6, v5
	v_add_co_ci_u32_e32 v5, vcc_lo, v7, v10, vcc_lo
	v_add_co_ci_u32_e32 v6, vcc_lo, 0, v11, vcc_lo
	v_add_co_u32 v7, vcc_lo, v2, v9
	v_add_co_ci_u32_e32 v3, vcc_lo, v3, v9, vcc_lo
	s_delay_alu instid0(VALU_DEP_4) | instskip(NEXT) | instid1(VALU_DEP_4)
	v_add_co_u32 v4, vcc_lo, v5, v4
	v_add_co_ci_u32_e32 v5, vcc_lo, 0, v6, vcc_lo
	s_delay_alu instid0(VALU_DEP_4) | instskip(NEXT) | instid1(VALU_DEP_3)
	v_xor_b32_e32 v7, v7, v9
	v_add_co_u32 v6, vcc_lo, v0, v4
	s_delay_alu instid0(VALU_DEP_3) | instskip(SKIP_1) | instid1(VALU_DEP_3)
	v_add_co_ci_u32_e32 v8, vcc_lo, v1, v5, vcc_lo
	v_xor_b32_e32 v10, v3, v9
	v_mul_hi_u32 v11, v7, v6
	s_delay_alu instid0(VALU_DEP_3) | instskip(NEXT) | instid1(VALU_DEP_3)
	v_mad_u64_u32 v[0:1], null, v7, v8, 0
	v_mad_u64_u32 v[3:4], null, v10, v6, 0
	;; [unrolled: 1-line block ×3, first 2 shown]
	s_delay_alu instid0(VALU_DEP_3) | instskip(NEXT) | instid1(VALU_DEP_4)
	v_add_co_u32 v0, vcc_lo, v11, v0
	v_add_co_ci_u32_e32 v1, vcc_lo, 0, v1, vcc_lo
	s_delay_alu instid0(VALU_DEP_2) | instskip(NEXT) | instid1(VALU_DEP_2)
	v_add_co_u32 v0, vcc_lo, v0, v3
	v_add_co_ci_u32_e32 v0, vcc_lo, v1, v4, vcc_lo
	v_add_co_ci_u32_e32 v1, vcc_lo, 0, v6, vcc_lo
	s_delay_alu instid0(VALU_DEP_2) | instskip(NEXT) | instid1(VALU_DEP_2)
	v_add_co_u32 v3, vcc_lo, v0, v5
	v_add_co_ci_u32_e32 v4, vcc_lo, 0, v1, vcc_lo
	s_delay_alu instid0(VALU_DEP_2) | instskip(SKIP_1) | instid1(VALU_DEP_3)
	v_mul_lo_u32 v5, s11, v3
	v_mad_u64_u32 v[0:1], null, s10, v3, 0
	v_mul_lo_u32 v6, s10, v4
	s_delay_alu instid0(VALU_DEP_2) | instskip(NEXT) | instid1(VALU_DEP_2)
	v_sub_co_u32 v0, vcc_lo, v7, v0
	v_add3_u32 v1, v1, v6, v5
	s_delay_alu instid0(VALU_DEP_1) | instskip(NEXT) | instid1(VALU_DEP_1)
	v_sub_nc_u32_e32 v5, v10, v1
	v_subrev_co_ci_u32_e64 v5, s2, s11, v5, vcc_lo
	v_add_co_u32 v6, s2, v3, 2
	s_delay_alu instid0(VALU_DEP_1) | instskip(SKIP_3) | instid1(VALU_DEP_3)
	v_add_co_ci_u32_e64 v7, s2, 0, v4, s2
	v_sub_co_u32 v8, s2, v0, s10
	v_sub_co_ci_u32_e32 v1, vcc_lo, v10, v1, vcc_lo
	v_subrev_co_ci_u32_e64 v5, s2, 0, v5, s2
	v_cmp_le_u32_e32 vcc_lo, s10, v8
	s_delay_alu instid0(VALU_DEP_3) | instskip(SKIP_1) | instid1(VALU_DEP_4)
	v_cmp_eq_u32_e64 s2, s11, v1
	v_cndmask_b32_e64 v8, 0, -1, vcc_lo
	v_cmp_le_u32_e32 vcc_lo, s11, v5
	v_cndmask_b32_e64 v10, 0, -1, vcc_lo
	v_cmp_le_u32_e32 vcc_lo, s10, v0
	v_cndmask_b32_e64 v0, 0, -1, vcc_lo
	v_cmp_le_u32_e32 vcc_lo, s11, v1
	v_cndmask_b32_e64 v11, 0, -1, vcc_lo
	v_cmp_eq_u32_e32 vcc_lo, s11, v5
	s_delay_alu instid0(VALU_DEP_2) | instskip(SKIP_3) | instid1(VALU_DEP_3)
	v_cndmask_b32_e64 v0, v11, v0, s2
	v_cndmask_b32_e32 v5, v10, v8, vcc_lo
	v_add_co_u32 v8, vcc_lo, v3, 1
	v_add_co_ci_u32_e32 v10, vcc_lo, 0, v4, vcc_lo
	v_cmp_ne_u32_e32 vcc_lo, 0, v5
	s_delay_alu instid0(VALU_DEP_2) | instskip(NEXT) | instid1(VALU_DEP_4)
	v_cndmask_b32_e32 v1, v10, v7, vcc_lo
	v_cndmask_b32_e32 v5, v8, v6, vcc_lo
	v_cmp_ne_u32_e32 vcc_lo, 0, v0
	v_xor_b32_e32 v0, s8, v9
	s_delay_alu instid0(VALU_DEP_3) | instskip(SKIP_2) | instid1(VALU_DEP_3)
	v_cndmask_b32_e32 v3, v3, v5, vcc_lo
	v_cndmask_b32_e32 v1, v4, v1, vcc_lo
	v_xor_b32_e32 v4, s9, v9
	v_xor_b32_e32 v3, v3, v0
	s_delay_alu instid0(VALU_DEP_2) | instskip(NEXT) | instid1(VALU_DEP_2)
	v_xor_b32_e32 v1, v1, v4
	v_sub_co_u32 v0, vcc_lo, v3, v0
	s_delay_alu instid0(VALU_DEP_2)
	v_sub_co_ci_u32_e32 v1, vcc_lo, v1, v4, vcc_lo
.LBB29_2:
	s_and_not1_saveexec_b32 s2, s6
	s_cbranch_execz .LBB29_4
; %bb.3:
	v_cvt_f32_u32_e32 v0, s3
	s_sub_i32 s6, 0, s3
	s_delay_alu instid0(VALU_DEP_1) | instskip(SKIP_2) | instid1(VALU_DEP_1)
	v_rcp_iflag_f32_e32 v0, v0
	s_waitcnt_depctr 0xfff
	v_mul_f32_e32 v0, 0x4f7ffffe, v0
	v_cvt_u32_f32_e32 v0, v0
	s_delay_alu instid0(VALU_DEP_1) | instskip(NEXT) | instid1(VALU_DEP_1)
	v_mul_lo_u32 v1, s6, v0
	v_mul_hi_u32 v1, v0, v1
	s_delay_alu instid0(VALU_DEP_1) | instskip(NEXT) | instid1(VALU_DEP_1)
	v_add_nc_u32_e32 v0, v0, v1
	v_mul_hi_u32 v0, v2, v0
	s_delay_alu instid0(VALU_DEP_1) | instskip(SKIP_1) | instid1(VALU_DEP_2)
	v_mul_lo_u32 v1, v0, s3
	v_add_nc_u32_e32 v3, 1, v0
	v_sub_nc_u32_e32 v1, v2, v1
	s_delay_alu instid0(VALU_DEP_1) | instskip(SKIP_1) | instid1(VALU_DEP_2)
	v_subrev_nc_u32_e32 v4, s3, v1
	v_cmp_le_u32_e32 vcc_lo, s3, v1
	v_dual_cndmask_b32 v1, v1, v4 :: v_dual_cndmask_b32 v0, v0, v3
	s_delay_alu instid0(VALU_DEP_1) | instskip(NEXT) | instid1(VALU_DEP_2)
	v_cmp_le_u32_e32 vcc_lo, s3, v1
	v_add_nc_u32_e32 v3, 1, v0
	s_delay_alu instid0(VALU_DEP_1)
	v_dual_mov_b32 v1, 0 :: v_dual_cndmask_b32 v0, v0, v3
.LBB29_4:
	s_or_b32 exec_lo, exec_lo, s2
	s_load_b64 s[8:9], s[0:1], 0x18
	s_delay_alu instid0(VALU_DEP_1) | instskip(NEXT) | instid1(VALU_DEP_1)
	v_mad_u64_u32 v[3:4], null, v0, s3, 0
	v_sub_co_u32 v4, null, v2, v3
	s_delay_alu instid0(VALU_DEP_1) | instskip(SKIP_2) | instid1(VALU_DEP_2)
	v_cmp_gt_i32_e64 s2, s5, v4
	s_waitcnt lgkmcnt(0)
	v_cmp_gt_i64_e32 vcc_lo, s[8:9], v[0:1]
	s_and_b32 s2, vcc_lo, s2
	s_delay_alu instid0(SALU_CYCLE_1)
	s_and_saveexec_b32 s3, s2
	s_cbranch_execz .LBB29_394
; %bb.5:
	s_ashr_i32 s6, s4, 31
	s_load_b64 s[2:3], s[0:1], 0x0
	v_mul_lo_u32 v2, v1, s4
	v_mad_u64_u32 v[5:6], null, v0, s4, 0
	v_mul_lo_u32 v3, v0, s6
	s_delay_alu instid0(VALU_DEP_1) | instskip(SKIP_1) | instid1(VALU_DEP_2)
	v_add3_u32 v6, v6, v3, v2
	v_dual_mov_b32 v3, 0 :: v_dual_lshlrev_b32 v2, 5, v4
	v_lshlrev_b64 v[5:6], 1, v[5:6]
	s_delay_alu instid0(VALU_DEP_2) | instskip(SKIP_1) | instid1(VALU_DEP_2)
	v_lshlrev_b64 v[7:8], 1, v[2:3]
	s_waitcnt lgkmcnt(0)
	v_add_co_u32 v3, vcc_lo, s2, v5
	s_delay_alu instid0(VALU_DEP_3) | instskip(SKIP_1) | instid1(VALU_DEP_2)
	v_add_co_ci_u32_e32 v6, vcc_lo, s3, v6, vcc_lo
	s_mov_b32 s2, exec_lo
	v_add_co_u32 v5, vcc_lo, v3, v7
	s_delay_alu instid0(VALU_DEP_2)
	v_add_co_ci_u32_e32 v6, vcc_lo, v6, v8, vcc_lo
	s_clause 0x3
	global_load_b128 v[10:13], v[5:6], off
	global_load_b128 v[34:37], v[5:6], off offset:16
	global_load_b128 v[53:56], v[5:6], off offset:32
	global_load_b128 v[57:60], v[5:6], off offset:48
	s_waitcnt vmcnt(3)
	v_lshlrev_b32_e32 v5, 16, v10
	v_and_b32_e32 v8, 0xffff0000, v10
	v_lshlrev_b32_e32 v10, 16, v11
	v_and_b32_e32 v15, 0xffff0000, v11
	;; [unrolled: 2-line block ×3, first 2 shown]
	v_max3_f32 v3, |v5|, 0, |v8|
	v_lshlrev_b32_e32 v23, 16, v13
	v_and_b32_e32 v26, 0xffff0000, v13
	s_waitcnt vmcnt(2)
	v_lshlrev_b32_e32 v28, 16, v34
	v_and_b32_e32 v32, 0xffff0000, v34
	v_max3_f32 v3, v3, |v10|, |v15|
	v_lshlrev_b32_e32 v34, 16, v35
	v_and_b32_e32 v38, 0xffff0000, v35
	v_lshlrev_b32_e32 v40, 16, v36
	v_and_b32_e32 v42, 0xffff0000, v36
	v_max3_f32 v3, v3, |v17|, |v21|
	v_lshlrev_b32_e32 v46, 16, v37
	v_and_b32_e32 v48, 0xffff0000, v37
	s_waitcnt vmcnt(1)
	v_lshlrev_b32_e32 v52, 16, v53
	v_and_b32_e32 v53, 0xffff0000, v53
	v_max3_f32 v3, v3, |v23|, |v26|
	v_lshlrev_b32_e32 v49, 16, v54
	v_and_b32_e32 v47, 0xffff0000, v54
	v_lshlrev_b32_e32 v43, 16, v55
	v_and_b32_e32 v41, 0xffff0000, v55
	v_max3_f32 v3, v3, |v28|, |v32|
	;; [unrolled: 11-line block ×3, first 2 shown]
	v_lshlrev_b32_e32 v14, 16, v60
	v_and_b32_e32 v9, 0xffff0000, v60
	s_delay_alu instid0(VALU_DEP_3) | instskip(NEXT) | instid1(VALU_DEP_1)
	v_max3_f32 v3, v3, |v46|, |v48|
	v_max3_f32 v3, v3, |v52|, |v53|
	s_delay_alu instid0(VALU_DEP_1) | instskip(NEXT) | instid1(VALU_DEP_1)
	v_max3_f32 v3, v3, |v49|, |v47|
	v_max3_f32 v3, v3, |v43|, |v41|
	s_delay_alu instid0(VALU_DEP_1) | instskip(NEXT) | instid1(VALU_DEP_1)
	;; [unrolled: 3-line block ×4, first 2 shown]
	v_max3_f32 v3, v3, |v14|, |v9|
	v_mul_f32_e32 v3, 0x3e2aaaab, v3
	s_delay_alu instid0(VALU_DEP_1) | instskip(SKIP_1) | instid1(VALU_DEP_2)
	v_and_b32_e32 v6, 0x7fffff, v3
	v_bfe_u32 v3, v3, 23, 8
	v_cmp_ne_u32_e32 vcc_lo, 0, v6
	s_delay_alu instid0(VALU_DEP_2) | instskip(SKIP_1) | instid1(VALU_DEP_2)
	v_add_co_ci_u32_e32 v6, vcc_lo, 0, v3, vcc_lo
	v_cmp_ne_u32_e32 vcc_lo, 0xff, v3
	v_lshlrev_b32_e32 v6, 23, v6
	s_delay_alu instid0(VALU_DEP_1) | instskip(NEXT) | instid1(VALU_DEP_1)
	v_cndmask_b32_e32 v3, 0x7f800000, v6, vcc_lo
	v_div_scale_f32 v6, null, v3, v3, 1.0
	v_div_scale_f32 v12, vcc_lo, 1.0, v3, 1.0
	s_delay_alu instid0(VALU_DEP_2) | instskip(SKIP_2) | instid1(VALU_DEP_1)
	v_rcp_f32_e32 v7, v6
	s_waitcnt_depctr 0xfff
	v_fma_f32 v11, -v6, v7, 1.0
	v_fmac_f32_e32 v7, v11, v7
	s_delay_alu instid0(VALU_DEP_1) | instskip(NEXT) | instid1(VALU_DEP_1)
	v_mul_f32_e32 v11, v12, v7
	v_fma_f32 v13, -v6, v11, v12
	s_delay_alu instid0(VALU_DEP_1) | instskip(NEXT) | instid1(VALU_DEP_1)
	v_fmac_f32_e32 v11, v13, v7
	v_fma_f32 v6, -v6, v11, v12
	s_delay_alu instid0(VALU_DEP_1) | instskip(SKIP_2) | instid1(VALU_DEP_3)
	v_div_fmas_f32 v6, v6, v7, v11
	v_cmp_neq_f32_e32 vcc_lo, 0, v3
	v_mov_b32_e32 v7, 7
	v_div_fixup_f32 v6, v6, v3, 1.0
	s_delay_alu instid0(VALU_DEP_1) | instskip(NEXT) | instid1(VALU_DEP_1)
	v_cndmask_b32_e32 v11, 0, v6, vcc_lo
	v_dual_mul_f32 v6, v11, v5 :: v_dual_mov_b32 v5, 7
	s_delay_alu instid0(VALU_DEP_1)
	v_cmpx_nle_f32_e64 0x40a00000, |v6|
	s_cbranch_execz .LBB29_17
; %bb.6:
	v_mov_b32_e32 v5, 6
	s_mov_b32 s3, exec_lo
	v_cmpx_nle_f32_e64 0x40600000, |v6|
	s_cbranch_execz .LBB29_16
; %bb.7:
	v_mov_b32_e32 v5, 5
	s_mov_b32 s6, exec_lo
	;; [unrolled: 5-line block ×5, first 2 shown]
	v_cmpx_nle_f32_e64 0x3f400000, |v6|
; %bb.11:
	v_cmp_le_f32_e64 s12, 0x3e800000, |v6|
	s_delay_alu instid0(VALU_DEP_1)
	v_cndmask_b32_e64 v5, 0, 1, s12
; %bb.12:
	s_or_b32 exec_lo, exec_lo, s11
.LBB29_13:
	s_delay_alu instid0(SALU_CYCLE_1)
	s_or_b32 exec_lo, exec_lo, s10
.LBB29_14:
	s_delay_alu instid0(SALU_CYCLE_1)
	s_or_b32 exec_lo, exec_lo, s9
.LBB29_15:
	s_delay_alu instid0(SALU_CYCLE_1)
	s_or_b32 exec_lo, exec_lo, s6
.LBB29_16:
	s_delay_alu instid0(SALU_CYCLE_1)
	s_or_b32 exec_lo, exec_lo, s3
.LBB29_17:
	s_delay_alu instid0(SALU_CYCLE_1) | instskip(SKIP_2) | instid1(VALU_DEP_1)
	s_or_b32 exec_lo, exec_lo, s2
	v_mul_f32_e32 v8, v11, v8
	s_mov_b32 s2, exec_lo
	v_cmpx_nle_f32_e64 0x40a00000, |v8|
	s_cbranch_execz .LBB29_29
; %bb.18:
	v_mov_b32_e32 v7, 6
	s_mov_b32 s3, exec_lo
	v_cmpx_nle_f32_e64 0x40600000, |v8|
	s_cbranch_execz .LBB29_28
; %bb.19:
	v_mov_b32_e32 v7, 5
	;; [unrolled: 5-line block ×5, first 2 shown]
	s_mov_b32 s11, exec_lo
	v_cmpx_nle_f32_e64 0x3f400000, |v8|
; %bb.23:
	v_cmp_le_f32_e64 s12, 0x3e800000, |v8|
	s_delay_alu instid0(VALU_DEP_1)
	v_cndmask_b32_e64 v7, 0, 1, s12
; %bb.24:
	s_or_b32 exec_lo, exec_lo, s11
.LBB29_25:
	s_delay_alu instid0(SALU_CYCLE_1)
	s_or_b32 exec_lo, exec_lo, s10
.LBB29_26:
	s_delay_alu instid0(SALU_CYCLE_1)
	s_or_b32 exec_lo, exec_lo, s9
.LBB29_27:
	s_delay_alu instid0(SALU_CYCLE_1)
	s_or_b32 exec_lo, exec_lo, s6
.LBB29_28:
	s_delay_alu instid0(SALU_CYCLE_1)
	s_or_b32 exec_lo, exec_lo, s3
.LBB29_29:
	s_delay_alu instid0(SALU_CYCLE_1) | instskip(SKIP_3) | instid1(VALU_DEP_2)
	s_or_b32 exec_lo, exec_lo, s2
	v_dual_mul_f32 v12, v11, v10 :: v_dual_mov_b32 v13, 7
	v_mov_b32_e32 v10, 7
	s_mov_b32 s2, exec_lo
	v_cmpx_nle_f32_e64 0x40a00000, |v12|
	s_cbranch_execz .LBB29_41
; %bb.30:
	v_mov_b32_e32 v13, 6
	s_mov_b32 s3, exec_lo
	v_cmpx_nle_f32_e64 0x40600000, |v12|
	s_cbranch_execz .LBB29_40
; %bb.31:
	;; [unrolled: 5-line block ×5, first 2 shown]
	v_mov_b32_e32 v13, 2
	s_mov_b32 s11, exec_lo
	v_cmpx_nle_f32_e64 0x3f400000, |v12|
; %bb.35:
	v_cmp_le_f32_e64 s12, 0x3e800000, |v12|
	s_delay_alu instid0(VALU_DEP_1)
	v_cndmask_b32_e64 v13, 0, 1, s12
; %bb.36:
	s_or_b32 exec_lo, exec_lo, s11
.LBB29_37:
	s_delay_alu instid0(SALU_CYCLE_1)
	s_or_b32 exec_lo, exec_lo, s10
.LBB29_38:
	s_delay_alu instid0(SALU_CYCLE_1)
	s_or_b32 exec_lo, exec_lo, s9
.LBB29_39:
	s_delay_alu instid0(SALU_CYCLE_1)
	s_or_b32 exec_lo, exec_lo, s6
.LBB29_40:
	s_delay_alu instid0(SALU_CYCLE_1)
	s_or_b32 exec_lo, exec_lo, s3
.LBB29_41:
	s_delay_alu instid0(SALU_CYCLE_1) | instskip(SKIP_2) | instid1(VALU_DEP_1)
	s_or_b32 exec_lo, exec_lo, s2
	v_mul_f32_e32 v15, v11, v15
	s_mov_b32 s2, exec_lo
	v_cmpx_nle_f32_e64 0x40a00000, |v15|
	s_cbranch_execz .LBB29_53
; %bb.42:
	v_mov_b32_e32 v10, 6
	s_mov_b32 s3, exec_lo
	v_cmpx_nle_f32_e64 0x40600000, |v15|
	s_cbranch_execz .LBB29_52
; %bb.43:
	v_mov_b32_e32 v10, 5
	;; [unrolled: 5-line block ×5, first 2 shown]
	s_mov_b32 s11, exec_lo
	v_cmpx_nle_f32_e64 0x3f400000, |v15|
; %bb.47:
	v_cmp_le_f32_e64 s12, 0x3e800000, |v15|
	s_delay_alu instid0(VALU_DEP_1)
	v_cndmask_b32_e64 v10, 0, 1, s12
; %bb.48:
	s_or_b32 exec_lo, exec_lo, s11
.LBB29_49:
	s_delay_alu instid0(SALU_CYCLE_1)
	s_or_b32 exec_lo, exec_lo, s10
.LBB29_50:
	s_delay_alu instid0(SALU_CYCLE_1)
	s_or_b32 exec_lo, exec_lo, s9
.LBB29_51:
	s_delay_alu instid0(SALU_CYCLE_1)
	s_or_b32 exec_lo, exec_lo, s6
.LBB29_52:
	s_delay_alu instid0(SALU_CYCLE_1)
	s_or_b32 exec_lo, exec_lo, s3
.LBB29_53:
	s_delay_alu instid0(SALU_CYCLE_1) | instskip(SKIP_3) | instid1(VALU_DEP_2)
	s_or_b32 exec_lo, exec_lo, s2
	v_dual_mul_f32 v19, v11, v17 :: v_dual_mov_b32 v18, 7
	v_mov_b32_e32 v17, 7
	s_mov_b32 s2, exec_lo
	v_cmpx_nle_f32_e64 0x40a00000, |v19|
	s_cbranch_execz .LBB29_65
; %bb.54:
	v_mov_b32_e32 v17, 6
	s_mov_b32 s3, exec_lo
	v_cmpx_nle_f32_e64 0x40600000, |v19|
	s_cbranch_execz .LBB29_64
; %bb.55:
	;; [unrolled: 5-line block ×5, first 2 shown]
	v_mov_b32_e32 v17, 2
	s_mov_b32 s11, exec_lo
	v_cmpx_nle_f32_e64 0x3f400000, |v19|
; %bb.59:
	v_cmp_le_f32_e64 s12, 0x3e800000, |v19|
	s_delay_alu instid0(VALU_DEP_1)
	v_cndmask_b32_e64 v17, 0, 1, s12
; %bb.60:
	s_or_b32 exec_lo, exec_lo, s11
.LBB29_61:
	s_delay_alu instid0(SALU_CYCLE_1)
	s_or_b32 exec_lo, exec_lo, s10
.LBB29_62:
	s_delay_alu instid0(SALU_CYCLE_1)
	s_or_b32 exec_lo, exec_lo, s9
.LBB29_63:
	s_delay_alu instid0(SALU_CYCLE_1)
	s_or_b32 exec_lo, exec_lo, s6
.LBB29_64:
	s_delay_alu instid0(SALU_CYCLE_1)
	s_or_b32 exec_lo, exec_lo, s3
.LBB29_65:
	s_delay_alu instid0(SALU_CYCLE_1) | instskip(SKIP_2) | instid1(VALU_DEP_1)
	s_or_b32 exec_lo, exec_lo, s2
	v_mul_f32_e32 v21, v11, v21
	s_mov_b32 s2, exec_lo
	v_cmpx_nle_f32_e64 0x40a00000, |v21|
	s_cbranch_execz .LBB29_77
; %bb.66:
	v_mov_b32_e32 v18, 6
	s_mov_b32 s3, exec_lo
	v_cmpx_nle_f32_e64 0x40600000, |v21|
	s_cbranch_execz .LBB29_76
; %bb.67:
	v_mov_b32_e32 v18, 5
	;; [unrolled: 5-line block ×5, first 2 shown]
	s_mov_b32 s11, exec_lo
	v_cmpx_nle_f32_e64 0x3f400000, |v21|
; %bb.71:
	v_cmp_le_f32_e64 s12, 0x3e800000, |v21|
	s_delay_alu instid0(VALU_DEP_1)
	v_cndmask_b32_e64 v18, 0, 1, s12
; %bb.72:
	s_or_b32 exec_lo, exec_lo, s11
.LBB29_73:
	s_delay_alu instid0(SALU_CYCLE_1)
	s_or_b32 exec_lo, exec_lo, s10
.LBB29_74:
	s_delay_alu instid0(SALU_CYCLE_1)
	s_or_b32 exec_lo, exec_lo, s9
.LBB29_75:
	s_delay_alu instid0(SALU_CYCLE_1)
	s_or_b32 exec_lo, exec_lo, s6
.LBB29_76:
	s_delay_alu instid0(SALU_CYCLE_1)
	s_or_b32 exec_lo, exec_lo, s3
.LBB29_77:
	s_delay_alu instid0(SALU_CYCLE_1) | instskip(SKIP_3) | instid1(VALU_DEP_2)
	s_or_b32 exec_lo, exec_lo, s2
	v_dual_mul_f32 v25, v11, v23 :: v_dual_mov_b32 v24, 7
	v_mov_b32_e32 v23, 7
	s_mov_b32 s2, exec_lo
	v_cmpx_nle_f32_e64 0x40a00000, |v25|
	s_cbranch_execz .LBB29_89
; %bb.78:
	v_mov_b32_e32 v24, 6
	s_mov_b32 s3, exec_lo
	v_cmpx_nle_f32_e64 0x40600000, |v25|
	s_cbranch_execz .LBB29_88
; %bb.79:
	;; [unrolled: 5-line block ×5, first 2 shown]
	v_mov_b32_e32 v24, 2
	s_mov_b32 s11, exec_lo
	v_cmpx_nle_f32_e64 0x3f400000, |v25|
; %bb.83:
	v_cmp_le_f32_e64 s12, 0x3e800000, |v25|
	s_delay_alu instid0(VALU_DEP_1)
	v_cndmask_b32_e64 v24, 0, 1, s12
; %bb.84:
	s_or_b32 exec_lo, exec_lo, s11
.LBB29_85:
	s_delay_alu instid0(SALU_CYCLE_1)
	s_or_b32 exec_lo, exec_lo, s10
.LBB29_86:
	s_delay_alu instid0(SALU_CYCLE_1)
	s_or_b32 exec_lo, exec_lo, s9
.LBB29_87:
	s_delay_alu instid0(SALU_CYCLE_1)
	s_or_b32 exec_lo, exec_lo, s6
.LBB29_88:
	s_delay_alu instid0(SALU_CYCLE_1)
	s_or_b32 exec_lo, exec_lo, s3
.LBB29_89:
	s_delay_alu instid0(SALU_CYCLE_1) | instskip(SKIP_2) | instid1(VALU_DEP_1)
	s_or_b32 exec_lo, exec_lo, s2
	v_mul_f32_e32 v26, v11, v26
	s_mov_b32 s2, exec_lo
	v_cmpx_nle_f32_e64 0x40a00000, |v26|
	s_cbranch_execz .LBB29_101
; %bb.90:
	v_mov_b32_e32 v23, 6
	s_mov_b32 s3, exec_lo
	v_cmpx_nle_f32_e64 0x40600000, |v26|
	s_cbranch_execz .LBB29_100
; %bb.91:
	v_mov_b32_e32 v23, 5
	;; [unrolled: 5-line block ×5, first 2 shown]
	s_mov_b32 s11, exec_lo
	v_cmpx_nle_f32_e64 0x3f400000, |v26|
; %bb.95:
	v_cmp_le_f32_e64 s12, 0x3e800000, |v26|
	s_delay_alu instid0(VALU_DEP_1)
	v_cndmask_b32_e64 v23, 0, 1, s12
; %bb.96:
	s_or_b32 exec_lo, exec_lo, s11
.LBB29_97:
	s_delay_alu instid0(SALU_CYCLE_1)
	s_or_b32 exec_lo, exec_lo, s10
.LBB29_98:
	s_delay_alu instid0(SALU_CYCLE_1)
	s_or_b32 exec_lo, exec_lo, s9
.LBB29_99:
	s_delay_alu instid0(SALU_CYCLE_1)
	s_or_b32 exec_lo, exec_lo, s6
.LBB29_100:
	s_delay_alu instid0(SALU_CYCLE_1)
	s_or_b32 exec_lo, exec_lo, s3
.LBB29_101:
	s_delay_alu instid0(SALU_CYCLE_1) | instskip(SKIP_3) | instid1(VALU_DEP_2)
	s_or_b32 exec_lo, exec_lo, s2
	v_dual_mul_f32 v31, v11, v28 :: v_dual_mov_b32 v28, 7
	v_mov_b32_e32 v30, 7
	s_mov_b32 s2, exec_lo
	v_cmpx_nle_f32_e64 0x40a00000, |v31|
	s_cbranch_execz .LBB29_113
; %bb.102:
	v_mov_b32_e32 v30, 6
	s_mov_b32 s3, exec_lo
	v_cmpx_nle_f32_e64 0x40600000, |v31|
	s_cbranch_execz .LBB29_112
; %bb.103:
	;; [unrolled: 5-line block ×5, first 2 shown]
	v_mov_b32_e32 v30, 2
	s_mov_b32 s11, exec_lo
	v_cmpx_nle_f32_e64 0x3f400000, |v31|
; %bb.107:
	v_cmp_le_f32_e64 s12, 0x3e800000, |v31|
	s_delay_alu instid0(VALU_DEP_1)
	v_cndmask_b32_e64 v30, 0, 1, s12
; %bb.108:
	s_or_b32 exec_lo, exec_lo, s11
.LBB29_109:
	s_delay_alu instid0(SALU_CYCLE_1)
	s_or_b32 exec_lo, exec_lo, s10
.LBB29_110:
	s_delay_alu instid0(SALU_CYCLE_1)
	s_or_b32 exec_lo, exec_lo, s9
.LBB29_111:
	s_delay_alu instid0(SALU_CYCLE_1)
	s_or_b32 exec_lo, exec_lo, s6
.LBB29_112:
	s_delay_alu instid0(SALU_CYCLE_1)
	s_or_b32 exec_lo, exec_lo, s3
.LBB29_113:
	s_delay_alu instid0(SALU_CYCLE_1) | instskip(SKIP_2) | instid1(VALU_DEP_1)
	s_or_b32 exec_lo, exec_lo, s2
	v_mul_f32_e32 v32, v11, v32
	s_mov_b32 s2, exec_lo
	v_cmpx_nle_f32_e64 0x40a00000, |v32|
	s_cbranch_execz .LBB29_125
; %bb.114:
	v_mov_b32_e32 v28, 6
	s_mov_b32 s3, exec_lo
	v_cmpx_nle_f32_e64 0x40600000, |v32|
	s_cbranch_execz .LBB29_124
; %bb.115:
	v_mov_b32_e32 v28, 5
	;; [unrolled: 5-line block ×5, first 2 shown]
	s_mov_b32 s11, exec_lo
	v_cmpx_nle_f32_e64 0x3f400000, |v32|
; %bb.119:
	v_cmp_le_f32_e64 s12, 0x3e800000, |v32|
	s_delay_alu instid0(VALU_DEP_1)
	v_cndmask_b32_e64 v28, 0, 1, s12
; %bb.120:
	s_or_b32 exec_lo, exec_lo, s11
.LBB29_121:
	s_delay_alu instid0(SALU_CYCLE_1)
	s_or_b32 exec_lo, exec_lo, s10
.LBB29_122:
	s_delay_alu instid0(SALU_CYCLE_1)
	s_or_b32 exec_lo, exec_lo, s9
.LBB29_123:
	s_delay_alu instid0(SALU_CYCLE_1)
	s_or_b32 exec_lo, exec_lo, s6
.LBB29_124:
	s_delay_alu instid0(SALU_CYCLE_1)
	s_or_b32 exec_lo, exec_lo, s3
.LBB29_125:
	s_delay_alu instid0(SALU_CYCLE_1) | instskip(SKIP_3) | instid1(VALU_DEP_2)
	s_or_b32 exec_lo, exec_lo, s2
	v_dual_mul_f32 v37, v11, v34 :: v_dual_mov_b32 v34, 7
	v_mov_b32_e32 v36, 7
	s_mov_b32 s2, exec_lo
	v_cmpx_nle_f32_e64 0x40a00000, |v37|
	s_cbranch_execz .LBB29_137
; %bb.126:
	v_mov_b32_e32 v36, 6
	s_mov_b32 s3, exec_lo
	v_cmpx_nle_f32_e64 0x40600000, |v37|
	s_cbranch_execz .LBB29_136
; %bb.127:
	;; [unrolled: 5-line block ×5, first 2 shown]
	v_mov_b32_e32 v36, 2
	s_mov_b32 s11, exec_lo
	v_cmpx_nle_f32_e64 0x3f400000, |v37|
; %bb.131:
	v_cmp_le_f32_e64 s12, 0x3e800000, |v37|
	s_delay_alu instid0(VALU_DEP_1)
	v_cndmask_b32_e64 v36, 0, 1, s12
; %bb.132:
	s_or_b32 exec_lo, exec_lo, s11
.LBB29_133:
	s_delay_alu instid0(SALU_CYCLE_1)
	s_or_b32 exec_lo, exec_lo, s10
.LBB29_134:
	s_delay_alu instid0(SALU_CYCLE_1)
	s_or_b32 exec_lo, exec_lo, s9
.LBB29_135:
	s_delay_alu instid0(SALU_CYCLE_1)
	s_or_b32 exec_lo, exec_lo, s6
.LBB29_136:
	s_delay_alu instid0(SALU_CYCLE_1)
	s_or_b32 exec_lo, exec_lo, s3
.LBB29_137:
	s_delay_alu instid0(SALU_CYCLE_1) | instskip(SKIP_2) | instid1(VALU_DEP_1)
	s_or_b32 exec_lo, exec_lo, s2
	v_mul_f32_e32 v38, v11, v38
	s_mov_b32 s2, exec_lo
	v_cmpx_nle_f32_e64 0x40a00000, |v38|
	s_cbranch_execz .LBB29_149
; %bb.138:
	v_mov_b32_e32 v34, 6
	s_mov_b32 s3, exec_lo
	v_cmpx_nle_f32_e64 0x40600000, |v38|
	s_cbranch_execz .LBB29_148
; %bb.139:
	v_mov_b32_e32 v34, 5
	s_mov_b32 s6, exec_lo
	v_cmpx_nle_f32_e64 0x40200000, |v38|
	s_cbranch_execz .LBB29_147
; %bb.140:
	v_mov_b32_e32 v34, 4
	s_mov_b32 s9, exec_lo
	v_cmpx_nle_f32_e64 0x3fe00000, |v38|
	s_cbranch_execz .LBB29_146
; %bb.141:
	v_mov_b32_e32 v34, 3
	s_mov_b32 s10, exec_lo
	v_cmpx_nle_f32_e64 0x3fa00000, |v38|
	s_cbranch_execz .LBB29_145
; %bb.142:
	v_mov_b32_e32 v34, 2
	s_mov_b32 s11, exec_lo
	v_cmpx_nle_f32_e64 0x3f400000, |v38|
; %bb.143:
	v_cmp_le_f32_e64 s12, 0x3e800000, |v38|
	s_delay_alu instid0(VALU_DEP_1)
	v_cndmask_b32_e64 v34, 0, 1, s12
; %bb.144:
	s_or_b32 exec_lo, exec_lo, s11
.LBB29_145:
	s_delay_alu instid0(SALU_CYCLE_1)
	s_or_b32 exec_lo, exec_lo, s10
.LBB29_146:
	s_delay_alu instid0(SALU_CYCLE_1)
	s_or_b32 exec_lo, exec_lo, s9
.LBB29_147:
	s_delay_alu instid0(SALU_CYCLE_1)
	s_or_b32 exec_lo, exec_lo, s6
.LBB29_148:
	s_delay_alu instid0(SALU_CYCLE_1)
	s_or_b32 exec_lo, exec_lo, s3
.LBB29_149:
	s_delay_alu instid0(SALU_CYCLE_1) | instskip(SKIP_3) | instid1(VALU_DEP_2)
	s_or_b32 exec_lo, exec_lo, s2
	v_dual_mul_f32 v44, v11, v40 :: v_dual_mov_b32 v45, 7
	v_mov_b32_e32 v40, 7
	s_mov_b32 s2, exec_lo
	v_cmpx_nle_f32_e64 0x40a00000, |v44|
	s_cbranch_execz .LBB29_161
; %bb.150:
	v_mov_b32_e32 v45, 6
	s_mov_b32 s3, exec_lo
	v_cmpx_nle_f32_e64 0x40600000, |v44|
	s_cbranch_execz .LBB29_160
; %bb.151:
	;; [unrolled: 5-line block ×5, first 2 shown]
	v_mov_b32_e32 v45, 2
	s_mov_b32 s11, exec_lo
	v_cmpx_nle_f32_e64 0x3f400000, |v44|
; %bb.155:
	v_cmp_le_f32_e64 s12, 0x3e800000, |v44|
	s_delay_alu instid0(VALU_DEP_1)
	v_cndmask_b32_e64 v45, 0, 1, s12
; %bb.156:
	s_or_b32 exec_lo, exec_lo, s11
.LBB29_157:
	s_delay_alu instid0(SALU_CYCLE_1)
	s_or_b32 exec_lo, exec_lo, s10
.LBB29_158:
	s_delay_alu instid0(SALU_CYCLE_1)
	s_or_b32 exec_lo, exec_lo, s9
.LBB29_159:
	s_delay_alu instid0(SALU_CYCLE_1)
	s_or_b32 exec_lo, exec_lo, s6
.LBB29_160:
	s_delay_alu instid0(SALU_CYCLE_1)
	s_or_b32 exec_lo, exec_lo, s3
.LBB29_161:
	s_delay_alu instid0(SALU_CYCLE_1) | instskip(SKIP_2) | instid1(VALU_DEP_1)
	s_or_b32 exec_lo, exec_lo, s2
	v_mul_f32_e32 v42, v11, v42
	s_mov_b32 s2, exec_lo
	v_cmpx_nle_f32_e64 0x40a00000, |v42|
	s_cbranch_execz .LBB29_173
; %bb.162:
	v_mov_b32_e32 v40, 6
	s_mov_b32 s3, exec_lo
	v_cmpx_nle_f32_e64 0x40600000, |v42|
	s_cbranch_execz .LBB29_172
; %bb.163:
	v_mov_b32_e32 v40, 5
	;; [unrolled: 5-line block ×5, first 2 shown]
	s_mov_b32 s11, exec_lo
	v_cmpx_nle_f32_e64 0x3f400000, |v42|
; %bb.167:
	v_cmp_le_f32_e64 s12, 0x3e800000, |v42|
	s_delay_alu instid0(VALU_DEP_1)
	v_cndmask_b32_e64 v40, 0, 1, s12
; %bb.168:
	s_or_b32 exec_lo, exec_lo, s11
.LBB29_169:
	s_delay_alu instid0(SALU_CYCLE_1)
	s_or_b32 exec_lo, exec_lo, s10
.LBB29_170:
	s_delay_alu instid0(SALU_CYCLE_1)
	s_or_b32 exec_lo, exec_lo, s9
.LBB29_171:
	s_delay_alu instid0(SALU_CYCLE_1)
	s_or_b32 exec_lo, exec_lo, s6
.LBB29_172:
	s_delay_alu instid0(SALU_CYCLE_1)
	s_or_b32 exec_lo, exec_lo, s3
.LBB29_173:
	s_delay_alu instid0(SALU_CYCLE_1) | instskip(SKIP_3) | instid1(VALU_DEP_2)
	s_or_b32 exec_lo, exec_lo, s2
	v_dual_mul_f32 v51, v11, v46 :: v_dual_mov_b32 v46, 7
	v_mov_b32_e32 v50, 7
	s_mov_b32 s2, exec_lo
	v_cmpx_nle_f32_e64 0x40a00000, |v51|
	s_cbranch_execz .LBB29_185
; %bb.174:
	v_mov_b32_e32 v50, 6
	s_mov_b32 s3, exec_lo
	v_cmpx_nle_f32_e64 0x40600000, |v51|
	s_cbranch_execz .LBB29_184
; %bb.175:
	;; [unrolled: 5-line block ×5, first 2 shown]
	v_mov_b32_e32 v50, 2
	s_mov_b32 s11, exec_lo
	v_cmpx_nle_f32_e64 0x3f400000, |v51|
; %bb.179:
	v_cmp_le_f32_e64 s12, 0x3e800000, |v51|
	s_delay_alu instid0(VALU_DEP_1)
	v_cndmask_b32_e64 v50, 0, 1, s12
; %bb.180:
	s_or_b32 exec_lo, exec_lo, s11
.LBB29_181:
	s_delay_alu instid0(SALU_CYCLE_1)
	s_or_b32 exec_lo, exec_lo, s10
.LBB29_182:
	s_delay_alu instid0(SALU_CYCLE_1)
	s_or_b32 exec_lo, exec_lo, s9
.LBB29_183:
	s_delay_alu instid0(SALU_CYCLE_1)
	s_or_b32 exec_lo, exec_lo, s6
.LBB29_184:
	s_delay_alu instid0(SALU_CYCLE_1)
	s_or_b32 exec_lo, exec_lo, s3
.LBB29_185:
	s_delay_alu instid0(SALU_CYCLE_1) | instskip(SKIP_2) | instid1(VALU_DEP_1)
	s_or_b32 exec_lo, exec_lo, s2
	v_mul_f32_e32 v48, v11, v48
	s_mov_b32 s2, exec_lo
	v_cmpx_nle_f32_e64 0x40a00000, |v48|
	s_cbranch_execz .LBB29_197
; %bb.186:
	v_mov_b32_e32 v46, 6
	s_mov_b32 s3, exec_lo
	v_cmpx_nle_f32_e64 0x40600000, |v48|
	s_cbranch_execz .LBB29_196
; %bb.187:
	v_mov_b32_e32 v46, 5
	;; [unrolled: 5-line block ×5, first 2 shown]
	s_mov_b32 s11, exec_lo
	v_cmpx_nle_f32_e64 0x3f400000, |v48|
; %bb.191:
	v_cmp_le_f32_e64 s12, 0x3e800000, |v48|
	s_delay_alu instid0(VALU_DEP_1)
	v_cndmask_b32_e64 v46, 0, 1, s12
; %bb.192:
	s_or_b32 exec_lo, exec_lo, s11
.LBB29_193:
	s_delay_alu instid0(SALU_CYCLE_1)
	s_or_b32 exec_lo, exec_lo, s10
.LBB29_194:
	s_delay_alu instid0(SALU_CYCLE_1)
	s_or_b32 exec_lo, exec_lo, s9
.LBB29_195:
	s_delay_alu instid0(SALU_CYCLE_1)
	s_or_b32 exec_lo, exec_lo, s6
.LBB29_196:
	s_delay_alu instid0(SALU_CYCLE_1)
	s_or_b32 exec_lo, exec_lo, s3
.LBB29_197:
	s_delay_alu instid0(SALU_CYCLE_1) | instskip(SKIP_3) | instid1(VALU_DEP_2)
	s_or_b32 exec_lo, exec_lo, s2
	v_dual_mul_f32 v55, v11, v52 :: v_dual_mov_b32 v52, 7
	v_mov_b32_e32 v54, 7
	s_mov_b32 s2, exec_lo
	v_cmpx_nle_f32_e64 0x40a00000, |v55|
	s_cbranch_execz .LBB29_209
; %bb.198:
	v_mov_b32_e32 v54, 6
	s_mov_b32 s3, exec_lo
	v_cmpx_nle_f32_e64 0x40600000, |v55|
	s_cbranch_execz .LBB29_208
; %bb.199:
	;; [unrolled: 5-line block ×5, first 2 shown]
	v_mov_b32_e32 v54, 2
	s_mov_b32 s11, exec_lo
	v_cmpx_nle_f32_e64 0x3f400000, |v55|
; %bb.203:
	v_cmp_le_f32_e64 s12, 0x3e800000, |v55|
	s_delay_alu instid0(VALU_DEP_1)
	v_cndmask_b32_e64 v54, 0, 1, s12
; %bb.204:
	s_or_b32 exec_lo, exec_lo, s11
.LBB29_205:
	s_delay_alu instid0(SALU_CYCLE_1)
	s_or_b32 exec_lo, exec_lo, s10
.LBB29_206:
	s_delay_alu instid0(SALU_CYCLE_1)
	s_or_b32 exec_lo, exec_lo, s9
.LBB29_207:
	s_delay_alu instid0(SALU_CYCLE_1)
	s_or_b32 exec_lo, exec_lo, s6
.LBB29_208:
	s_delay_alu instid0(SALU_CYCLE_1)
	s_or_b32 exec_lo, exec_lo, s3
.LBB29_209:
	s_delay_alu instid0(SALU_CYCLE_1) | instskip(SKIP_2) | instid1(VALU_DEP_1)
	s_or_b32 exec_lo, exec_lo, s2
	v_mul_f32_e32 v53, v11, v53
	s_mov_b32 s2, exec_lo
	v_cmpx_nle_f32_e64 0x40a00000, |v53|
	s_cbranch_execz .LBB29_221
; %bb.210:
	v_mov_b32_e32 v52, 6
	s_mov_b32 s3, exec_lo
	v_cmpx_nle_f32_e64 0x40600000, |v53|
	s_cbranch_execz .LBB29_220
; %bb.211:
	v_mov_b32_e32 v52, 5
	;; [unrolled: 5-line block ×5, first 2 shown]
	s_mov_b32 s11, exec_lo
	v_cmpx_nle_f32_e64 0x3f400000, |v53|
; %bb.215:
	v_cmp_le_f32_e64 s12, 0x3e800000, |v53|
	s_delay_alu instid0(VALU_DEP_1)
	v_cndmask_b32_e64 v52, 0, 1, s12
; %bb.216:
	s_or_b32 exec_lo, exec_lo, s11
.LBB29_217:
	s_delay_alu instid0(SALU_CYCLE_1)
	s_or_b32 exec_lo, exec_lo, s10
.LBB29_218:
	s_delay_alu instid0(SALU_CYCLE_1)
	s_or_b32 exec_lo, exec_lo, s9
.LBB29_219:
	s_delay_alu instid0(SALU_CYCLE_1)
	s_or_b32 exec_lo, exec_lo, s6
.LBB29_220:
	s_delay_alu instid0(SALU_CYCLE_1)
	s_or_b32 exec_lo, exec_lo, s3
.LBB29_221:
	s_delay_alu instid0(SALU_CYCLE_1) | instskip(SKIP_3) | instid1(VALU_DEP_2)
	s_or_b32 exec_lo, exec_lo, s2
	v_dual_mul_f32 v57, v11, v49 :: v_dual_mov_b32 v56, 7
	v_mov_b32_e32 v49, 7
	s_mov_b32 s2, exec_lo
	v_cmpx_nle_f32_e64 0x40a00000, |v57|
	s_cbranch_execz .LBB29_233
; %bb.222:
	v_mov_b32_e32 v56, 6
	s_mov_b32 s3, exec_lo
	v_cmpx_nle_f32_e64 0x40600000, |v57|
	s_cbranch_execz .LBB29_232
; %bb.223:
	;; [unrolled: 5-line block ×5, first 2 shown]
	v_mov_b32_e32 v56, 2
	s_mov_b32 s11, exec_lo
	v_cmpx_nle_f32_e64 0x3f400000, |v57|
; %bb.227:
	v_cmp_le_f32_e64 s12, 0x3e800000, |v57|
	s_delay_alu instid0(VALU_DEP_1)
	v_cndmask_b32_e64 v56, 0, 1, s12
; %bb.228:
	s_or_b32 exec_lo, exec_lo, s11
.LBB29_229:
	s_delay_alu instid0(SALU_CYCLE_1)
	s_or_b32 exec_lo, exec_lo, s10
.LBB29_230:
	s_delay_alu instid0(SALU_CYCLE_1)
	s_or_b32 exec_lo, exec_lo, s9
.LBB29_231:
	s_delay_alu instid0(SALU_CYCLE_1)
	s_or_b32 exec_lo, exec_lo, s6
.LBB29_232:
	s_delay_alu instid0(SALU_CYCLE_1)
	s_or_b32 exec_lo, exec_lo, s3
.LBB29_233:
	s_delay_alu instid0(SALU_CYCLE_1) | instskip(SKIP_2) | instid1(VALU_DEP_1)
	s_or_b32 exec_lo, exec_lo, s2
	v_mul_f32_e32 v47, v11, v47
	s_mov_b32 s2, exec_lo
	v_cmpx_nle_f32_e64 0x40a00000, |v47|
	s_cbranch_execz .LBB29_245
; %bb.234:
	v_mov_b32_e32 v49, 6
	s_mov_b32 s3, exec_lo
	v_cmpx_nle_f32_e64 0x40600000, |v47|
	s_cbranch_execz .LBB29_244
; %bb.235:
	v_mov_b32_e32 v49, 5
	s_mov_b32 s6, exec_lo
	v_cmpx_nle_f32_e64 0x40200000, |v47|
	s_cbranch_execz .LBB29_243
; %bb.236:
	v_mov_b32_e32 v49, 4
	s_mov_b32 s9, exec_lo
	v_cmpx_nle_f32_e64 0x3fe00000, |v47|
	s_cbranch_execz .LBB29_242
; %bb.237:
	v_mov_b32_e32 v49, 3
	s_mov_b32 s10, exec_lo
	v_cmpx_nle_f32_e64 0x3fa00000, |v47|
	s_cbranch_execz .LBB29_241
; %bb.238:
	v_mov_b32_e32 v49, 2
	s_mov_b32 s11, exec_lo
	v_cmpx_nle_f32_e64 0x3f400000, |v47|
; %bb.239:
	v_cmp_le_f32_e64 s12, 0x3e800000, |v47|
	s_delay_alu instid0(VALU_DEP_1)
	v_cndmask_b32_e64 v49, 0, 1, s12
; %bb.240:
	s_or_b32 exec_lo, exec_lo, s11
.LBB29_241:
	s_delay_alu instid0(SALU_CYCLE_1)
	s_or_b32 exec_lo, exec_lo, s10
.LBB29_242:
	s_delay_alu instid0(SALU_CYCLE_1)
	s_or_b32 exec_lo, exec_lo, s9
.LBB29_243:
	s_delay_alu instid0(SALU_CYCLE_1)
	s_or_b32 exec_lo, exec_lo, s6
.LBB29_244:
	s_delay_alu instid0(SALU_CYCLE_1)
	s_or_b32 exec_lo, exec_lo, s3
.LBB29_245:
	s_delay_alu instid0(SALU_CYCLE_1) | instskip(SKIP_3) | instid1(VALU_DEP_2)
	s_or_b32 exec_lo, exec_lo, s2
	v_dual_mul_f32 v59, v11, v43 :: v_dual_mov_b32 v58, 7
	v_mov_b32_e32 v43, 7
	s_mov_b32 s2, exec_lo
	v_cmpx_nle_f32_e64 0x40a00000, |v59|
	s_cbranch_execz .LBB29_257
; %bb.246:
	v_mov_b32_e32 v58, 6
	s_mov_b32 s3, exec_lo
	v_cmpx_nle_f32_e64 0x40600000, |v59|
	s_cbranch_execz .LBB29_256
; %bb.247:
	;; [unrolled: 5-line block ×5, first 2 shown]
	v_mov_b32_e32 v58, 2
	s_mov_b32 s11, exec_lo
	v_cmpx_nle_f32_e64 0x3f400000, |v59|
; %bb.251:
	v_cmp_le_f32_e64 s12, 0x3e800000, |v59|
	s_delay_alu instid0(VALU_DEP_1)
	v_cndmask_b32_e64 v58, 0, 1, s12
; %bb.252:
	s_or_b32 exec_lo, exec_lo, s11
.LBB29_253:
	s_delay_alu instid0(SALU_CYCLE_1)
	s_or_b32 exec_lo, exec_lo, s10
.LBB29_254:
	s_delay_alu instid0(SALU_CYCLE_1)
	s_or_b32 exec_lo, exec_lo, s9
.LBB29_255:
	s_delay_alu instid0(SALU_CYCLE_1)
	s_or_b32 exec_lo, exec_lo, s6
.LBB29_256:
	s_delay_alu instid0(SALU_CYCLE_1)
	s_or_b32 exec_lo, exec_lo, s3
.LBB29_257:
	s_delay_alu instid0(SALU_CYCLE_1) | instskip(SKIP_2) | instid1(VALU_DEP_1)
	s_or_b32 exec_lo, exec_lo, s2
	v_mul_f32_e32 v41, v11, v41
	s_mov_b32 s2, exec_lo
	v_cmpx_nle_f32_e64 0x40a00000, |v41|
	s_cbranch_execz .LBB29_269
; %bb.258:
	v_mov_b32_e32 v43, 6
	s_mov_b32 s3, exec_lo
	v_cmpx_nle_f32_e64 0x40600000, |v41|
	s_cbranch_execz .LBB29_268
; %bb.259:
	v_mov_b32_e32 v43, 5
	;; [unrolled: 5-line block ×5, first 2 shown]
	s_mov_b32 s11, exec_lo
	v_cmpx_nle_f32_e64 0x3f400000, |v41|
; %bb.263:
	v_cmp_le_f32_e64 s12, 0x3e800000, |v41|
	s_delay_alu instid0(VALU_DEP_1)
	v_cndmask_b32_e64 v43, 0, 1, s12
; %bb.264:
	s_or_b32 exec_lo, exec_lo, s11
.LBB29_265:
	s_delay_alu instid0(SALU_CYCLE_1)
	s_or_b32 exec_lo, exec_lo, s10
.LBB29_266:
	s_delay_alu instid0(SALU_CYCLE_1)
	s_or_b32 exec_lo, exec_lo, s9
.LBB29_267:
	s_delay_alu instid0(SALU_CYCLE_1)
	s_or_b32 exec_lo, exec_lo, s6
.LBB29_268:
	s_delay_alu instid0(SALU_CYCLE_1)
	s_or_b32 exec_lo, exec_lo, s3
.LBB29_269:
	s_delay_alu instid0(SALU_CYCLE_1) | instskip(SKIP_3) | instid1(VALU_DEP_2)
	s_or_b32 exec_lo, exec_lo, s2
	v_dual_mul_f32 v60, v11, v39 :: v_dual_mov_b32 v39, 7
	v_mov_b32_e32 v61, 7
	s_mov_b32 s2, exec_lo
	v_cmpx_nle_f32_e64 0x40a00000, |v60|
	s_cbranch_execz .LBB29_281
; %bb.270:
	v_mov_b32_e32 v61, 6
	s_mov_b32 s3, exec_lo
	v_cmpx_nle_f32_e64 0x40600000, |v60|
	s_cbranch_execz .LBB29_280
; %bb.271:
	;; [unrolled: 5-line block ×5, first 2 shown]
	v_mov_b32_e32 v61, 2
	s_mov_b32 s11, exec_lo
	v_cmpx_nle_f32_e64 0x3f400000, |v60|
; %bb.275:
	v_cmp_le_f32_e64 s12, 0x3e800000, |v60|
	s_delay_alu instid0(VALU_DEP_1)
	v_cndmask_b32_e64 v61, 0, 1, s12
; %bb.276:
	s_or_b32 exec_lo, exec_lo, s11
.LBB29_277:
	s_delay_alu instid0(SALU_CYCLE_1)
	s_or_b32 exec_lo, exec_lo, s10
.LBB29_278:
	s_delay_alu instid0(SALU_CYCLE_1)
	s_or_b32 exec_lo, exec_lo, s9
.LBB29_279:
	s_delay_alu instid0(SALU_CYCLE_1)
	s_or_b32 exec_lo, exec_lo, s6
.LBB29_280:
	s_delay_alu instid0(SALU_CYCLE_1)
	s_or_b32 exec_lo, exec_lo, s3
.LBB29_281:
	s_delay_alu instid0(SALU_CYCLE_1) | instskip(SKIP_2) | instid1(VALU_DEP_1)
	s_or_b32 exec_lo, exec_lo, s2
	v_mul_f32_e32 v35, v11, v35
	s_mov_b32 s2, exec_lo
	v_cmpx_nle_f32_e64 0x40a00000, |v35|
	s_cbranch_execz .LBB29_293
; %bb.282:
	v_mov_b32_e32 v39, 6
	s_mov_b32 s3, exec_lo
	v_cmpx_nle_f32_e64 0x40600000, |v35|
	s_cbranch_execz .LBB29_292
; %bb.283:
	v_mov_b32_e32 v39, 5
	;; [unrolled: 5-line block ×5, first 2 shown]
	s_mov_b32 s11, exec_lo
	v_cmpx_nle_f32_e64 0x3f400000, |v35|
; %bb.287:
	v_cmp_le_f32_e64 s12, 0x3e800000, |v35|
	s_delay_alu instid0(VALU_DEP_1)
	v_cndmask_b32_e64 v39, 0, 1, s12
; %bb.288:
	s_or_b32 exec_lo, exec_lo, s11
.LBB29_289:
	s_delay_alu instid0(SALU_CYCLE_1)
	s_or_b32 exec_lo, exec_lo, s10
.LBB29_290:
	s_delay_alu instid0(SALU_CYCLE_1)
	s_or_b32 exec_lo, exec_lo, s9
.LBB29_291:
	s_delay_alu instid0(SALU_CYCLE_1)
	s_or_b32 exec_lo, exec_lo, s6
.LBB29_292:
	s_delay_alu instid0(SALU_CYCLE_1)
	s_or_b32 exec_lo, exec_lo, s3
.LBB29_293:
	s_delay_alu instid0(SALU_CYCLE_1) | instskip(SKIP_3) | instid1(VALU_DEP_2)
	s_or_b32 exec_lo, exec_lo, s2
	v_dual_mul_f32 v63, v11, v33 :: v_dual_mov_b32 v62, 7
	v_mov_b32_e32 v33, 7
	s_mov_b32 s2, exec_lo
	v_cmpx_nle_f32_e64 0x40a00000, |v63|
	s_cbranch_execz .LBB29_305
; %bb.294:
	v_mov_b32_e32 v62, 6
	s_mov_b32 s3, exec_lo
	v_cmpx_nle_f32_e64 0x40600000, |v63|
	s_cbranch_execz .LBB29_304
; %bb.295:
	;; [unrolled: 5-line block ×5, first 2 shown]
	v_mov_b32_e32 v62, 2
	s_mov_b32 s11, exec_lo
	v_cmpx_nle_f32_e64 0x3f400000, |v63|
; %bb.299:
	v_cmp_le_f32_e64 s12, 0x3e800000, |v63|
	s_delay_alu instid0(VALU_DEP_1)
	v_cndmask_b32_e64 v62, 0, 1, s12
; %bb.300:
	s_or_b32 exec_lo, exec_lo, s11
.LBB29_301:
	s_delay_alu instid0(SALU_CYCLE_1)
	s_or_b32 exec_lo, exec_lo, s10
.LBB29_302:
	s_delay_alu instid0(SALU_CYCLE_1)
	s_or_b32 exec_lo, exec_lo, s9
.LBB29_303:
	s_delay_alu instid0(SALU_CYCLE_1)
	s_or_b32 exec_lo, exec_lo, s6
.LBB29_304:
	s_delay_alu instid0(SALU_CYCLE_1)
	s_or_b32 exec_lo, exec_lo, s3
.LBB29_305:
	s_delay_alu instid0(SALU_CYCLE_1) | instskip(SKIP_2) | instid1(VALU_DEP_1)
	s_or_b32 exec_lo, exec_lo, s2
	v_mul_f32_e32 v29, v11, v29
	s_mov_b32 s2, exec_lo
	v_cmpx_nle_f32_e64 0x40a00000, |v29|
	s_cbranch_execz .LBB29_317
; %bb.306:
	v_mov_b32_e32 v33, 6
	s_mov_b32 s3, exec_lo
	v_cmpx_nle_f32_e64 0x40600000, |v29|
	s_cbranch_execz .LBB29_316
; %bb.307:
	v_mov_b32_e32 v33, 5
	;; [unrolled: 5-line block ×5, first 2 shown]
	s_mov_b32 s11, exec_lo
	v_cmpx_nle_f32_e64 0x3f400000, |v29|
; %bb.311:
	v_cmp_le_f32_e64 s12, 0x3e800000, |v29|
	s_delay_alu instid0(VALU_DEP_1)
	v_cndmask_b32_e64 v33, 0, 1, s12
; %bb.312:
	s_or_b32 exec_lo, exec_lo, s11
.LBB29_313:
	s_delay_alu instid0(SALU_CYCLE_1)
	s_or_b32 exec_lo, exec_lo, s10
.LBB29_314:
	s_delay_alu instid0(SALU_CYCLE_1)
	s_or_b32 exec_lo, exec_lo, s9
.LBB29_315:
	s_delay_alu instid0(SALU_CYCLE_1)
	s_or_b32 exec_lo, exec_lo, s6
.LBB29_316:
	s_delay_alu instid0(SALU_CYCLE_1)
	s_or_b32 exec_lo, exec_lo, s3
.LBB29_317:
	s_delay_alu instid0(SALU_CYCLE_1) | instskip(SKIP_3) | instid1(VALU_DEP_2)
	s_or_b32 exec_lo, exec_lo, s2
	v_dual_mul_f32 v65, v11, v27 :: v_dual_mov_b32 v64, 7
	v_mov_b32_e32 v27, 7
	s_mov_b32 s2, exec_lo
	v_cmpx_nle_f32_e64 0x40a00000, |v65|
	s_cbranch_execz .LBB29_329
; %bb.318:
	v_mov_b32_e32 v64, 6
	s_mov_b32 s3, exec_lo
	v_cmpx_nle_f32_e64 0x40600000, |v65|
	s_cbranch_execz .LBB29_328
; %bb.319:
	;; [unrolled: 5-line block ×5, first 2 shown]
	v_mov_b32_e32 v64, 2
	s_mov_b32 s11, exec_lo
	v_cmpx_nle_f32_e64 0x3f400000, |v65|
; %bb.323:
	v_cmp_le_f32_e64 s12, 0x3e800000, |v65|
	s_delay_alu instid0(VALU_DEP_1)
	v_cndmask_b32_e64 v64, 0, 1, s12
; %bb.324:
	s_or_b32 exec_lo, exec_lo, s11
.LBB29_325:
	s_delay_alu instid0(SALU_CYCLE_1)
	s_or_b32 exec_lo, exec_lo, s10
.LBB29_326:
	s_delay_alu instid0(SALU_CYCLE_1)
	s_or_b32 exec_lo, exec_lo, s9
.LBB29_327:
	s_delay_alu instid0(SALU_CYCLE_1)
	s_or_b32 exec_lo, exec_lo, s6
.LBB29_328:
	s_delay_alu instid0(SALU_CYCLE_1)
	s_or_b32 exec_lo, exec_lo, s3
.LBB29_329:
	s_delay_alu instid0(SALU_CYCLE_1) | instskip(SKIP_2) | instid1(VALU_DEP_1)
	s_or_b32 exec_lo, exec_lo, s2
	v_mul_f32_e32 v22, v11, v22
	s_mov_b32 s2, exec_lo
	v_cmpx_nle_f32_e64 0x40a00000, |v22|
	s_cbranch_execz .LBB29_341
; %bb.330:
	v_mov_b32_e32 v27, 6
	s_mov_b32 s3, exec_lo
	v_cmpx_nle_f32_e64 0x40600000, |v22|
	s_cbranch_execz .LBB29_340
; %bb.331:
	v_mov_b32_e32 v27, 5
	;; [unrolled: 5-line block ×5, first 2 shown]
	s_mov_b32 s11, exec_lo
	v_cmpx_nle_f32_e64 0x3f400000, |v22|
; %bb.335:
	v_cmp_le_f32_e64 s12, 0x3e800000, |v22|
	s_delay_alu instid0(VALU_DEP_1)
	v_cndmask_b32_e64 v27, 0, 1, s12
; %bb.336:
	s_or_b32 exec_lo, exec_lo, s11
.LBB29_337:
	s_delay_alu instid0(SALU_CYCLE_1)
	s_or_b32 exec_lo, exec_lo, s10
.LBB29_338:
	s_delay_alu instid0(SALU_CYCLE_1)
	s_or_b32 exec_lo, exec_lo, s9
.LBB29_339:
	s_delay_alu instid0(SALU_CYCLE_1)
	s_or_b32 exec_lo, exec_lo, s6
.LBB29_340:
	s_delay_alu instid0(SALU_CYCLE_1)
	s_or_b32 exec_lo, exec_lo, s3
.LBB29_341:
	s_delay_alu instid0(SALU_CYCLE_1) | instskip(SKIP_3) | instid1(VALU_DEP_2)
	s_or_b32 exec_lo, exec_lo, s2
	v_dual_mul_f32 v67, v11, v20 :: v_dual_mov_b32 v20, 7
	v_mov_b32_e32 v66, 7
	s_mov_b32 s2, exec_lo
	v_cmpx_nle_f32_e64 0x40a00000, |v67|
	s_cbranch_execz .LBB29_353
; %bb.342:
	v_mov_b32_e32 v66, 6
	s_mov_b32 s3, exec_lo
	v_cmpx_nle_f32_e64 0x40600000, |v67|
	s_cbranch_execz .LBB29_352
; %bb.343:
	;; [unrolled: 5-line block ×5, first 2 shown]
	v_mov_b32_e32 v66, 2
	s_mov_b32 s11, exec_lo
	v_cmpx_nle_f32_e64 0x3f400000, |v67|
; %bb.347:
	v_cmp_le_f32_e64 s12, 0x3e800000, |v67|
	s_delay_alu instid0(VALU_DEP_1)
	v_cndmask_b32_e64 v66, 0, 1, s12
; %bb.348:
	s_or_b32 exec_lo, exec_lo, s11
.LBB29_349:
	s_delay_alu instid0(SALU_CYCLE_1)
	s_or_b32 exec_lo, exec_lo, s10
.LBB29_350:
	s_delay_alu instid0(SALU_CYCLE_1)
	s_or_b32 exec_lo, exec_lo, s9
.LBB29_351:
	s_delay_alu instid0(SALU_CYCLE_1)
	s_or_b32 exec_lo, exec_lo, s6
.LBB29_352:
	s_delay_alu instid0(SALU_CYCLE_1)
	s_or_b32 exec_lo, exec_lo, s3
.LBB29_353:
	s_delay_alu instid0(SALU_CYCLE_1) | instskip(SKIP_2) | instid1(VALU_DEP_1)
	s_or_b32 exec_lo, exec_lo, s2
	v_mul_f32_e32 v16, v11, v16
	s_mov_b32 s2, exec_lo
	v_cmpx_nle_f32_e64 0x40a00000, |v16|
	s_cbranch_execz .LBB29_365
; %bb.354:
	v_mov_b32_e32 v20, 6
	s_mov_b32 s3, exec_lo
	v_cmpx_nle_f32_e64 0x40600000, |v16|
	s_cbranch_execz .LBB29_364
; %bb.355:
	v_mov_b32_e32 v20, 5
	;; [unrolled: 5-line block ×5, first 2 shown]
	s_mov_b32 s11, exec_lo
	v_cmpx_nle_f32_e64 0x3f400000, |v16|
; %bb.359:
	v_cmp_le_f32_e64 s12, 0x3e800000, |v16|
	s_delay_alu instid0(VALU_DEP_1)
	v_cndmask_b32_e64 v20, 0, 1, s12
; %bb.360:
	s_or_b32 exec_lo, exec_lo, s11
.LBB29_361:
	s_delay_alu instid0(SALU_CYCLE_1)
	s_or_b32 exec_lo, exec_lo, s10
.LBB29_362:
	s_delay_alu instid0(SALU_CYCLE_1)
	s_or_b32 exec_lo, exec_lo, s9
.LBB29_363:
	s_delay_alu instid0(SALU_CYCLE_1)
	s_or_b32 exec_lo, exec_lo, s6
.LBB29_364:
	s_delay_alu instid0(SALU_CYCLE_1)
	s_or_b32 exec_lo, exec_lo, s3
.LBB29_365:
	s_delay_alu instid0(SALU_CYCLE_1) | instskip(SKIP_3) | instid1(VALU_DEP_2)
	s_or_b32 exec_lo, exec_lo, s2
	v_dual_mul_f32 v69, v11, v14 :: v_dual_mov_b32 v14, 7
	v_mov_b32_e32 v68, 7
	s_mov_b32 s2, exec_lo
	v_cmpx_nle_f32_e64 0x40a00000, |v69|
	s_cbranch_execz .LBB29_377
; %bb.366:
	v_mov_b32_e32 v68, 6
	s_mov_b32 s3, exec_lo
	v_cmpx_nle_f32_e64 0x40600000, |v69|
	s_cbranch_execz .LBB29_376
; %bb.367:
	;; [unrolled: 5-line block ×5, first 2 shown]
	v_mov_b32_e32 v68, 2
	s_mov_b32 s11, exec_lo
	v_cmpx_nle_f32_e64 0x3f400000, |v69|
; %bb.371:
	v_cmp_le_f32_e64 s12, 0x3e800000, |v69|
	s_delay_alu instid0(VALU_DEP_1)
	v_cndmask_b32_e64 v68, 0, 1, s12
; %bb.372:
	s_or_b32 exec_lo, exec_lo, s11
.LBB29_373:
	s_delay_alu instid0(SALU_CYCLE_1)
	s_or_b32 exec_lo, exec_lo, s10
.LBB29_374:
	s_delay_alu instid0(SALU_CYCLE_1)
	s_or_b32 exec_lo, exec_lo, s9
.LBB29_375:
	s_delay_alu instid0(SALU_CYCLE_1)
	s_or_b32 exec_lo, exec_lo, s6
.LBB29_376:
	s_delay_alu instid0(SALU_CYCLE_1)
	s_or_b32 exec_lo, exec_lo, s3
.LBB29_377:
	s_delay_alu instid0(SALU_CYCLE_1) | instskip(SKIP_3) | instid1(VALU_DEP_1)
	s_or_b32 exec_lo, exec_lo, s2
	s_load_b64 s[2:3], s[0:1], 0x8
	v_mul_f32_e32 v9, v11, v9
	s_mov_b32 s6, exec_lo
	v_cmpx_nle_f32_e64 0x40a00000, |v9|
	s_cbranch_execz .LBB29_389
; %bb.378:
	v_mov_b32_e32 v14, 6
	s_mov_b32 s9, exec_lo
	v_cmpx_nle_f32_e64 0x40600000, |v9|
	s_cbranch_execz .LBB29_388
; %bb.379:
	v_mov_b32_e32 v14, 5
	;; [unrolled: 5-line block ×5, first 2 shown]
	s_mov_b32 s13, exec_lo
	v_cmpx_nle_f32_e64 0x3f400000, |v9|
; %bb.383:
	v_cmp_le_f32_e64 s14, 0x3e800000, |v9|
	s_delay_alu instid0(VALU_DEP_1)
	v_cndmask_b32_e64 v14, 0, 1, s14
; %bb.384:
	s_or_b32 exec_lo, exec_lo, s13
.LBB29_385:
	s_delay_alu instid0(SALU_CYCLE_1)
	s_or_b32 exec_lo, exec_lo, s12
.LBB29_386:
	s_delay_alu instid0(SALU_CYCLE_1)
	s_or_b32 exec_lo, exec_lo, s11
.LBB29_387:
	s_delay_alu instid0(SALU_CYCLE_1)
	s_or_b32 exec_lo, exec_lo, s10
.LBB29_388:
	s_delay_alu instid0(SALU_CYCLE_1)
	s_or_b32 exec_lo, exec_lo, s9
.LBB29_389:
	s_delay_alu instid0(SALU_CYCLE_1)
	s_or_b32 exec_lo, exec_lo, s6
	v_cmp_gt_f32_e32 vcc_lo, 0, v69
	v_lshlrev_b16 v7, 4, v7
	v_lshlrev_b16 v10, 4, v10
	;; [unrolled: 1-line block ×4, first 2 shown]
	v_cndmask_b32_e64 v11, 0, 1, vcc_lo
	v_cmp_gt_f32_e32 vcc_lo, 0, v67
	s_lshr_b32 s6, s4, 31
	s_load_b64 s[0:1], s[0:1], 0x10
	s_add_i32 s4, s4, s6
	v_lshlrev_b16 v11, 3, v11
	v_cndmask_b32_e64 v67, 0, 1, vcc_lo
	v_cmp_gt_f32_e32 vcc_lo, 0, v65
	s_ashr_i32 s4, s4, 1
	s_delay_alu instid0(SALU_CYCLE_1) | instskip(NEXT) | instid1(VALU_DEP_2)
	s_ashr_i32 s6, s4, 31
	v_lshlrev_b16 v67, 3, v67
	v_cndmask_b32_e64 v65, 0, 1, vcc_lo
	v_cmp_gt_f32_e32 vcc_lo, 0, v63
	v_or_b32_e32 v11, v11, v68
	v_mul_lo_u32 v1, v1, s4
	v_or_b32_e32 v66, v67, v66
	v_lshlrev_b16 v65, 3, v65
	v_cndmask_b32_e64 v63, 0, 1, vcc_lo
	v_cmp_gt_f32_e32 vcc_lo, 0, v60
	s_delay_alu instid0(VALU_DEP_3) | instskip(NEXT) | instid1(VALU_DEP_3)
	v_or_b32_e32 v64, v65, v64
	v_lshlrev_b16 v63, 3, v63
	v_cndmask_b32_e64 v60, 0, 1, vcc_lo
	v_cmp_gt_f32_e32 vcc_lo, 0, v59
	s_delay_alu instid0(VALU_DEP_3) | instskip(NEXT) | instid1(VALU_DEP_3)
	;; [unrolled: 5-line block ×11, first 2 shown]
	v_or_b32_e32 v12, v12, v13
	v_lshlrev_b16 v25, 3, v25
	v_cndmask_b32_e64 v19, 0, 1, vcc_lo
	v_cmp_gt_f32_e32 vcc_lo, 0, v6
	s_delay_alu instid0(VALU_DEP_2) | instskip(SKIP_2) | instid1(VALU_DEP_2)
	v_lshlrev_b16 v19, 3, v19
	v_cndmask_b32_e64 v6, 0, 1, vcc_lo
	v_cmp_gt_f32_e32 vcc_lo, 0, v8
	v_lshlrev_b16 v6, 3, v6
	v_cndmask_b32_e64 v8, 0, 1, vcc_lo
	v_cmp_gt_f32_e32 vcc_lo, 0, v15
	s_delay_alu instid0(VALU_DEP_3) | instskip(NEXT) | instid1(VALU_DEP_3)
	v_or_b32_e32 v5, v6, v5
	v_lshlrev_b16 v8, 7, v8
	v_cndmask_b32_e64 v13, 0, 1, vcc_lo
	v_cmp_gt_f32_e32 vcc_lo, 0, v21
	s_delay_alu instid0(VALU_DEP_3) | instskip(NEXT) | instid1(VALU_DEP_3)
	v_or_b32_e32 v6, v8, v7
	v_lshlrev_b16 v13, 7, v13
	v_cndmask_b32_e64 v15, 0, 1, vcc_lo
	v_lshlrev_b16 v8, 4, v18
	v_cmp_gt_f32_e32 vcc_lo, 0, v26
	v_or_b32_e32 v5, v6, v5
	v_or_b32_e32 v7, v13, v10
	v_lshlrev_b16 v10, 7, v15
	v_or_b32_e32 v15, v19, v17
	v_lshlrev_b16 v18, 4, v28
	v_lshlrev_b16 v19, 4, v34
	v_or_b32_e32 v6, v7, v12
	v_or_b32_e32 v7, v10, v8
	v_cndmask_b32_e64 v10, 0, 1, vcc_lo
	v_cmp_gt_f32_e32 vcc_lo, 0, v32
	v_lshlrev_b16 v8, 4, v23
	v_or_b32_e32 v13, v25, v24
	v_or_b32_e32 v7, v7, v15
	v_lshlrev_b16 v10, 7, v10
	v_cndmask_b32_e64 v12, 0, 1, vcc_lo
	v_cmp_gt_f32_e32 vcc_lo, 0, v38
	v_lshlrev_b16 v23, 4, v49
	v_lshlrev_b16 v24, 4, v43
	v_or_b32_e32 v8, v10, v8
	v_lshlrev_b16 v12, 7, v12
	v_cndmask_b32_e64 v17, 0, 1, vcc_lo
	v_cmp_gt_f32_e32 vcc_lo, 0, v42
	v_lshlrev_b16 v25, 4, v46
	v_or_b32_e32 v13, v8, v13
	v_or_b32_e32 v10, v12, v18
	v_lshlrev_b16 v17, 7, v17
	v_cndmask_b32_e64 v21, 0, 1, vcc_lo
	v_cmp_gt_f32_e32 vcc_lo, 0, v48
	v_lshlrev_b16 v6, 8, v6
	v_or_b32_e32 v10, v10, v30
	v_or_b32_e32 v12, v17, v19
	v_lshlrev_b16 v17, 4, v40
	v_lshlrev_b16 v18, 7, v21
	v_cndmask_b32_e64 v15, 0, 1, vcc_lo
	v_cmp_gt_f32_e32 vcc_lo, 0, v53
	v_or_b32_e32 v12, v12, v36
	v_lshlrev_b16 v13, 8, v13
	v_or_b32_e32 v8, v18, v17
	v_lshlrev_b16 v17, 4, v52
	v_cndmask_b32_e64 v18, 0, 1, vcc_lo
	v_cmp_gt_f32_e32 vcc_lo, 0, v47
	v_lshlrev_b16 v15, 7, v15
	v_or_b32_e32 v5, v5, v6
	v_or_b32_e32 v6, v7, v13
	v_lshlrev_b16 v18, 7, v18
	v_cndmask_b32_e64 v19, 0, 1, vcc_lo
	v_cmp_gt_f32_e32 vcc_lo, 0, v41
	v_mul_lo_u32 v13, v0, s6
	v_and_b32_e32 v5, 0xffff, v5
	v_or_b32_e32 v17, v18, v17
	v_lshlrev_b16 v19, 7, v19
	v_cndmask_b32_e64 v21, 0, 1, vcc_lo
	v_cmp_gt_f32_e32 vcc_lo, 0, v22
	s_delay_alu instid0(VALU_DEP_3) | instskip(NEXT) | instid1(VALU_DEP_3)
	v_or_b32_e32 v18, v19, v23
	v_lshlrev_b16 v21, 7, v21
	v_cndmask_b32_e64 v22, 0, 1, vcc_lo
	v_cmp_gt_f32_e32 vcc_lo, 0, v29
	v_lshlrev_b16 v23, 4, v33
	s_delay_alu instid0(VALU_DEP_4)
	v_or_b32_e32 v19, v21, v24
	v_or_b32_e32 v21, v8, v44
	v_cndmask_b32_e64 v24, 0, 1, vcc_lo
	v_cmp_gt_f32_e32 vcc_lo, 0, v9
	v_or_b32_e32 v8, v15, v25
	v_lshlrev_b16 v25, 4, v27
	v_lshlrev_b16 v22, 7, v22
	;; [unrolled: 1-line block ×3, first 2 shown]
	v_cndmask_b32_e64 v9, 0, 1, vcc_lo
	v_cmp_gt_f32_e32 vcc_lo, 0, v16
	v_or_b32_e32 v15, v17, v54
	v_or_b32_e32 v22, v22, v25
	;; [unrolled: 1-line block ×3, first 2 shown]
	v_lshlrev_b16 v9, 7, v9
	v_cndmask_b32_e64 v16, 0, 1, vcc_lo
	v_cmp_gt_f32_e32 vcc_lo, 0, v35
	v_or_b32_e32 v18, v19, v58
	v_lshlrev_b16 v19, 4, v39
	v_or_b32_e32 v9, v9, v14
	v_lshlrev_b16 v16, 7, v16
	v_cndmask_b32_e64 v14, 0, 1, vcc_lo
	v_or_b32_e32 v23, v24, v23
	s_delay_alu instid0(VALU_DEP_4) | instskip(NEXT) | instid1(VALU_DEP_4)
	v_or_b32_e32 v9, v9, v11
	v_or_b32_e32 v16, v16, v20
	;; [unrolled: 1-line block ×3, first 2 shown]
	v_lshlrev_b16 v11, 7, v14
	v_or_b32_e32 v14, v23, v62
	v_lshlrev_b16 v9, 8, v9
	v_or_b32_e32 v16, v16, v66
	;; [unrolled: 2-line block ×3, first 2 shown]
	s_delay_alu instid0(VALU_DEP_3) | instskip(NEXT) | instid1(VALU_DEP_3)
	v_or_b32_e32 v9, v16, v9
	v_or_b32_e32 v14, v14, v20
	s_delay_alu instid0(VALU_DEP_3) | instskip(SKIP_1) | instid1(VALU_DEP_4)
	v_or_b32_e32 v11, v11, v60
	v_lshlrev_b16 v16, 8, v17
	v_lshlrev_b32_e32 v9, 16, v9
	s_delay_alu instid0(VALU_DEP_4) | instskip(NEXT) | instid1(VALU_DEP_4)
	v_and_b32_e32 v14, 0xffff, v14
	v_lshlrev_b16 v11, 8, v11
	s_delay_alu instid0(VALU_DEP_4) | instskip(SKIP_1) | instid1(VALU_DEP_4)
	v_or_b32_e32 v15, v15, v16
	v_or_b32_e32 v16, v8, v50
	;; [unrolled: 1-line block ×3, first 2 shown]
	s_delay_alu instid0(VALU_DEP_4) | instskip(SKIP_1) | instid1(VALU_DEP_4)
	v_or_b32_e32 v9, v18, v11
	v_lshlrev_b16 v11, 8, v12
	v_lshlrev_b16 v12, 8, v16
	v_and_b32_e32 v14, 0xffff, v15
	v_lshlrev_b32_e32 v16, 16, v6
	v_lshlrev_b32_e32 v15, 16, v9
	v_or_b32_e32 v11, v10, v11
	s_waitcnt lgkmcnt(0)
	v_mad_u64_u32 v[9:10], null, v0, s4, s[2:3]
	v_or_b32_e32 v12, v21, v12
	v_or_b32_e32 v7, v14, v15
	v_lshlrev_b32_e32 v14, 4, v4
	v_and_b32_e32 v11, 0xffff, v11
	v_or_b32_e32 v5, v5, v16
	v_lshlrev_b32_e32 v12, 16, v12
	v_add3_u32 v1, v1, v10, v13
	v_add_co_u32 v9, vcc_lo, v9, v14
	s_and_b32 s2, s7, 1
	s_delay_alu instid0(VALU_DEP_3) | instskip(NEXT) | instid1(VALU_DEP_3)
	v_or_b32_e32 v6, v11, v12
	v_add_co_ci_u32_e32 v10, vcc_lo, 0, v1, vcc_lo
	s_cmp_eq_u32 s2, 0
	s_mov_b32 s2, 0
	global_store_b128 v[9:10], v[5:8], off
	s_cbranch_scc0 .LBB29_391
; %bb.390:
	v_ashrrev_i32_e32 v1, 31, v0
	s_delay_alu instid0(VALU_DEP_1) | instskip(NEXT) | instid1(VALU_DEP_1)
	v_lshrrev_b32_e32 v1, 27, v1
	v_add_nc_u32_e32 v1, v0, v1
	s_delay_alu instid0(VALU_DEP_1) | instskip(NEXT) | instid1(VALU_DEP_1)
	v_and_b32_e32 v5, 0xffe0, v1
	v_sub_nc_u32_e32 v5, v0, v5
	s_delay_alu instid0(VALU_DEP_1) | instskip(NEXT) | instid1(VALU_DEP_1)
	v_bfe_i32 v6, v5, 0, 8
	v_lshrrev_b16 v6, 11, v6
	s_delay_alu instid0(VALU_DEP_1) | instskip(NEXT) | instid1(VALU_DEP_1)
	v_and_b32_e32 v6, 15, v6
	v_add_nc_u16 v5, v5, v6
	s_delay_alu instid0(VALU_DEP_1) | instskip(NEXT) | instid1(VALU_DEP_1)
	v_bfe_i32 v5, v5, 0, 8
	v_ashrrev_i16 v6, 4, v5
	v_ashrrev_i32_e32 v5, 5, v1
	s_delay_alu instid0(VALU_DEP_2)
	v_bfe_i32 v1, v6, 0, 16
	s_and_not1_b32 vcc_lo, exec_lo, s2
	s_cbranch_vccz .LBB29_392
	s_branch .LBB29_393
.LBB29_391:
                                        ; implicit-def: $vgpr5
                                        ; implicit-def: $vgpr1
.LBB29_392:
	s_lshr_b32 s2, s8, 31
	v_sub_nc_u32_e32 v6, 0, v0
	s_add_i32 s2, s8, s2
	s_delay_alu instid0(SALU_CYCLE_1) | instskip(NEXT) | instid1(VALU_DEP_1)
	s_ashr_i32 s2, s2, 1
	v_max_i32_e32 v6, v0, v6
	s_abs_i32 s3, s2
	s_delay_alu instid0(SALU_CYCLE_1) | instskip(SKIP_1) | instid1(VALU_DEP_1)
	v_cvt_f32_u32_e32 v1, s3
	s_sub_i32 s4, 0, s3
	v_rcp_iflag_f32_e32 v1, v1
	s_waitcnt_depctr 0xfff
	v_mul_f32_e32 v1, 0x4f7ffffe, v1
	s_delay_alu instid0(VALU_DEP_1) | instskip(NEXT) | instid1(VALU_DEP_1)
	v_cvt_u32_f32_e32 v1, v1
	v_mul_lo_u32 v5, s4, v1
	s_delay_alu instid0(VALU_DEP_1) | instskip(NEXT) | instid1(VALU_DEP_1)
	v_mul_hi_u32 v5, v1, v5
	v_add_nc_u32_e32 v1, v1, v5
	s_delay_alu instid0(VALU_DEP_1) | instskip(NEXT) | instid1(VALU_DEP_1)
	v_mul_hi_u32 v1, v6, v1
	v_mul_lo_u32 v5, v1, s3
	s_delay_alu instid0(VALU_DEP_1) | instskip(NEXT) | instid1(VALU_DEP_1)
	v_sub_nc_u32_e32 v5, v6, v5
	v_subrev_nc_u32_e32 v7, s3, v5
	v_cmp_le_u32_e32 vcc_lo, s3, v5
	s_delay_alu instid0(VALU_DEP_2) | instskip(NEXT) | instid1(VALU_DEP_1)
	v_dual_cndmask_b32 v5, v5, v7 :: v_dual_add_nc_u32 v6, 1, v1
	v_cndmask_b32_e32 v1, v1, v6, vcc_lo
	v_xor_b32_e32 v6, s2, v0
	s_delay_alu instid0(VALU_DEP_3) | instskip(NEXT) | instid1(VALU_DEP_3)
	v_cmp_le_u32_e32 vcc_lo, s3, v5
	v_add_nc_u32_e32 v7, 1, v1
	s_delay_alu instid0(VALU_DEP_3) | instskip(NEXT) | instid1(VALU_DEP_2)
	v_ashrrev_i32_e32 v6, 31, v6
	v_cndmask_b32_e32 v1, v1, v7, vcc_lo
	s_delay_alu instid0(VALU_DEP_1) | instskip(NEXT) | instid1(VALU_DEP_1)
	v_xor_b32_e32 v1, v1, v6
	v_sub_nc_u32_e32 v1, v1, v6
	s_delay_alu instid0(VALU_DEP_1) | instskip(NEXT) | instid1(VALU_DEP_1)
	v_mul_lo_u32 v5, v1, s2
	v_sub_nc_u32_e32 v0, v0, v5
	s_delay_alu instid0(VALU_DEP_1) | instskip(NEXT) | instid1(VALU_DEP_1)
	v_ashrrev_i32_e32 v5, 31, v0
	v_lshrrev_b32_e32 v5, 28, v5
	s_delay_alu instid0(VALU_DEP_1) | instskip(NEXT) | instid1(VALU_DEP_1)
	v_add_nc_u32_e32 v5, v0, v5
	v_ashrrev_i32_e32 v5, 4, v5
.LBB29_393:
	v_ashrrev_i32_e32 v6, 31, v0
	v_lshlrev_b32_e32 v7, 6, v4
	v_lshrrev_b32_e32 v4, 1, v4
	v_and_b32_e32 v2, 0x7fffff00, v2
	s_lshl_b32 s2, s5, 5
	v_lshrrev_b32_e32 v6, 28, v6
	v_and_b32_e32 v7, 0xc0, v7
	v_and_b32_e32 v4, 2, v4
	s_and_b32 s2, s2, 0x7fffff00
	s_delay_alu instid0(VALU_DEP_3) | instskip(NEXT) | instid1(VALU_DEP_2)
	v_add_nc_u32_e32 v6, v0, v6
	v_or3_b32 v2, v7, v2, v4
	v_mul_lo_u32 v4, v5, s2
	s_delay_alu instid0(VALU_DEP_3) | instskip(NEXT) | instid1(VALU_DEP_3)
	v_and_b32_e32 v6, 0x3ffffff0, v6
	v_add_nc_u32_e32 v1, v2, v1
	v_lshrrev_b32_e32 v2, 23, v3
	s_delay_alu instid0(VALU_DEP_3) | instskip(NEXT) | instid1(VALU_DEP_1)
	v_sub_nc_u32_e32 v0, v0, v6
	v_lshlrev_b32_e32 v0, 2, v0
	s_delay_alu instid0(VALU_DEP_1) | instskip(NEXT) | instid1(VALU_DEP_1)
	v_add3_u32 v0, v1, v0, v4
	v_ashrrev_i32_e32 v1, 31, v0
	v_add_co_u32 v0, vcc_lo, s0, v0
	s_delay_alu instid0(VALU_DEP_2)
	v_add_co_ci_u32_e32 v1, vcc_lo, s1, v1, vcc_lo
	global_store_b8 v[0:1], v2, off
.LBB29_394:
	s_nop 0
	s_sendmsg sendmsg(MSG_DEALLOC_VGPRS)
	s_endpgm
	.section	.rodata,"a",@progbits
	.p2align	6, 0x0
	.amdhsa_kernel _ZN5aiter18quant_mxfp4_kernelI12hip_bfloat16LNS_16MxScaleRoundModeE1ELb0ELb1ELb0EEEvPKT_PhPfliiib
		.amdhsa_group_segment_fixed_size 0
		.amdhsa_private_segment_fixed_size 0
		.amdhsa_kernarg_size 304
		.amdhsa_user_sgpr_count 15
		.amdhsa_user_sgpr_dispatch_ptr 0
		.amdhsa_user_sgpr_queue_ptr 0
		.amdhsa_user_sgpr_kernarg_segment_ptr 1
		.amdhsa_user_sgpr_dispatch_id 0
		.amdhsa_user_sgpr_private_segment_size 0
		.amdhsa_wavefront_size32 1
		.amdhsa_uses_dynamic_stack 0
		.amdhsa_enable_private_segment 0
		.amdhsa_system_sgpr_workgroup_id_x 1
		.amdhsa_system_sgpr_workgroup_id_y 0
		.amdhsa_system_sgpr_workgroup_id_z 0
		.amdhsa_system_sgpr_workgroup_info 0
		.amdhsa_system_vgpr_workitem_id 0
		.amdhsa_next_free_vgpr 70
		.amdhsa_next_free_sgpr 16
		.amdhsa_reserve_vcc 1
		.amdhsa_float_round_mode_32 0
		.amdhsa_float_round_mode_16_64 0
		.amdhsa_float_denorm_mode_32 3
		.amdhsa_float_denorm_mode_16_64 3
		.amdhsa_dx10_clamp 1
		.amdhsa_ieee_mode 1
		.amdhsa_fp16_overflow 0
		.amdhsa_workgroup_processor_mode 1
		.amdhsa_memory_ordered 1
		.amdhsa_forward_progress 0
		.amdhsa_shared_vgpr_count 0
		.amdhsa_exception_fp_ieee_invalid_op 0
		.amdhsa_exception_fp_denorm_src 0
		.amdhsa_exception_fp_ieee_div_zero 0
		.amdhsa_exception_fp_ieee_overflow 0
		.amdhsa_exception_fp_ieee_underflow 0
		.amdhsa_exception_fp_ieee_inexact 0
		.amdhsa_exception_int_div_zero 0
	.end_amdhsa_kernel
	.section	.text._ZN5aiter18quant_mxfp4_kernelI12hip_bfloat16LNS_16MxScaleRoundModeE1ELb0ELb1ELb0EEEvPKT_PhPfliiib,"axG",@progbits,_ZN5aiter18quant_mxfp4_kernelI12hip_bfloat16LNS_16MxScaleRoundModeE1ELb0ELb1ELb0EEEvPKT_PhPfliiib,comdat
.Lfunc_end29:
	.size	_ZN5aiter18quant_mxfp4_kernelI12hip_bfloat16LNS_16MxScaleRoundModeE1ELb0ELb1ELb0EEEvPKT_PhPfliiib, .Lfunc_end29-_ZN5aiter18quant_mxfp4_kernelI12hip_bfloat16LNS_16MxScaleRoundModeE1ELb0ELb1ELb0EEEvPKT_PhPfliiib
                                        ; -- End function
	.section	.AMDGPU.csdata,"",@progbits
; Kernel info:
; codeLenInByte = 10396
; NumSgprs: 18
; NumVgprs: 70
; ScratchSize: 0
; MemoryBound: 0
; FloatMode: 240
; IeeeMode: 1
; LDSByteSize: 0 bytes/workgroup (compile time only)
; SGPRBlocks: 2
; VGPRBlocks: 8
; NumSGPRsForWavesPerEU: 18
; NumVGPRsForWavesPerEU: 70
; Occupancy: 16
; WaveLimiterHint : 0
; COMPUTE_PGM_RSRC2:SCRATCH_EN: 0
; COMPUTE_PGM_RSRC2:USER_SGPR: 15
; COMPUTE_PGM_RSRC2:TRAP_HANDLER: 0
; COMPUTE_PGM_RSRC2:TGID_X_EN: 1
; COMPUTE_PGM_RSRC2:TGID_Y_EN: 0
; COMPUTE_PGM_RSRC2:TGID_Z_EN: 0
; COMPUTE_PGM_RSRC2:TIDIG_COMP_CNT: 0
	.section	.text._ZN5aiter18quant_mxfp4_kernelI12hip_bfloat16LNS_16MxScaleRoundModeE1ELb0ELb0ELb0EEEvPKT_PhPfliiib,"axG",@progbits,_ZN5aiter18quant_mxfp4_kernelI12hip_bfloat16LNS_16MxScaleRoundModeE1ELb0ELb0ELb0EEEvPKT_PhPfliiib,comdat
	.protected	_ZN5aiter18quant_mxfp4_kernelI12hip_bfloat16LNS_16MxScaleRoundModeE1ELb0ELb0ELb0EEEvPKT_PhPfliiib ; -- Begin function _ZN5aiter18quant_mxfp4_kernelI12hip_bfloat16LNS_16MxScaleRoundModeE1ELb0ELb0ELb0EEEvPKT_PhPfliiib
	.globl	_ZN5aiter18quant_mxfp4_kernelI12hip_bfloat16LNS_16MxScaleRoundModeE1ELb0ELb0ELb0EEEvPKT_PhPfliiib
	.p2align	8
	.type	_ZN5aiter18quant_mxfp4_kernelI12hip_bfloat16LNS_16MxScaleRoundModeE1ELb0ELb0ELb0EEEvPKT_PhPfliiib,@function
_ZN5aiter18quant_mxfp4_kernelI12hip_bfloat16LNS_16MxScaleRoundModeE1ELb0ELb0ELb0EEEvPKT_PhPfliiib: ; @_ZN5aiter18quant_mxfp4_kernelI12hip_bfloat16LNS_16MxScaleRoundModeE1ELb0ELb0ELb0EEEvPKT_PhPfliiib
; %bb.0:
	s_clause 0x1
	s_load_b32 s2, s[0:1], 0x3c
	s_load_b128 s[4:7], s[0:1], 0x20
	v_mov_b32_e32 v1, 0
	s_mov_b32 s3, exec_lo
	s_delay_alu instid0(VALU_DEP_1) | instskip(SKIP_2) | instid1(SALU_CYCLE_1)
	v_mov_b32_e32 v4, v1
	s_waitcnt lgkmcnt(0)
	s_and_b32 s2, s2, 0xffff
	v_mad_u64_u32 v[2:3], null, s2, s15, v[0:1]
	s_ashr_i32 s2, s6, 31
                                        ; implicit-def: $vgpr0_vgpr1
	s_delay_alu instid0(VALU_DEP_1) | instid1(SALU_CYCLE_1)
	v_or_b32_e32 v5, s2, v3
	s_delay_alu instid0(VALU_DEP_1)
	v_cmpx_ne_u64_e32 0, v[4:5]
	s_xor_b32 s3, exec_lo, s3
	s_cbranch_execz .LBB30_2
; %bb.1:
	s_add_u32 s10, s6, s2
	s_mov_b32 s8, s2
	s_mov_b32 s9, s2
	s_addc_u32 s11, s2, s2
	s_delay_alu instid0(SALU_CYCLE_1) | instskip(NEXT) | instid1(SALU_CYCLE_1)
	s_xor_b64 s[10:11], s[10:11], s[8:9]
	v_cvt_f32_u32_e32 v0, s10
	v_cvt_f32_u32_e32 v1, s11
	s_sub_u32 s2, 0, s10
	s_subb_u32 s7, 0, s11
	s_delay_alu instid0(VALU_DEP_1) | instskip(NEXT) | instid1(VALU_DEP_1)
	v_fmamk_f32 v0, v1, 0x4f800000, v0
	v_rcp_f32_e32 v0, v0
	s_waitcnt_depctr 0xfff
	v_mul_f32_e32 v0, 0x5f7ffffc, v0
	s_delay_alu instid0(VALU_DEP_1) | instskip(NEXT) | instid1(VALU_DEP_1)
	v_mul_f32_e32 v1, 0x2f800000, v0
	v_trunc_f32_e32 v1, v1
	s_delay_alu instid0(VALU_DEP_1) | instskip(SKIP_1) | instid1(VALU_DEP_2)
	v_fmamk_f32 v0, v1, 0xcf800000, v0
	v_cvt_u32_f32_e32 v1, v1
	v_cvt_u32_f32_e32 v0, v0
	s_delay_alu instid0(VALU_DEP_2) | instskip(NEXT) | instid1(VALU_DEP_2)
	v_mul_lo_u32 v4, s2, v1
	v_mul_hi_u32 v5, s2, v0
	v_mul_lo_u32 v6, s7, v0
	s_delay_alu instid0(VALU_DEP_2) | instskip(SKIP_1) | instid1(VALU_DEP_2)
	v_add_nc_u32_e32 v4, v5, v4
	v_mul_lo_u32 v5, s2, v0
	v_add_nc_u32_e32 v4, v4, v6
	s_delay_alu instid0(VALU_DEP_2) | instskip(NEXT) | instid1(VALU_DEP_2)
	v_mul_hi_u32 v6, v0, v5
	v_mul_lo_u32 v7, v0, v4
	v_mul_hi_u32 v8, v0, v4
	v_mul_hi_u32 v9, v1, v5
	v_mul_lo_u32 v5, v1, v5
	v_mul_hi_u32 v10, v1, v4
	v_mul_lo_u32 v4, v1, v4
	v_add_co_u32 v6, vcc_lo, v6, v7
	v_add_co_ci_u32_e32 v7, vcc_lo, 0, v8, vcc_lo
	s_delay_alu instid0(VALU_DEP_2) | instskip(NEXT) | instid1(VALU_DEP_2)
	v_add_co_u32 v5, vcc_lo, v6, v5
	v_add_co_ci_u32_e32 v5, vcc_lo, v7, v9, vcc_lo
	v_add_co_ci_u32_e32 v6, vcc_lo, 0, v10, vcc_lo
	v_ashrrev_i32_e32 v9, 31, v3
	s_delay_alu instid0(VALU_DEP_3) | instskip(NEXT) | instid1(VALU_DEP_3)
	v_add_co_u32 v4, vcc_lo, v5, v4
	v_add_co_ci_u32_e32 v5, vcc_lo, 0, v6, vcc_lo
	s_delay_alu instid0(VALU_DEP_2) | instskip(NEXT) | instid1(VALU_DEP_2)
	v_add_co_u32 v0, vcc_lo, v0, v4
	v_add_co_ci_u32_e32 v1, vcc_lo, v1, v5, vcc_lo
	s_delay_alu instid0(VALU_DEP_2) | instskip(SKIP_1) | instid1(VALU_DEP_3)
	v_mul_hi_u32 v4, s2, v0
	v_mul_lo_u32 v6, s7, v0
	v_mul_lo_u32 v5, s2, v1
	s_delay_alu instid0(VALU_DEP_1) | instskip(SKIP_1) | instid1(VALU_DEP_2)
	v_add_nc_u32_e32 v4, v4, v5
	v_mul_lo_u32 v5, s2, v0
	v_add_nc_u32_e32 v4, v4, v6
	s_delay_alu instid0(VALU_DEP_2) | instskip(NEXT) | instid1(VALU_DEP_2)
	v_mul_hi_u32 v6, v0, v5
	v_mul_lo_u32 v7, v0, v4
	v_mul_hi_u32 v8, v0, v4
	v_mul_hi_u32 v10, v1, v5
	v_mul_lo_u32 v5, v1, v5
	v_mul_hi_u32 v11, v1, v4
	v_mul_lo_u32 v4, v1, v4
	v_add_co_u32 v6, vcc_lo, v6, v7
	v_add_co_ci_u32_e32 v7, vcc_lo, 0, v8, vcc_lo
	s_delay_alu instid0(VALU_DEP_2) | instskip(NEXT) | instid1(VALU_DEP_2)
	v_add_co_u32 v5, vcc_lo, v6, v5
	v_add_co_ci_u32_e32 v5, vcc_lo, v7, v10, vcc_lo
	v_add_co_ci_u32_e32 v6, vcc_lo, 0, v11, vcc_lo
	v_add_co_u32 v7, vcc_lo, v2, v9
	v_add_co_ci_u32_e32 v3, vcc_lo, v3, v9, vcc_lo
	s_delay_alu instid0(VALU_DEP_4) | instskip(NEXT) | instid1(VALU_DEP_4)
	v_add_co_u32 v4, vcc_lo, v5, v4
	v_add_co_ci_u32_e32 v5, vcc_lo, 0, v6, vcc_lo
	s_delay_alu instid0(VALU_DEP_4) | instskip(NEXT) | instid1(VALU_DEP_3)
	v_xor_b32_e32 v7, v7, v9
	v_add_co_u32 v6, vcc_lo, v0, v4
	s_delay_alu instid0(VALU_DEP_3) | instskip(SKIP_1) | instid1(VALU_DEP_3)
	v_add_co_ci_u32_e32 v8, vcc_lo, v1, v5, vcc_lo
	v_xor_b32_e32 v10, v3, v9
	v_mul_hi_u32 v11, v7, v6
	s_delay_alu instid0(VALU_DEP_3) | instskip(NEXT) | instid1(VALU_DEP_3)
	v_mad_u64_u32 v[0:1], null, v7, v8, 0
	v_mad_u64_u32 v[3:4], null, v10, v6, 0
	;; [unrolled: 1-line block ×3, first 2 shown]
	s_delay_alu instid0(VALU_DEP_3) | instskip(NEXT) | instid1(VALU_DEP_4)
	v_add_co_u32 v0, vcc_lo, v11, v0
	v_add_co_ci_u32_e32 v1, vcc_lo, 0, v1, vcc_lo
	s_delay_alu instid0(VALU_DEP_2) | instskip(NEXT) | instid1(VALU_DEP_2)
	v_add_co_u32 v0, vcc_lo, v0, v3
	v_add_co_ci_u32_e32 v0, vcc_lo, v1, v4, vcc_lo
	v_add_co_ci_u32_e32 v1, vcc_lo, 0, v6, vcc_lo
	s_delay_alu instid0(VALU_DEP_2) | instskip(NEXT) | instid1(VALU_DEP_2)
	v_add_co_u32 v3, vcc_lo, v0, v5
	v_add_co_ci_u32_e32 v4, vcc_lo, 0, v1, vcc_lo
	s_delay_alu instid0(VALU_DEP_2) | instskip(SKIP_1) | instid1(VALU_DEP_3)
	v_mul_lo_u32 v5, s11, v3
	v_mad_u64_u32 v[0:1], null, s10, v3, 0
	v_mul_lo_u32 v6, s10, v4
	s_delay_alu instid0(VALU_DEP_2) | instskip(NEXT) | instid1(VALU_DEP_2)
	v_sub_co_u32 v0, vcc_lo, v7, v0
	v_add3_u32 v1, v1, v6, v5
	s_delay_alu instid0(VALU_DEP_1) | instskip(NEXT) | instid1(VALU_DEP_1)
	v_sub_nc_u32_e32 v5, v10, v1
	v_subrev_co_ci_u32_e64 v5, s2, s11, v5, vcc_lo
	v_add_co_u32 v6, s2, v3, 2
	s_delay_alu instid0(VALU_DEP_1) | instskip(SKIP_3) | instid1(VALU_DEP_3)
	v_add_co_ci_u32_e64 v7, s2, 0, v4, s2
	v_sub_co_u32 v8, s2, v0, s10
	v_sub_co_ci_u32_e32 v1, vcc_lo, v10, v1, vcc_lo
	v_subrev_co_ci_u32_e64 v5, s2, 0, v5, s2
	v_cmp_le_u32_e32 vcc_lo, s10, v8
	s_delay_alu instid0(VALU_DEP_3) | instskip(SKIP_1) | instid1(VALU_DEP_4)
	v_cmp_eq_u32_e64 s2, s11, v1
	v_cndmask_b32_e64 v8, 0, -1, vcc_lo
	v_cmp_le_u32_e32 vcc_lo, s11, v5
	v_cndmask_b32_e64 v10, 0, -1, vcc_lo
	v_cmp_le_u32_e32 vcc_lo, s10, v0
	;; [unrolled: 2-line block ×3, first 2 shown]
	v_cndmask_b32_e64 v11, 0, -1, vcc_lo
	v_cmp_eq_u32_e32 vcc_lo, s11, v5
	s_delay_alu instid0(VALU_DEP_2) | instskip(SKIP_3) | instid1(VALU_DEP_3)
	v_cndmask_b32_e64 v0, v11, v0, s2
	v_cndmask_b32_e32 v5, v10, v8, vcc_lo
	v_add_co_u32 v8, vcc_lo, v3, 1
	v_add_co_ci_u32_e32 v10, vcc_lo, 0, v4, vcc_lo
	v_cmp_ne_u32_e32 vcc_lo, 0, v5
	s_delay_alu instid0(VALU_DEP_2) | instskip(NEXT) | instid1(VALU_DEP_4)
	v_cndmask_b32_e32 v1, v10, v7, vcc_lo
	v_cndmask_b32_e32 v5, v8, v6, vcc_lo
	v_cmp_ne_u32_e32 vcc_lo, 0, v0
	v_xor_b32_e32 v0, s8, v9
	s_delay_alu instid0(VALU_DEP_3) | instskip(SKIP_2) | instid1(VALU_DEP_3)
	v_cndmask_b32_e32 v3, v3, v5, vcc_lo
	v_cndmask_b32_e32 v1, v4, v1, vcc_lo
	v_xor_b32_e32 v4, s9, v9
	v_xor_b32_e32 v3, v3, v0
	s_delay_alu instid0(VALU_DEP_2) | instskip(NEXT) | instid1(VALU_DEP_2)
	v_xor_b32_e32 v1, v1, v4
	v_sub_co_u32 v0, vcc_lo, v3, v0
	s_delay_alu instid0(VALU_DEP_2)
	v_sub_co_ci_u32_e32 v1, vcc_lo, v1, v4, vcc_lo
.LBB30_2:
	s_and_not1_saveexec_b32 s2, s3
	s_cbranch_execz .LBB30_4
; %bb.3:
	v_cvt_f32_u32_e32 v0, s6
	s_sub_i32 s3, 0, s6
	s_delay_alu instid0(VALU_DEP_1) | instskip(SKIP_2) | instid1(VALU_DEP_1)
	v_rcp_iflag_f32_e32 v0, v0
	s_waitcnt_depctr 0xfff
	v_mul_f32_e32 v0, 0x4f7ffffe, v0
	v_cvt_u32_f32_e32 v0, v0
	s_delay_alu instid0(VALU_DEP_1) | instskip(NEXT) | instid1(VALU_DEP_1)
	v_mul_lo_u32 v1, s3, v0
	v_mul_hi_u32 v1, v0, v1
	s_delay_alu instid0(VALU_DEP_1) | instskip(NEXT) | instid1(VALU_DEP_1)
	v_add_nc_u32_e32 v0, v0, v1
	v_mul_hi_u32 v0, v2, v0
	s_delay_alu instid0(VALU_DEP_1) | instskip(SKIP_1) | instid1(VALU_DEP_2)
	v_mul_lo_u32 v1, v0, s6
	v_add_nc_u32_e32 v3, 1, v0
	v_sub_nc_u32_e32 v1, v2, v1
	s_delay_alu instid0(VALU_DEP_1) | instskip(SKIP_1) | instid1(VALU_DEP_2)
	v_subrev_nc_u32_e32 v4, s6, v1
	v_cmp_le_u32_e32 vcc_lo, s6, v1
	v_dual_cndmask_b32 v1, v1, v4 :: v_dual_cndmask_b32 v0, v0, v3
	s_delay_alu instid0(VALU_DEP_1) | instskip(NEXT) | instid1(VALU_DEP_2)
	v_cmp_le_u32_e32 vcc_lo, s6, v1
	v_add_nc_u32_e32 v3, 1, v0
	s_delay_alu instid0(VALU_DEP_1)
	v_dual_mov_b32 v1, 0 :: v_dual_cndmask_b32 v0, v0, v3
.LBB30_4:
	s_or_b32 exec_lo, exec_lo, s2
	s_load_b64 s[2:3], s[0:1], 0x18
	s_delay_alu instid0(VALU_DEP_1) | instskip(NEXT) | instid1(VALU_DEP_1)
	v_mad_u64_u32 v[3:4], null, v0, s6, 0
	v_sub_co_u32 v2, null, v2, v3
	s_waitcnt lgkmcnt(0)
	v_cmp_gt_i64_e32 vcc_lo, s[2:3], v[0:1]
	s_delay_alu instid0(VALU_DEP_2) | instskip(NEXT) | instid1(VALU_DEP_1)
	v_cmp_gt_i32_e64 s2, s5, v2
	s_and_b32 s2, vcc_lo, s2
	s_delay_alu instid0(SALU_CYCLE_1)
	s_and_saveexec_b32 s3, s2
	s_cbranch_execz .LBB30_390
; %bb.5:
	s_ashr_i32 s6, s4, 31
	s_load_b64 s[2:3], s[0:1], 0x0
	v_mul_lo_u32 v5, v1, s4
	v_mad_u64_u32 v[3:4], null, v0, s4, 0
	v_mul_lo_u32 v6, v0, s6
	s_delay_alu instid0(VALU_DEP_1) | instskip(SKIP_1) | instid1(VALU_DEP_2)
	v_add3_u32 v4, v4, v6, v5
	v_dual_mov_b32 v6, 0 :: v_dual_lshlrev_b32 v5, 5, v2
	v_lshlrev_b64 v[3:4], 1, v[3:4]
	s_delay_alu instid0(VALU_DEP_2) | instskip(SKIP_1) | instid1(VALU_DEP_2)
	v_lshlrev_b64 v[5:6], 1, v[5:6]
	s_waitcnt lgkmcnt(0)
	v_add_co_u32 v3, vcc_lo, s2, v3
	s_delay_alu instid0(VALU_DEP_3) | instskip(SKIP_1) | instid1(VALU_DEP_2)
	v_add_co_ci_u32_e32 v4, vcc_lo, s3, v4, vcc_lo
	s_mov_b32 s2, exec_lo
	v_add_co_u32 v7, vcc_lo, v3, v5
	s_delay_alu instid0(VALU_DEP_2)
	v_add_co_ci_u32_e32 v8, vcc_lo, v4, v6, vcc_lo
	s_clause 0x3
	global_load_b128 v[3:6], v[7:8], off
	global_load_b128 v[10:13], v[7:8], off offset:16
	global_load_b128 v[52:55], v[7:8], off offset:32
	;; [unrolled: 1-line block ×3, first 2 shown]
	s_waitcnt vmcnt(3)
	v_lshlrev_b32_e32 v17, 16, v3
	v_and_b32_e32 v7, 0xffff0000, v3
	v_lshlrev_b32_e32 v9, 16, v4
	v_and_b32_e32 v14, 0xffff0000, v4
	;; [unrolled: 2-line block ×3, first 2 shown]
	v_max3_f32 v3, |v17|, 0, |v7|
	v_lshlrev_b32_e32 v22, 16, v6
	v_and_b32_e32 v25, 0xffff0000, v6
	s_waitcnt vmcnt(2)
	v_lshlrev_b32_e32 v28, 16, v10
	v_and_b32_e32 v31, 0xffff0000, v10
	v_max3_f32 v3, v3, |v9|, |v14|
	v_lshlrev_b32_e32 v34, 16, v11
	v_and_b32_e32 v37, 0xffff0000, v11
	v_lshlrev_b32_e32 v39, 16, v12
	v_and_b32_e32 v41, 0xffff0000, v12
	v_max3_f32 v3, v3, |v16|, |v20|
	v_lshlrev_b32_e32 v45, 16, v13
	v_and_b32_e32 v47, 0xffff0000, v13
	s_waitcnt vmcnt(1)
	v_lshlrev_b32_e32 v51, 16, v52
	v_and_b32_e32 v52, 0xffff0000, v52
	v_max3_f32 v3, v3, |v22|, |v25|
	v_lshlrev_b32_e32 v48, 16, v53
	v_and_b32_e32 v46, 0xffff0000, v53
	v_lshlrev_b32_e32 v42, 16, v54
	v_and_b32_e32 v40, 0xffff0000, v54
	v_max3_f32 v3, v3, |v28|, |v31|
	;; [unrolled: 11-line block ×3, first 2 shown]
	v_lshlrev_b32_e32 v13, 16, v59
	v_and_b32_e32 v8, 0xffff0000, v59
	s_delay_alu instid0(VALU_DEP_3) | instskip(NEXT) | instid1(VALU_DEP_1)
	v_max3_f32 v3, v3, |v45|, |v47|
	v_max3_f32 v3, v3, |v51|, |v52|
	s_delay_alu instid0(VALU_DEP_1) | instskip(NEXT) | instid1(VALU_DEP_1)
	v_max3_f32 v3, v3, |v48|, |v46|
	v_max3_f32 v3, v3, |v42|, |v40|
	s_delay_alu instid0(VALU_DEP_1) | instskip(NEXT) | instid1(VALU_DEP_1)
	;; [unrolled: 3-line block ×4, first 2 shown]
	v_max3_f32 v3, v3, |v13|, |v8|
	v_mul_f32_e32 v3, 0x3e2aaaab, v3
	s_delay_alu instid0(VALU_DEP_1) | instskip(SKIP_1) | instid1(VALU_DEP_2)
	v_and_b32_e32 v4, 0x7fffff, v3
	v_bfe_u32 v3, v3, 23, 8
	v_cmp_ne_u32_e32 vcc_lo, 0, v4
	s_delay_alu instid0(VALU_DEP_2) | instskip(SKIP_1) | instid1(VALU_DEP_2)
	v_add_co_ci_u32_e32 v4, vcc_lo, 0, v3, vcc_lo
	v_cmp_ne_u32_e32 vcc_lo, 0xff, v3
	v_lshlrev_b32_e32 v4, 23, v4
	s_delay_alu instid0(VALU_DEP_1) | instskip(NEXT) | instid1(VALU_DEP_1)
	v_cndmask_b32_e32 v3, 0x7f800000, v4, vcc_lo
	v_div_scale_f32 v4, null, v3, v3, 1.0
	v_div_scale_f32 v10, vcc_lo, 1.0, v3, 1.0
	s_delay_alu instid0(VALU_DEP_2) | instskip(SKIP_2) | instid1(VALU_DEP_1)
	v_rcp_f32_e32 v5, v4
	s_waitcnt_depctr 0xfff
	v_fma_f32 v6, -v4, v5, 1.0
	v_fmac_f32_e32 v5, v6, v5
	s_delay_alu instid0(VALU_DEP_1) | instskip(NEXT) | instid1(VALU_DEP_1)
	v_mul_f32_e32 v6, v10, v5
	v_fma_f32 v11, -v4, v6, v10
	s_delay_alu instid0(VALU_DEP_1) | instskip(NEXT) | instid1(VALU_DEP_1)
	v_fmac_f32_e32 v6, v11, v5
	v_fma_f32 v4, -v4, v6, v10
	s_delay_alu instid0(VALU_DEP_1) | instskip(SKIP_2) | instid1(VALU_DEP_3)
	v_div_fmas_f32 v4, v4, v5, v6
	v_cmp_neq_f32_e32 vcc_lo, 0, v3
	v_mov_b32_e32 v6, 7
	v_div_fixup_f32 v4, v4, v3, 1.0
	s_delay_alu instid0(VALU_DEP_1) | instskip(NEXT) | instid1(VALU_DEP_1)
	v_cndmask_b32_e32 v10, 0, v4, vcc_lo
	v_dual_mov_b32 v4, 7 :: v_dual_mul_f32 v5, v10, v17
	s_delay_alu instid0(VALU_DEP_1)
	v_cmpx_nle_f32_e64 0x40a00000, |v5|
	s_cbranch_execz .LBB30_17
; %bb.6:
	v_mov_b32_e32 v4, 6
	s_mov_b32 s3, exec_lo
	v_cmpx_nle_f32_e64 0x40600000, |v5|
	s_cbranch_execz .LBB30_16
; %bb.7:
	v_mov_b32_e32 v4, 5
	s_mov_b32 s6, exec_lo
	;; [unrolled: 5-line block ×5, first 2 shown]
	v_cmpx_nle_f32_e64 0x3f400000, |v5|
; %bb.11:
	v_cmp_le_f32_e64 s10, 0x3e800000, |v5|
	s_delay_alu instid0(VALU_DEP_1)
	v_cndmask_b32_e64 v4, 0, 1, s10
; %bb.12:
	s_or_b32 exec_lo, exec_lo, s9
.LBB30_13:
	s_delay_alu instid0(SALU_CYCLE_1)
	s_or_b32 exec_lo, exec_lo, s8
.LBB30_14:
	s_delay_alu instid0(SALU_CYCLE_1)
	s_or_b32 exec_lo, exec_lo, s7
.LBB30_15:
	s_delay_alu instid0(SALU_CYCLE_1)
	s_or_b32 exec_lo, exec_lo, s6
.LBB30_16:
	s_delay_alu instid0(SALU_CYCLE_1)
	s_or_b32 exec_lo, exec_lo, s3
.LBB30_17:
	s_delay_alu instid0(SALU_CYCLE_1) | instskip(SKIP_2) | instid1(VALU_DEP_1)
	s_or_b32 exec_lo, exec_lo, s2
	v_mul_f32_e32 v7, v10, v7
	s_mov_b32 s2, exec_lo
	v_cmpx_nle_f32_e64 0x40a00000, |v7|
	s_cbranch_execz .LBB30_29
; %bb.18:
	v_mov_b32_e32 v6, 6
	s_mov_b32 s3, exec_lo
	v_cmpx_nle_f32_e64 0x40600000, |v7|
	s_cbranch_execz .LBB30_28
; %bb.19:
	v_mov_b32_e32 v6, 5
	;; [unrolled: 5-line block ×5, first 2 shown]
	s_mov_b32 s9, exec_lo
	v_cmpx_nle_f32_e64 0x3f400000, |v7|
; %bb.23:
	v_cmp_le_f32_e64 s10, 0x3e800000, |v7|
	s_delay_alu instid0(VALU_DEP_1)
	v_cndmask_b32_e64 v6, 0, 1, s10
; %bb.24:
	s_or_b32 exec_lo, exec_lo, s9
.LBB30_25:
	s_delay_alu instid0(SALU_CYCLE_1)
	s_or_b32 exec_lo, exec_lo, s8
.LBB30_26:
	s_delay_alu instid0(SALU_CYCLE_1)
	s_or_b32 exec_lo, exec_lo, s7
.LBB30_27:
	s_delay_alu instid0(SALU_CYCLE_1)
	s_or_b32 exec_lo, exec_lo, s6
.LBB30_28:
	s_delay_alu instid0(SALU_CYCLE_1)
	s_or_b32 exec_lo, exec_lo, s3
.LBB30_29:
	s_delay_alu instid0(SALU_CYCLE_1) | instskip(SKIP_3) | instid1(VALU_DEP_2)
	s_or_b32 exec_lo, exec_lo, s2
	v_dual_mul_f32 v11, v10, v9 :: v_dual_mov_b32 v12, 7
	v_mov_b32_e32 v9, 7
	s_mov_b32 s2, exec_lo
	v_cmpx_nle_f32_e64 0x40a00000, |v11|
	s_cbranch_execz .LBB30_41
; %bb.30:
	v_mov_b32_e32 v12, 6
	s_mov_b32 s3, exec_lo
	v_cmpx_nle_f32_e64 0x40600000, |v11|
	s_cbranch_execz .LBB30_40
; %bb.31:
	;; [unrolled: 5-line block ×5, first 2 shown]
	v_mov_b32_e32 v12, 2
	s_mov_b32 s9, exec_lo
	v_cmpx_nle_f32_e64 0x3f400000, |v11|
; %bb.35:
	v_cmp_le_f32_e64 s10, 0x3e800000, |v11|
	s_delay_alu instid0(VALU_DEP_1)
	v_cndmask_b32_e64 v12, 0, 1, s10
; %bb.36:
	s_or_b32 exec_lo, exec_lo, s9
.LBB30_37:
	s_delay_alu instid0(SALU_CYCLE_1)
	s_or_b32 exec_lo, exec_lo, s8
.LBB30_38:
	s_delay_alu instid0(SALU_CYCLE_1)
	s_or_b32 exec_lo, exec_lo, s7
.LBB30_39:
	s_delay_alu instid0(SALU_CYCLE_1)
	s_or_b32 exec_lo, exec_lo, s6
.LBB30_40:
	s_delay_alu instid0(SALU_CYCLE_1)
	s_or_b32 exec_lo, exec_lo, s3
.LBB30_41:
	s_delay_alu instid0(SALU_CYCLE_1) | instskip(SKIP_2) | instid1(VALU_DEP_1)
	s_or_b32 exec_lo, exec_lo, s2
	v_mul_f32_e32 v14, v10, v14
	s_mov_b32 s2, exec_lo
	v_cmpx_nle_f32_e64 0x40a00000, |v14|
	s_cbranch_execz .LBB30_53
; %bb.42:
	v_mov_b32_e32 v9, 6
	s_mov_b32 s3, exec_lo
	v_cmpx_nle_f32_e64 0x40600000, |v14|
	s_cbranch_execz .LBB30_52
; %bb.43:
	v_mov_b32_e32 v9, 5
	;; [unrolled: 5-line block ×5, first 2 shown]
	s_mov_b32 s9, exec_lo
	v_cmpx_nle_f32_e64 0x3f400000, |v14|
; %bb.47:
	v_cmp_le_f32_e64 s10, 0x3e800000, |v14|
	s_delay_alu instid0(VALU_DEP_1)
	v_cndmask_b32_e64 v9, 0, 1, s10
; %bb.48:
	s_or_b32 exec_lo, exec_lo, s9
.LBB30_49:
	s_delay_alu instid0(SALU_CYCLE_1)
	s_or_b32 exec_lo, exec_lo, s8
.LBB30_50:
	s_delay_alu instid0(SALU_CYCLE_1)
	s_or_b32 exec_lo, exec_lo, s7
.LBB30_51:
	s_delay_alu instid0(SALU_CYCLE_1)
	s_or_b32 exec_lo, exec_lo, s6
.LBB30_52:
	s_delay_alu instid0(SALU_CYCLE_1)
	s_or_b32 exec_lo, exec_lo, s3
.LBB30_53:
	s_delay_alu instid0(SALU_CYCLE_1) | instskip(SKIP_3) | instid1(VALU_DEP_2)
	s_or_b32 exec_lo, exec_lo, s2
	v_dual_mul_f32 v18, v10, v16 :: v_dual_mov_b32 v17, 7
	v_mov_b32_e32 v16, 7
	s_mov_b32 s2, exec_lo
	v_cmpx_nle_f32_e64 0x40a00000, |v18|
	s_cbranch_execz .LBB30_65
; %bb.54:
	v_mov_b32_e32 v16, 6
	s_mov_b32 s3, exec_lo
	v_cmpx_nle_f32_e64 0x40600000, |v18|
	s_cbranch_execz .LBB30_64
; %bb.55:
	;; [unrolled: 5-line block ×5, first 2 shown]
	v_mov_b32_e32 v16, 2
	s_mov_b32 s9, exec_lo
	v_cmpx_nle_f32_e64 0x3f400000, |v18|
; %bb.59:
	v_cmp_le_f32_e64 s10, 0x3e800000, |v18|
	s_delay_alu instid0(VALU_DEP_1)
	v_cndmask_b32_e64 v16, 0, 1, s10
; %bb.60:
	s_or_b32 exec_lo, exec_lo, s9
.LBB30_61:
	s_delay_alu instid0(SALU_CYCLE_1)
	s_or_b32 exec_lo, exec_lo, s8
.LBB30_62:
	s_delay_alu instid0(SALU_CYCLE_1)
	s_or_b32 exec_lo, exec_lo, s7
.LBB30_63:
	s_delay_alu instid0(SALU_CYCLE_1)
	s_or_b32 exec_lo, exec_lo, s6
.LBB30_64:
	s_delay_alu instid0(SALU_CYCLE_1)
	s_or_b32 exec_lo, exec_lo, s3
.LBB30_65:
	s_delay_alu instid0(SALU_CYCLE_1) | instskip(SKIP_2) | instid1(VALU_DEP_1)
	s_or_b32 exec_lo, exec_lo, s2
	v_mul_f32_e32 v20, v10, v20
	s_mov_b32 s2, exec_lo
	v_cmpx_nle_f32_e64 0x40a00000, |v20|
	s_cbranch_execz .LBB30_77
; %bb.66:
	v_mov_b32_e32 v17, 6
	s_mov_b32 s3, exec_lo
	v_cmpx_nle_f32_e64 0x40600000, |v20|
	s_cbranch_execz .LBB30_76
; %bb.67:
	v_mov_b32_e32 v17, 5
	;; [unrolled: 5-line block ×5, first 2 shown]
	s_mov_b32 s9, exec_lo
	v_cmpx_nle_f32_e64 0x3f400000, |v20|
; %bb.71:
	v_cmp_le_f32_e64 s10, 0x3e800000, |v20|
	s_delay_alu instid0(VALU_DEP_1)
	v_cndmask_b32_e64 v17, 0, 1, s10
; %bb.72:
	s_or_b32 exec_lo, exec_lo, s9
.LBB30_73:
	s_delay_alu instid0(SALU_CYCLE_1)
	s_or_b32 exec_lo, exec_lo, s8
.LBB30_74:
	s_delay_alu instid0(SALU_CYCLE_1)
	s_or_b32 exec_lo, exec_lo, s7
.LBB30_75:
	s_delay_alu instid0(SALU_CYCLE_1)
	s_or_b32 exec_lo, exec_lo, s6
.LBB30_76:
	s_delay_alu instid0(SALU_CYCLE_1)
	s_or_b32 exec_lo, exec_lo, s3
.LBB30_77:
	s_delay_alu instid0(SALU_CYCLE_1) | instskip(SKIP_3) | instid1(VALU_DEP_2)
	s_or_b32 exec_lo, exec_lo, s2
	v_dual_mul_f32 v24, v10, v22 :: v_dual_mov_b32 v23, 7
	v_mov_b32_e32 v22, 7
	s_mov_b32 s2, exec_lo
	v_cmpx_nle_f32_e64 0x40a00000, |v24|
	s_cbranch_execz .LBB30_89
; %bb.78:
	v_mov_b32_e32 v23, 6
	s_mov_b32 s3, exec_lo
	v_cmpx_nle_f32_e64 0x40600000, |v24|
	s_cbranch_execz .LBB30_88
; %bb.79:
	;; [unrolled: 5-line block ×5, first 2 shown]
	v_mov_b32_e32 v23, 2
	s_mov_b32 s9, exec_lo
	v_cmpx_nle_f32_e64 0x3f400000, |v24|
; %bb.83:
	v_cmp_le_f32_e64 s10, 0x3e800000, |v24|
	s_delay_alu instid0(VALU_DEP_1)
	v_cndmask_b32_e64 v23, 0, 1, s10
; %bb.84:
	s_or_b32 exec_lo, exec_lo, s9
.LBB30_85:
	s_delay_alu instid0(SALU_CYCLE_1)
	s_or_b32 exec_lo, exec_lo, s8
.LBB30_86:
	s_delay_alu instid0(SALU_CYCLE_1)
	s_or_b32 exec_lo, exec_lo, s7
.LBB30_87:
	s_delay_alu instid0(SALU_CYCLE_1)
	s_or_b32 exec_lo, exec_lo, s6
.LBB30_88:
	s_delay_alu instid0(SALU_CYCLE_1)
	s_or_b32 exec_lo, exec_lo, s3
.LBB30_89:
	s_delay_alu instid0(SALU_CYCLE_1) | instskip(SKIP_2) | instid1(VALU_DEP_1)
	s_or_b32 exec_lo, exec_lo, s2
	v_mul_f32_e32 v25, v10, v25
	s_mov_b32 s2, exec_lo
	v_cmpx_nle_f32_e64 0x40a00000, |v25|
	s_cbranch_execz .LBB30_101
; %bb.90:
	v_mov_b32_e32 v22, 6
	s_mov_b32 s3, exec_lo
	v_cmpx_nle_f32_e64 0x40600000, |v25|
	s_cbranch_execz .LBB30_100
; %bb.91:
	v_mov_b32_e32 v22, 5
	;; [unrolled: 5-line block ×5, first 2 shown]
	s_mov_b32 s9, exec_lo
	v_cmpx_nle_f32_e64 0x3f400000, |v25|
; %bb.95:
	v_cmp_le_f32_e64 s10, 0x3e800000, |v25|
	s_delay_alu instid0(VALU_DEP_1)
	v_cndmask_b32_e64 v22, 0, 1, s10
; %bb.96:
	s_or_b32 exec_lo, exec_lo, s9
.LBB30_97:
	s_delay_alu instid0(SALU_CYCLE_1)
	s_or_b32 exec_lo, exec_lo, s8
.LBB30_98:
	s_delay_alu instid0(SALU_CYCLE_1)
	s_or_b32 exec_lo, exec_lo, s7
.LBB30_99:
	s_delay_alu instid0(SALU_CYCLE_1)
	s_or_b32 exec_lo, exec_lo, s6
.LBB30_100:
	s_delay_alu instid0(SALU_CYCLE_1)
	s_or_b32 exec_lo, exec_lo, s3
.LBB30_101:
	s_delay_alu instid0(SALU_CYCLE_1) | instskip(SKIP_3) | instid1(VALU_DEP_2)
	s_or_b32 exec_lo, exec_lo, s2
	v_dual_mul_f32 v30, v10, v28 :: v_dual_mov_b32 v29, 7
	v_mov_b32_e32 v28, 7
	s_mov_b32 s2, exec_lo
	v_cmpx_nle_f32_e64 0x40a00000, |v30|
	s_cbranch_execz .LBB30_113
; %bb.102:
	v_mov_b32_e32 v29, 6
	s_mov_b32 s3, exec_lo
	v_cmpx_nle_f32_e64 0x40600000, |v30|
	s_cbranch_execz .LBB30_112
; %bb.103:
	;; [unrolled: 5-line block ×5, first 2 shown]
	v_mov_b32_e32 v29, 2
	s_mov_b32 s9, exec_lo
	v_cmpx_nle_f32_e64 0x3f400000, |v30|
; %bb.107:
	v_cmp_le_f32_e64 s10, 0x3e800000, |v30|
	s_delay_alu instid0(VALU_DEP_1)
	v_cndmask_b32_e64 v29, 0, 1, s10
; %bb.108:
	s_or_b32 exec_lo, exec_lo, s9
.LBB30_109:
	s_delay_alu instid0(SALU_CYCLE_1)
	s_or_b32 exec_lo, exec_lo, s8
.LBB30_110:
	s_delay_alu instid0(SALU_CYCLE_1)
	s_or_b32 exec_lo, exec_lo, s7
.LBB30_111:
	s_delay_alu instid0(SALU_CYCLE_1)
	s_or_b32 exec_lo, exec_lo, s6
.LBB30_112:
	s_delay_alu instid0(SALU_CYCLE_1)
	s_or_b32 exec_lo, exec_lo, s3
.LBB30_113:
	s_delay_alu instid0(SALU_CYCLE_1) | instskip(SKIP_2) | instid1(VALU_DEP_1)
	s_or_b32 exec_lo, exec_lo, s2
	v_mul_f32_e32 v31, v10, v31
	s_mov_b32 s2, exec_lo
	v_cmpx_nle_f32_e64 0x40a00000, |v31|
	s_cbranch_execz .LBB30_125
; %bb.114:
	v_mov_b32_e32 v28, 6
	s_mov_b32 s3, exec_lo
	v_cmpx_nle_f32_e64 0x40600000, |v31|
	s_cbranch_execz .LBB30_124
; %bb.115:
	v_mov_b32_e32 v28, 5
	;; [unrolled: 5-line block ×5, first 2 shown]
	s_mov_b32 s9, exec_lo
	v_cmpx_nle_f32_e64 0x3f400000, |v31|
; %bb.119:
	v_cmp_le_f32_e64 s10, 0x3e800000, |v31|
	s_delay_alu instid0(VALU_DEP_1)
	v_cndmask_b32_e64 v28, 0, 1, s10
; %bb.120:
	s_or_b32 exec_lo, exec_lo, s9
.LBB30_121:
	s_delay_alu instid0(SALU_CYCLE_1)
	s_or_b32 exec_lo, exec_lo, s8
.LBB30_122:
	s_delay_alu instid0(SALU_CYCLE_1)
	s_or_b32 exec_lo, exec_lo, s7
.LBB30_123:
	s_delay_alu instid0(SALU_CYCLE_1)
	s_or_b32 exec_lo, exec_lo, s6
.LBB30_124:
	s_delay_alu instid0(SALU_CYCLE_1)
	s_or_b32 exec_lo, exec_lo, s3
.LBB30_125:
	s_delay_alu instid0(SALU_CYCLE_1) | instskip(SKIP_3) | instid1(VALU_DEP_2)
	s_or_b32 exec_lo, exec_lo, s2
	v_dual_mul_f32 v36, v10, v34 :: v_dual_mov_b32 v35, 7
	v_mov_b32_e32 v34, 7
	s_mov_b32 s2, exec_lo
	v_cmpx_nle_f32_e64 0x40a00000, |v36|
	s_cbranch_execz .LBB30_137
; %bb.126:
	v_mov_b32_e32 v35, 6
	s_mov_b32 s3, exec_lo
	v_cmpx_nle_f32_e64 0x40600000, |v36|
	s_cbranch_execz .LBB30_136
; %bb.127:
	;; [unrolled: 5-line block ×5, first 2 shown]
	v_mov_b32_e32 v35, 2
	s_mov_b32 s9, exec_lo
	v_cmpx_nle_f32_e64 0x3f400000, |v36|
; %bb.131:
	v_cmp_le_f32_e64 s10, 0x3e800000, |v36|
	s_delay_alu instid0(VALU_DEP_1)
	v_cndmask_b32_e64 v35, 0, 1, s10
; %bb.132:
	s_or_b32 exec_lo, exec_lo, s9
.LBB30_133:
	s_delay_alu instid0(SALU_CYCLE_1)
	s_or_b32 exec_lo, exec_lo, s8
.LBB30_134:
	s_delay_alu instid0(SALU_CYCLE_1)
	s_or_b32 exec_lo, exec_lo, s7
.LBB30_135:
	s_delay_alu instid0(SALU_CYCLE_1)
	s_or_b32 exec_lo, exec_lo, s6
.LBB30_136:
	s_delay_alu instid0(SALU_CYCLE_1)
	s_or_b32 exec_lo, exec_lo, s3
.LBB30_137:
	s_delay_alu instid0(SALU_CYCLE_1) | instskip(SKIP_2) | instid1(VALU_DEP_1)
	s_or_b32 exec_lo, exec_lo, s2
	v_mul_f32_e32 v37, v10, v37
	s_mov_b32 s2, exec_lo
	v_cmpx_nle_f32_e64 0x40a00000, |v37|
	s_cbranch_execz .LBB30_149
; %bb.138:
	v_mov_b32_e32 v34, 6
	s_mov_b32 s3, exec_lo
	v_cmpx_nle_f32_e64 0x40600000, |v37|
	s_cbranch_execz .LBB30_148
; %bb.139:
	v_mov_b32_e32 v34, 5
	;; [unrolled: 5-line block ×5, first 2 shown]
	s_mov_b32 s9, exec_lo
	v_cmpx_nle_f32_e64 0x3f400000, |v37|
; %bb.143:
	v_cmp_le_f32_e64 s10, 0x3e800000, |v37|
	s_delay_alu instid0(VALU_DEP_1)
	v_cndmask_b32_e64 v34, 0, 1, s10
; %bb.144:
	s_or_b32 exec_lo, exec_lo, s9
.LBB30_145:
	s_delay_alu instid0(SALU_CYCLE_1)
	s_or_b32 exec_lo, exec_lo, s8
.LBB30_146:
	s_delay_alu instid0(SALU_CYCLE_1)
	s_or_b32 exec_lo, exec_lo, s7
.LBB30_147:
	s_delay_alu instid0(SALU_CYCLE_1)
	s_or_b32 exec_lo, exec_lo, s6
.LBB30_148:
	s_delay_alu instid0(SALU_CYCLE_1)
	s_or_b32 exec_lo, exec_lo, s3
.LBB30_149:
	s_delay_alu instid0(SALU_CYCLE_1) | instskip(SKIP_3) | instid1(VALU_DEP_2)
	s_or_b32 exec_lo, exec_lo, s2
	v_dual_mul_f32 v43, v10, v39 :: v_dual_mov_b32 v44, 7
	v_mov_b32_e32 v39, 7
	s_mov_b32 s2, exec_lo
	v_cmpx_nle_f32_e64 0x40a00000, |v43|
	s_cbranch_execz .LBB30_161
; %bb.150:
	v_mov_b32_e32 v44, 6
	s_mov_b32 s3, exec_lo
	v_cmpx_nle_f32_e64 0x40600000, |v43|
	s_cbranch_execz .LBB30_160
; %bb.151:
	;; [unrolled: 5-line block ×5, first 2 shown]
	v_mov_b32_e32 v44, 2
	s_mov_b32 s9, exec_lo
	v_cmpx_nle_f32_e64 0x3f400000, |v43|
; %bb.155:
	v_cmp_le_f32_e64 s10, 0x3e800000, |v43|
	s_delay_alu instid0(VALU_DEP_1)
	v_cndmask_b32_e64 v44, 0, 1, s10
; %bb.156:
	s_or_b32 exec_lo, exec_lo, s9
.LBB30_157:
	s_delay_alu instid0(SALU_CYCLE_1)
	s_or_b32 exec_lo, exec_lo, s8
.LBB30_158:
	s_delay_alu instid0(SALU_CYCLE_1)
	s_or_b32 exec_lo, exec_lo, s7
.LBB30_159:
	s_delay_alu instid0(SALU_CYCLE_1)
	s_or_b32 exec_lo, exec_lo, s6
.LBB30_160:
	s_delay_alu instid0(SALU_CYCLE_1)
	s_or_b32 exec_lo, exec_lo, s3
.LBB30_161:
	s_delay_alu instid0(SALU_CYCLE_1) | instskip(SKIP_2) | instid1(VALU_DEP_1)
	s_or_b32 exec_lo, exec_lo, s2
	v_mul_f32_e32 v41, v10, v41
	s_mov_b32 s2, exec_lo
	v_cmpx_nle_f32_e64 0x40a00000, |v41|
	s_cbranch_execz .LBB30_173
; %bb.162:
	v_mov_b32_e32 v39, 6
	s_mov_b32 s3, exec_lo
	v_cmpx_nle_f32_e64 0x40600000, |v41|
	s_cbranch_execz .LBB30_172
; %bb.163:
	v_mov_b32_e32 v39, 5
	;; [unrolled: 5-line block ×5, first 2 shown]
	s_mov_b32 s9, exec_lo
	v_cmpx_nle_f32_e64 0x3f400000, |v41|
; %bb.167:
	v_cmp_le_f32_e64 s10, 0x3e800000, |v41|
	s_delay_alu instid0(VALU_DEP_1)
	v_cndmask_b32_e64 v39, 0, 1, s10
; %bb.168:
	s_or_b32 exec_lo, exec_lo, s9
.LBB30_169:
	s_delay_alu instid0(SALU_CYCLE_1)
	s_or_b32 exec_lo, exec_lo, s8
.LBB30_170:
	s_delay_alu instid0(SALU_CYCLE_1)
	s_or_b32 exec_lo, exec_lo, s7
.LBB30_171:
	s_delay_alu instid0(SALU_CYCLE_1)
	s_or_b32 exec_lo, exec_lo, s6
.LBB30_172:
	s_delay_alu instid0(SALU_CYCLE_1)
	s_or_b32 exec_lo, exec_lo, s3
.LBB30_173:
	s_delay_alu instid0(SALU_CYCLE_1) | instskip(SKIP_3) | instid1(VALU_DEP_2)
	s_or_b32 exec_lo, exec_lo, s2
	v_dual_mul_f32 v50, v10, v45 :: v_dual_mov_b32 v45, 7
	v_mov_b32_e32 v49, 7
	s_mov_b32 s2, exec_lo
	v_cmpx_nle_f32_e64 0x40a00000, |v50|
	s_cbranch_execz .LBB30_185
; %bb.174:
	v_mov_b32_e32 v49, 6
	s_mov_b32 s3, exec_lo
	v_cmpx_nle_f32_e64 0x40600000, |v50|
	s_cbranch_execz .LBB30_184
; %bb.175:
	;; [unrolled: 5-line block ×5, first 2 shown]
	v_mov_b32_e32 v49, 2
	s_mov_b32 s9, exec_lo
	v_cmpx_nle_f32_e64 0x3f400000, |v50|
; %bb.179:
	v_cmp_le_f32_e64 s10, 0x3e800000, |v50|
	s_delay_alu instid0(VALU_DEP_1)
	v_cndmask_b32_e64 v49, 0, 1, s10
; %bb.180:
	s_or_b32 exec_lo, exec_lo, s9
.LBB30_181:
	s_delay_alu instid0(SALU_CYCLE_1)
	s_or_b32 exec_lo, exec_lo, s8
.LBB30_182:
	s_delay_alu instid0(SALU_CYCLE_1)
	s_or_b32 exec_lo, exec_lo, s7
.LBB30_183:
	s_delay_alu instid0(SALU_CYCLE_1)
	s_or_b32 exec_lo, exec_lo, s6
.LBB30_184:
	s_delay_alu instid0(SALU_CYCLE_1)
	s_or_b32 exec_lo, exec_lo, s3
.LBB30_185:
	s_delay_alu instid0(SALU_CYCLE_1) | instskip(SKIP_2) | instid1(VALU_DEP_1)
	s_or_b32 exec_lo, exec_lo, s2
	v_mul_f32_e32 v47, v10, v47
	s_mov_b32 s2, exec_lo
	v_cmpx_nle_f32_e64 0x40a00000, |v47|
	s_cbranch_execz .LBB30_197
; %bb.186:
	v_mov_b32_e32 v45, 6
	s_mov_b32 s3, exec_lo
	v_cmpx_nle_f32_e64 0x40600000, |v47|
	s_cbranch_execz .LBB30_196
; %bb.187:
	v_mov_b32_e32 v45, 5
	;; [unrolled: 5-line block ×5, first 2 shown]
	s_mov_b32 s9, exec_lo
	v_cmpx_nle_f32_e64 0x3f400000, |v47|
; %bb.191:
	v_cmp_le_f32_e64 s10, 0x3e800000, |v47|
	s_delay_alu instid0(VALU_DEP_1)
	v_cndmask_b32_e64 v45, 0, 1, s10
; %bb.192:
	s_or_b32 exec_lo, exec_lo, s9
.LBB30_193:
	s_delay_alu instid0(SALU_CYCLE_1)
	s_or_b32 exec_lo, exec_lo, s8
.LBB30_194:
	s_delay_alu instid0(SALU_CYCLE_1)
	s_or_b32 exec_lo, exec_lo, s7
.LBB30_195:
	s_delay_alu instid0(SALU_CYCLE_1)
	s_or_b32 exec_lo, exec_lo, s6
.LBB30_196:
	s_delay_alu instid0(SALU_CYCLE_1)
	s_or_b32 exec_lo, exec_lo, s3
.LBB30_197:
	s_delay_alu instid0(SALU_CYCLE_1) | instskip(SKIP_3) | instid1(VALU_DEP_2)
	s_or_b32 exec_lo, exec_lo, s2
	v_dual_mul_f32 v54, v10, v51 :: v_dual_mov_b32 v51, 7
	v_mov_b32_e32 v53, 7
	s_mov_b32 s2, exec_lo
	v_cmpx_nle_f32_e64 0x40a00000, |v54|
	s_cbranch_execz .LBB30_209
; %bb.198:
	v_mov_b32_e32 v53, 6
	s_mov_b32 s3, exec_lo
	v_cmpx_nle_f32_e64 0x40600000, |v54|
	s_cbranch_execz .LBB30_208
; %bb.199:
	;; [unrolled: 5-line block ×5, first 2 shown]
	v_mov_b32_e32 v53, 2
	s_mov_b32 s9, exec_lo
	v_cmpx_nle_f32_e64 0x3f400000, |v54|
; %bb.203:
	v_cmp_le_f32_e64 s10, 0x3e800000, |v54|
	s_delay_alu instid0(VALU_DEP_1)
	v_cndmask_b32_e64 v53, 0, 1, s10
; %bb.204:
	s_or_b32 exec_lo, exec_lo, s9
.LBB30_205:
	s_delay_alu instid0(SALU_CYCLE_1)
	s_or_b32 exec_lo, exec_lo, s8
.LBB30_206:
	s_delay_alu instid0(SALU_CYCLE_1)
	s_or_b32 exec_lo, exec_lo, s7
.LBB30_207:
	s_delay_alu instid0(SALU_CYCLE_1)
	s_or_b32 exec_lo, exec_lo, s6
.LBB30_208:
	s_delay_alu instid0(SALU_CYCLE_1)
	s_or_b32 exec_lo, exec_lo, s3
.LBB30_209:
	s_delay_alu instid0(SALU_CYCLE_1) | instskip(SKIP_2) | instid1(VALU_DEP_1)
	s_or_b32 exec_lo, exec_lo, s2
	v_mul_f32_e32 v52, v10, v52
	s_mov_b32 s2, exec_lo
	v_cmpx_nle_f32_e64 0x40a00000, |v52|
	s_cbranch_execz .LBB30_221
; %bb.210:
	v_mov_b32_e32 v51, 6
	s_mov_b32 s3, exec_lo
	v_cmpx_nle_f32_e64 0x40600000, |v52|
	s_cbranch_execz .LBB30_220
; %bb.211:
	v_mov_b32_e32 v51, 5
	;; [unrolled: 5-line block ×5, first 2 shown]
	s_mov_b32 s9, exec_lo
	v_cmpx_nle_f32_e64 0x3f400000, |v52|
; %bb.215:
	v_cmp_le_f32_e64 s10, 0x3e800000, |v52|
	s_delay_alu instid0(VALU_DEP_1)
	v_cndmask_b32_e64 v51, 0, 1, s10
; %bb.216:
	s_or_b32 exec_lo, exec_lo, s9
.LBB30_217:
	s_delay_alu instid0(SALU_CYCLE_1)
	s_or_b32 exec_lo, exec_lo, s8
.LBB30_218:
	s_delay_alu instid0(SALU_CYCLE_1)
	s_or_b32 exec_lo, exec_lo, s7
.LBB30_219:
	s_delay_alu instid0(SALU_CYCLE_1)
	s_or_b32 exec_lo, exec_lo, s6
.LBB30_220:
	s_delay_alu instid0(SALU_CYCLE_1)
	s_or_b32 exec_lo, exec_lo, s3
.LBB30_221:
	s_delay_alu instid0(SALU_CYCLE_1) | instskip(SKIP_3) | instid1(VALU_DEP_2)
	s_or_b32 exec_lo, exec_lo, s2
	v_dual_mul_f32 v56, v10, v48 :: v_dual_mov_b32 v55, 7
	v_mov_b32_e32 v48, 7
	s_mov_b32 s2, exec_lo
	v_cmpx_nle_f32_e64 0x40a00000, |v56|
	s_cbranch_execz .LBB30_233
; %bb.222:
	v_mov_b32_e32 v55, 6
	s_mov_b32 s3, exec_lo
	v_cmpx_nle_f32_e64 0x40600000, |v56|
	s_cbranch_execz .LBB30_232
; %bb.223:
	;; [unrolled: 5-line block ×5, first 2 shown]
	v_mov_b32_e32 v55, 2
	s_mov_b32 s9, exec_lo
	v_cmpx_nle_f32_e64 0x3f400000, |v56|
; %bb.227:
	v_cmp_le_f32_e64 s10, 0x3e800000, |v56|
	s_delay_alu instid0(VALU_DEP_1)
	v_cndmask_b32_e64 v55, 0, 1, s10
; %bb.228:
	s_or_b32 exec_lo, exec_lo, s9
.LBB30_229:
	s_delay_alu instid0(SALU_CYCLE_1)
	s_or_b32 exec_lo, exec_lo, s8
.LBB30_230:
	s_delay_alu instid0(SALU_CYCLE_1)
	s_or_b32 exec_lo, exec_lo, s7
.LBB30_231:
	s_delay_alu instid0(SALU_CYCLE_1)
	s_or_b32 exec_lo, exec_lo, s6
.LBB30_232:
	s_delay_alu instid0(SALU_CYCLE_1)
	s_or_b32 exec_lo, exec_lo, s3
.LBB30_233:
	s_delay_alu instid0(SALU_CYCLE_1) | instskip(SKIP_2) | instid1(VALU_DEP_1)
	s_or_b32 exec_lo, exec_lo, s2
	v_mul_f32_e32 v46, v10, v46
	s_mov_b32 s2, exec_lo
	v_cmpx_nle_f32_e64 0x40a00000, |v46|
	s_cbranch_execz .LBB30_245
; %bb.234:
	v_mov_b32_e32 v48, 6
	s_mov_b32 s3, exec_lo
	v_cmpx_nle_f32_e64 0x40600000, |v46|
	s_cbranch_execz .LBB30_244
; %bb.235:
	v_mov_b32_e32 v48, 5
	;; [unrolled: 5-line block ×5, first 2 shown]
	s_mov_b32 s9, exec_lo
	v_cmpx_nle_f32_e64 0x3f400000, |v46|
; %bb.239:
	v_cmp_le_f32_e64 s10, 0x3e800000, |v46|
	s_delay_alu instid0(VALU_DEP_1)
	v_cndmask_b32_e64 v48, 0, 1, s10
; %bb.240:
	s_or_b32 exec_lo, exec_lo, s9
.LBB30_241:
	s_delay_alu instid0(SALU_CYCLE_1)
	s_or_b32 exec_lo, exec_lo, s8
.LBB30_242:
	s_delay_alu instid0(SALU_CYCLE_1)
	s_or_b32 exec_lo, exec_lo, s7
.LBB30_243:
	s_delay_alu instid0(SALU_CYCLE_1)
	s_or_b32 exec_lo, exec_lo, s6
.LBB30_244:
	s_delay_alu instid0(SALU_CYCLE_1)
	s_or_b32 exec_lo, exec_lo, s3
.LBB30_245:
	s_delay_alu instid0(SALU_CYCLE_1) | instskip(SKIP_3) | instid1(VALU_DEP_2)
	s_or_b32 exec_lo, exec_lo, s2
	v_dual_mul_f32 v58, v10, v42 :: v_dual_mov_b32 v57, 7
	v_mov_b32_e32 v42, 7
	s_mov_b32 s2, exec_lo
	v_cmpx_nle_f32_e64 0x40a00000, |v58|
	s_cbranch_execz .LBB30_257
; %bb.246:
	v_mov_b32_e32 v57, 6
	s_mov_b32 s3, exec_lo
	v_cmpx_nle_f32_e64 0x40600000, |v58|
	s_cbranch_execz .LBB30_256
; %bb.247:
	;; [unrolled: 5-line block ×5, first 2 shown]
	v_mov_b32_e32 v57, 2
	s_mov_b32 s9, exec_lo
	v_cmpx_nle_f32_e64 0x3f400000, |v58|
; %bb.251:
	v_cmp_le_f32_e64 s10, 0x3e800000, |v58|
	s_delay_alu instid0(VALU_DEP_1)
	v_cndmask_b32_e64 v57, 0, 1, s10
; %bb.252:
	s_or_b32 exec_lo, exec_lo, s9
.LBB30_253:
	s_delay_alu instid0(SALU_CYCLE_1)
	s_or_b32 exec_lo, exec_lo, s8
.LBB30_254:
	s_delay_alu instid0(SALU_CYCLE_1)
	s_or_b32 exec_lo, exec_lo, s7
.LBB30_255:
	s_delay_alu instid0(SALU_CYCLE_1)
	s_or_b32 exec_lo, exec_lo, s6
.LBB30_256:
	s_delay_alu instid0(SALU_CYCLE_1)
	s_or_b32 exec_lo, exec_lo, s3
.LBB30_257:
	s_delay_alu instid0(SALU_CYCLE_1) | instskip(SKIP_2) | instid1(VALU_DEP_1)
	s_or_b32 exec_lo, exec_lo, s2
	v_mul_f32_e32 v40, v10, v40
	s_mov_b32 s2, exec_lo
	v_cmpx_nle_f32_e64 0x40a00000, |v40|
	s_cbranch_execz .LBB30_269
; %bb.258:
	v_mov_b32_e32 v42, 6
	s_mov_b32 s3, exec_lo
	v_cmpx_nle_f32_e64 0x40600000, |v40|
	s_cbranch_execz .LBB30_268
; %bb.259:
	v_mov_b32_e32 v42, 5
	;; [unrolled: 5-line block ×5, first 2 shown]
	s_mov_b32 s9, exec_lo
	v_cmpx_nle_f32_e64 0x3f400000, |v40|
; %bb.263:
	v_cmp_le_f32_e64 s10, 0x3e800000, |v40|
	s_delay_alu instid0(VALU_DEP_1)
	v_cndmask_b32_e64 v42, 0, 1, s10
; %bb.264:
	s_or_b32 exec_lo, exec_lo, s9
.LBB30_265:
	s_delay_alu instid0(SALU_CYCLE_1)
	s_or_b32 exec_lo, exec_lo, s8
.LBB30_266:
	s_delay_alu instid0(SALU_CYCLE_1)
	s_or_b32 exec_lo, exec_lo, s7
.LBB30_267:
	s_delay_alu instid0(SALU_CYCLE_1)
	s_or_b32 exec_lo, exec_lo, s6
.LBB30_268:
	s_delay_alu instid0(SALU_CYCLE_1)
	s_or_b32 exec_lo, exec_lo, s3
.LBB30_269:
	s_delay_alu instid0(SALU_CYCLE_1) | instskip(SKIP_3) | instid1(VALU_DEP_2)
	s_or_b32 exec_lo, exec_lo, s2
	v_dual_mul_f32 v59, v10, v38 :: v_dual_mov_b32 v38, 7
	v_mov_b32_e32 v60, 7
	s_mov_b32 s2, exec_lo
	v_cmpx_nle_f32_e64 0x40a00000, |v59|
	s_cbranch_execz .LBB30_281
; %bb.270:
	v_mov_b32_e32 v60, 6
	s_mov_b32 s3, exec_lo
	v_cmpx_nle_f32_e64 0x40600000, |v59|
	s_cbranch_execz .LBB30_280
; %bb.271:
	;; [unrolled: 5-line block ×5, first 2 shown]
	v_mov_b32_e32 v60, 2
	s_mov_b32 s9, exec_lo
	v_cmpx_nle_f32_e64 0x3f400000, |v59|
; %bb.275:
	v_cmp_le_f32_e64 s10, 0x3e800000, |v59|
	s_delay_alu instid0(VALU_DEP_1)
	v_cndmask_b32_e64 v60, 0, 1, s10
; %bb.276:
	s_or_b32 exec_lo, exec_lo, s9
.LBB30_277:
	s_delay_alu instid0(SALU_CYCLE_1)
	s_or_b32 exec_lo, exec_lo, s8
.LBB30_278:
	s_delay_alu instid0(SALU_CYCLE_1)
	s_or_b32 exec_lo, exec_lo, s7
.LBB30_279:
	s_delay_alu instid0(SALU_CYCLE_1)
	s_or_b32 exec_lo, exec_lo, s6
.LBB30_280:
	s_delay_alu instid0(SALU_CYCLE_1)
	s_or_b32 exec_lo, exec_lo, s3
.LBB30_281:
	s_delay_alu instid0(SALU_CYCLE_1) | instskip(SKIP_2) | instid1(VALU_DEP_1)
	s_or_b32 exec_lo, exec_lo, s2
	v_mul_f32_e32 v33, v10, v33
	s_mov_b32 s2, exec_lo
	v_cmpx_nle_f32_e64 0x40a00000, |v33|
	s_cbranch_execz .LBB30_293
; %bb.282:
	v_mov_b32_e32 v38, 6
	s_mov_b32 s3, exec_lo
	v_cmpx_nle_f32_e64 0x40600000, |v33|
	s_cbranch_execz .LBB30_292
; %bb.283:
	v_mov_b32_e32 v38, 5
	;; [unrolled: 5-line block ×5, first 2 shown]
	s_mov_b32 s9, exec_lo
	v_cmpx_nle_f32_e64 0x3f400000, |v33|
; %bb.287:
	v_cmp_le_f32_e64 s10, 0x3e800000, |v33|
	s_delay_alu instid0(VALU_DEP_1)
	v_cndmask_b32_e64 v38, 0, 1, s10
; %bb.288:
	s_or_b32 exec_lo, exec_lo, s9
.LBB30_289:
	s_delay_alu instid0(SALU_CYCLE_1)
	s_or_b32 exec_lo, exec_lo, s8
.LBB30_290:
	s_delay_alu instid0(SALU_CYCLE_1)
	s_or_b32 exec_lo, exec_lo, s7
.LBB30_291:
	s_delay_alu instid0(SALU_CYCLE_1)
	s_or_b32 exec_lo, exec_lo, s6
.LBB30_292:
	s_delay_alu instid0(SALU_CYCLE_1)
	s_or_b32 exec_lo, exec_lo, s3
.LBB30_293:
	s_delay_alu instid0(SALU_CYCLE_1) | instskip(SKIP_3) | instid1(VALU_DEP_2)
	s_or_b32 exec_lo, exec_lo, s2
	v_dual_mul_f32 v62, v10, v32 :: v_dual_mov_b32 v61, 7
	v_mov_b32_e32 v32, 7
	s_mov_b32 s2, exec_lo
	v_cmpx_nle_f32_e64 0x40a00000, |v62|
	s_cbranch_execz .LBB30_305
; %bb.294:
	v_mov_b32_e32 v61, 6
	s_mov_b32 s3, exec_lo
	v_cmpx_nle_f32_e64 0x40600000, |v62|
	s_cbranch_execz .LBB30_304
; %bb.295:
	;; [unrolled: 5-line block ×5, first 2 shown]
	v_mov_b32_e32 v61, 2
	s_mov_b32 s9, exec_lo
	v_cmpx_nle_f32_e64 0x3f400000, |v62|
; %bb.299:
	v_cmp_le_f32_e64 s10, 0x3e800000, |v62|
	s_delay_alu instid0(VALU_DEP_1)
	v_cndmask_b32_e64 v61, 0, 1, s10
; %bb.300:
	s_or_b32 exec_lo, exec_lo, s9
.LBB30_301:
	s_delay_alu instid0(SALU_CYCLE_1)
	s_or_b32 exec_lo, exec_lo, s8
.LBB30_302:
	s_delay_alu instid0(SALU_CYCLE_1)
	s_or_b32 exec_lo, exec_lo, s7
.LBB30_303:
	s_delay_alu instid0(SALU_CYCLE_1)
	s_or_b32 exec_lo, exec_lo, s6
.LBB30_304:
	s_delay_alu instid0(SALU_CYCLE_1)
	s_or_b32 exec_lo, exec_lo, s3
.LBB30_305:
	s_delay_alu instid0(SALU_CYCLE_1) | instskip(SKIP_2) | instid1(VALU_DEP_1)
	s_or_b32 exec_lo, exec_lo, s2
	v_mul_f32_e32 v27, v10, v27
	s_mov_b32 s2, exec_lo
	v_cmpx_nle_f32_e64 0x40a00000, |v27|
	s_cbranch_execz .LBB30_317
; %bb.306:
	v_mov_b32_e32 v32, 6
	s_mov_b32 s3, exec_lo
	v_cmpx_nle_f32_e64 0x40600000, |v27|
	s_cbranch_execz .LBB30_316
; %bb.307:
	v_mov_b32_e32 v32, 5
	;; [unrolled: 5-line block ×5, first 2 shown]
	s_mov_b32 s9, exec_lo
	v_cmpx_nle_f32_e64 0x3f400000, |v27|
; %bb.311:
	v_cmp_le_f32_e64 s10, 0x3e800000, |v27|
	s_delay_alu instid0(VALU_DEP_1)
	v_cndmask_b32_e64 v32, 0, 1, s10
; %bb.312:
	s_or_b32 exec_lo, exec_lo, s9
.LBB30_313:
	s_delay_alu instid0(SALU_CYCLE_1)
	s_or_b32 exec_lo, exec_lo, s8
.LBB30_314:
	s_delay_alu instid0(SALU_CYCLE_1)
	s_or_b32 exec_lo, exec_lo, s7
.LBB30_315:
	s_delay_alu instid0(SALU_CYCLE_1)
	s_or_b32 exec_lo, exec_lo, s6
.LBB30_316:
	s_delay_alu instid0(SALU_CYCLE_1)
	s_or_b32 exec_lo, exec_lo, s3
.LBB30_317:
	s_delay_alu instid0(SALU_CYCLE_1) | instskip(SKIP_3) | instid1(VALU_DEP_2)
	s_or_b32 exec_lo, exec_lo, s2
	v_dual_mul_f32 v64, v10, v26 :: v_dual_mov_b32 v63, 7
	v_mov_b32_e32 v26, 7
	s_mov_b32 s2, exec_lo
	v_cmpx_nle_f32_e64 0x40a00000, |v64|
	s_cbranch_execz .LBB30_329
; %bb.318:
	v_mov_b32_e32 v63, 6
	s_mov_b32 s3, exec_lo
	v_cmpx_nle_f32_e64 0x40600000, |v64|
	s_cbranch_execz .LBB30_328
; %bb.319:
	;; [unrolled: 5-line block ×5, first 2 shown]
	v_mov_b32_e32 v63, 2
	s_mov_b32 s9, exec_lo
	v_cmpx_nle_f32_e64 0x3f400000, |v64|
; %bb.323:
	v_cmp_le_f32_e64 s10, 0x3e800000, |v64|
	s_delay_alu instid0(VALU_DEP_1)
	v_cndmask_b32_e64 v63, 0, 1, s10
; %bb.324:
	s_or_b32 exec_lo, exec_lo, s9
.LBB30_325:
	s_delay_alu instid0(SALU_CYCLE_1)
	s_or_b32 exec_lo, exec_lo, s8
.LBB30_326:
	s_delay_alu instid0(SALU_CYCLE_1)
	s_or_b32 exec_lo, exec_lo, s7
.LBB30_327:
	s_delay_alu instid0(SALU_CYCLE_1)
	s_or_b32 exec_lo, exec_lo, s6
.LBB30_328:
	s_delay_alu instid0(SALU_CYCLE_1)
	s_or_b32 exec_lo, exec_lo, s3
.LBB30_329:
	s_delay_alu instid0(SALU_CYCLE_1) | instskip(SKIP_2) | instid1(VALU_DEP_1)
	s_or_b32 exec_lo, exec_lo, s2
	v_mul_f32_e32 v21, v10, v21
	s_mov_b32 s2, exec_lo
	v_cmpx_nle_f32_e64 0x40a00000, |v21|
	s_cbranch_execz .LBB30_341
; %bb.330:
	v_mov_b32_e32 v26, 6
	s_mov_b32 s3, exec_lo
	v_cmpx_nle_f32_e64 0x40600000, |v21|
	s_cbranch_execz .LBB30_340
; %bb.331:
	v_mov_b32_e32 v26, 5
	;; [unrolled: 5-line block ×5, first 2 shown]
	s_mov_b32 s9, exec_lo
	v_cmpx_nle_f32_e64 0x3f400000, |v21|
; %bb.335:
	v_cmp_le_f32_e64 s10, 0x3e800000, |v21|
	s_delay_alu instid0(VALU_DEP_1)
	v_cndmask_b32_e64 v26, 0, 1, s10
; %bb.336:
	s_or_b32 exec_lo, exec_lo, s9
.LBB30_337:
	s_delay_alu instid0(SALU_CYCLE_1)
	s_or_b32 exec_lo, exec_lo, s8
.LBB30_338:
	s_delay_alu instid0(SALU_CYCLE_1)
	s_or_b32 exec_lo, exec_lo, s7
.LBB30_339:
	s_delay_alu instid0(SALU_CYCLE_1)
	s_or_b32 exec_lo, exec_lo, s6
.LBB30_340:
	s_delay_alu instid0(SALU_CYCLE_1)
	s_or_b32 exec_lo, exec_lo, s3
.LBB30_341:
	s_delay_alu instid0(SALU_CYCLE_1) | instskip(SKIP_3) | instid1(VALU_DEP_2)
	s_or_b32 exec_lo, exec_lo, s2
	v_dual_mul_f32 v65, v10, v19 :: v_dual_mov_b32 v66, 7
	v_mov_b32_e32 v19, 7
	s_mov_b32 s2, exec_lo
	v_cmpx_nle_f32_e64 0x40a00000, |v65|
	s_cbranch_execz .LBB30_353
; %bb.342:
	v_mov_b32_e32 v66, 6
	s_mov_b32 s3, exec_lo
	v_cmpx_nle_f32_e64 0x40600000, |v65|
	s_cbranch_execz .LBB30_352
; %bb.343:
	v_mov_b32_e32 v66, 5
	s_mov_b32 s6, exec_lo
	v_cmpx_nle_f32_e64 0x40200000, |v65|
	s_cbranch_execz .LBB30_351
; %bb.344:
	v_mov_b32_e32 v66, 4
	s_mov_b32 s7, exec_lo
	v_cmpx_nle_f32_e64 0x3fe00000, |v65|
	s_cbranch_execz .LBB30_350
; %bb.345:
	v_mov_b32_e32 v66, 3
	s_mov_b32 s8, exec_lo
	v_cmpx_nle_f32_e64 0x3fa00000, |v65|
	s_cbranch_execz .LBB30_349
; %bb.346:
	v_mov_b32_e32 v66, 2
	s_mov_b32 s9, exec_lo
	v_cmpx_nle_f32_e64 0x3f400000, |v65|
; %bb.347:
	v_cmp_le_f32_e64 s10, 0x3e800000, |v65|
	s_delay_alu instid0(VALU_DEP_1)
	v_cndmask_b32_e64 v66, 0, 1, s10
; %bb.348:
	s_or_b32 exec_lo, exec_lo, s9
.LBB30_349:
	s_delay_alu instid0(SALU_CYCLE_1)
	s_or_b32 exec_lo, exec_lo, s8
.LBB30_350:
	s_delay_alu instid0(SALU_CYCLE_1)
	s_or_b32 exec_lo, exec_lo, s7
.LBB30_351:
	s_delay_alu instid0(SALU_CYCLE_1)
	s_or_b32 exec_lo, exec_lo, s6
.LBB30_352:
	s_delay_alu instid0(SALU_CYCLE_1)
	s_or_b32 exec_lo, exec_lo, s3
.LBB30_353:
	s_delay_alu instid0(SALU_CYCLE_1) | instskip(SKIP_2) | instid1(VALU_DEP_1)
	s_or_b32 exec_lo, exec_lo, s2
	v_mul_f32_e32 v15, v10, v15
	s_mov_b32 s2, exec_lo
	v_cmpx_nle_f32_e64 0x40a00000, |v15|
	s_cbranch_execz .LBB30_365
; %bb.354:
	v_mov_b32_e32 v19, 6
	s_mov_b32 s3, exec_lo
	v_cmpx_nle_f32_e64 0x40600000, |v15|
	s_cbranch_execz .LBB30_364
; %bb.355:
	v_mov_b32_e32 v19, 5
	;; [unrolled: 5-line block ×5, first 2 shown]
	s_mov_b32 s9, exec_lo
	v_cmpx_nle_f32_e64 0x3f400000, |v15|
; %bb.359:
	v_cmp_le_f32_e64 s10, 0x3e800000, |v15|
	s_delay_alu instid0(VALU_DEP_1)
	v_cndmask_b32_e64 v19, 0, 1, s10
; %bb.360:
	s_or_b32 exec_lo, exec_lo, s9
.LBB30_361:
	s_delay_alu instid0(SALU_CYCLE_1)
	s_or_b32 exec_lo, exec_lo, s8
.LBB30_362:
	s_delay_alu instid0(SALU_CYCLE_1)
	s_or_b32 exec_lo, exec_lo, s7
.LBB30_363:
	s_delay_alu instid0(SALU_CYCLE_1)
	s_or_b32 exec_lo, exec_lo, s6
.LBB30_364:
	s_delay_alu instid0(SALU_CYCLE_1)
	s_or_b32 exec_lo, exec_lo, s3
.LBB30_365:
	s_delay_alu instid0(SALU_CYCLE_1) | instskip(SKIP_4) | instid1(VALU_DEP_2)
	s_or_b32 exec_lo, exec_lo, s2
	s_load_b64 s[2:3], s[0:1], 0x10
	v_dual_mul_f32 v68, v10, v13 :: v_dual_mov_b32 v13, 7
	v_mov_b32_e32 v67, 7
	s_mov_b32 s6, exec_lo
	v_cmpx_nle_f32_e64 0x40a00000, |v68|
	s_cbranch_execz .LBB30_377
; %bb.366:
	v_mov_b32_e32 v67, 6
	s_mov_b32 s7, exec_lo
	v_cmpx_nle_f32_e64 0x40600000, |v68|
	s_cbranch_execz .LBB30_376
; %bb.367:
	;; [unrolled: 5-line block ×5, first 2 shown]
	v_mov_b32_e32 v67, 2
	s_mov_b32 s11, exec_lo
	v_cmpx_nle_f32_e64 0x3f400000, |v68|
; %bb.371:
	v_cmp_le_f32_e64 s12, 0x3e800000, |v68|
	s_delay_alu instid0(VALU_DEP_1)
	v_cndmask_b32_e64 v67, 0, 1, s12
; %bb.372:
	s_or_b32 exec_lo, exec_lo, s11
.LBB30_373:
	s_delay_alu instid0(SALU_CYCLE_1)
	s_or_b32 exec_lo, exec_lo, s10
.LBB30_374:
	s_delay_alu instid0(SALU_CYCLE_1)
	s_or_b32 exec_lo, exec_lo, s9
.LBB30_375:
	s_delay_alu instid0(SALU_CYCLE_1)
	s_or_b32 exec_lo, exec_lo, s8
.LBB30_376:
	s_delay_alu instid0(SALU_CYCLE_1)
	s_or_b32 exec_lo, exec_lo, s7
.LBB30_377:
	s_delay_alu instid0(SALU_CYCLE_1) | instskip(SKIP_3) | instid1(VALU_DEP_1)
	s_or_b32 exec_lo, exec_lo, s6
	s_load_b64 s[0:1], s[0:1], 0x8
	v_mul_f32_e32 v8, v10, v8
	s_mov_b32 s6, exec_lo
	v_cmpx_nle_f32_e64 0x40a00000, |v8|
	s_cbranch_execz .LBB30_389
; %bb.378:
	v_mov_b32_e32 v13, 6
	s_mov_b32 s7, exec_lo
	v_cmpx_nle_f32_e64 0x40600000, |v8|
	s_cbranch_execz .LBB30_388
; %bb.379:
	v_mov_b32_e32 v13, 5
	;; [unrolled: 5-line block ×5, first 2 shown]
	s_mov_b32 s11, exec_lo
	v_cmpx_nle_f32_e64 0x3f400000, |v8|
; %bb.383:
	v_cmp_le_f32_e64 s12, 0x3e800000, |v8|
	s_delay_alu instid0(VALU_DEP_1)
	v_cndmask_b32_e64 v13, 0, 1, s12
; %bb.384:
	s_or_b32 exec_lo, exec_lo, s11
.LBB30_385:
	s_delay_alu instid0(SALU_CYCLE_1)
	s_or_b32 exec_lo, exec_lo, s10
.LBB30_386:
	s_delay_alu instid0(SALU_CYCLE_1)
	s_or_b32 exec_lo, exec_lo, s9
.LBB30_387:
	s_delay_alu instid0(SALU_CYCLE_1)
	s_or_b32 exec_lo, exec_lo, s8
.LBB30_388:
	s_delay_alu instid0(SALU_CYCLE_1)
	s_or_b32 exec_lo, exec_lo, s7
.LBB30_389:
	s_delay_alu instid0(SALU_CYCLE_1)
	s_or_b32 exec_lo, exec_lo, s6
	v_cmp_gt_f32_e32 vcc_lo, 0, v68
	v_lshlrev_b16 v6, 4, v6
	v_lshlrev_b16 v9, 4, v9
	v_lshlrev_b16 v13, 4, v13
	v_lshlrev_b16 v19, 4, v19
	v_cndmask_b32_e64 v10, 0, 1, vcc_lo
	v_cmp_gt_f32_e32 vcc_lo, 0, v65
	s_lshr_b32 s6, s4, 31
	s_delay_alu instid0(SALU_CYCLE_1) | instskip(NEXT) | instid1(VALU_DEP_2)
	s_add_i32 s4, s4, s6
	v_lshlrev_b16 v10, 3, v10
	v_cndmask_b32_e64 v65, 0, 1, vcc_lo
	v_cmp_gt_f32_e32 vcc_lo, 0, v64
	s_ashr_i32 s4, s4, 1
	s_delay_alu instid0(SALU_CYCLE_1) | instskip(NEXT) | instid1(VALU_DEP_2)
	s_ashr_i32 s6, s4, 31
	v_lshlrev_b16 v65, 3, v65
	v_cndmask_b32_e64 v64, 0, 1, vcc_lo
	v_cmp_gt_f32_e32 vcc_lo, 0, v62
	v_or_b32_e32 v10, v10, v67
	v_mul_lo_u32 v1, v1, s4
	v_or_b32_e32 v65, v65, v66
	v_lshlrev_b16 v64, 3, v64
	v_cndmask_b32_e64 v62, 0, 1, vcc_lo
	v_cmp_gt_f32_e32 vcc_lo, 0, v59
	s_delay_alu instid0(VALU_DEP_3) | instskip(NEXT) | instid1(VALU_DEP_3)
	v_or_b32_e32 v63, v64, v63
	v_lshlrev_b16 v62, 3, v62
	v_cndmask_b32_e64 v59, 0, 1, vcc_lo
	v_cmp_gt_f32_e32 vcc_lo, 0, v58
	s_delay_alu instid0(VALU_DEP_3) | instskip(NEXT) | instid1(VALU_DEP_3)
	;; [unrolled: 5-line block ×11, first 2 shown]
	v_or_b32_e32 v11, v11, v12
	v_lshlrev_b16 v24, 3, v24
	v_cndmask_b32_e64 v18, 0, 1, vcc_lo
	v_cmp_gt_f32_e32 vcc_lo, 0, v5
	s_delay_alu instid0(VALU_DEP_2) | instskip(SKIP_2) | instid1(VALU_DEP_2)
	v_lshlrev_b16 v18, 3, v18
	v_cndmask_b32_e64 v5, 0, 1, vcc_lo
	v_cmp_gt_f32_e32 vcc_lo, 0, v7
	v_lshlrev_b16 v5, 3, v5
	v_cndmask_b32_e64 v7, 0, 1, vcc_lo
	v_cmp_gt_f32_e32 vcc_lo, 0, v14
	s_delay_alu instid0(VALU_DEP_3) | instskip(NEXT) | instid1(VALU_DEP_3)
	v_or_b32_e32 v4, v5, v4
	v_lshlrev_b16 v7, 7, v7
	v_cndmask_b32_e64 v12, 0, 1, vcc_lo
	v_cmp_gt_f32_e32 vcc_lo, 0, v20
	s_delay_alu instid0(VALU_DEP_3) | instskip(NEXT) | instid1(VALU_DEP_3)
	v_or_b32_e32 v5, v7, v6
	v_lshlrev_b16 v12, 7, v12
	v_cndmask_b32_e64 v14, 0, 1, vcc_lo
	v_lshlrev_b16 v7, 4, v17
	v_cmp_gt_f32_e32 vcc_lo, 0, v25
	v_or_b32_e32 v4, v5, v4
	v_or_b32_e32 v6, v12, v9
	v_lshlrev_b16 v9, 7, v14
	v_or_b32_e32 v14, v18, v16
	v_lshlrev_b16 v17, 4, v28
	v_lshlrev_b16 v18, 4, v34
	v_or_b32_e32 v5, v6, v11
	v_or_b32_e32 v6, v9, v7
	v_cndmask_b32_e64 v9, 0, 1, vcc_lo
	v_cmp_gt_f32_e32 vcc_lo, 0, v31
	v_lshlrev_b16 v7, 4, v22
	v_or_b32_e32 v12, v24, v23
	v_or_b32_e32 v6, v6, v14
	v_lshlrev_b16 v9, 7, v9
	v_cndmask_b32_e64 v11, 0, 1, vcc_lo
	v_cmp_gt_f32_e32 vcc_lo, 0, v37
	v_lshlrev_b16 v14, 4, v45
	v_lshlrev_b16 v22, 4, v48
	v_or_b32_e32 v7, v9, v7
	v_lshlrev_b16 v11, 7, v11
	v_cndmask_b32_e64 v16, 0, 1, vcc_lo
	v_cmp_gt_f32_e32 vcc_lo, 0, v41
	v_lshlrev_b16 v25, 4, v26
	v_or_b32_e32 v7, v7, v12
	v_or_b32_e32 v9, v11, v17
	v_lshlrev_b16 v16, 7, v16
	v_cndmask_b32_e64 v20, 0, 1, vcc_lo
	v_cmp_gt_f32_e32 vcc_lo, 0, v47
	v_lshlrev_b16 v5, 8, v5
	v_or_b32_e32 v9, v9, v29
	v_or_b32_e32 v11, v16, v18
	v_lshlrev_b16 v16, 4, v39
	v_lshlrev_b16 v17, 7, v20
	;; [unrolled: 1-line block ×3, first 2 shown]
	v_or_b32_e32 v4, v4, v5
	v_or_b32_e32 v11, v11, v35
	v_lshlrev_b16 v5, 8, v7
	v_or_b32_e32 v12, v17, v16
	v_cndmask_b32_e64 v16, 0, 1, vcc_lo
	v_cmp_gt_f32_e32 vcc_lo, 0, v52
	v_lshlrev_b16 v11, 8, v11
	s_delay_alu instid0(VALU_DEP_4) | instskip(NEXT) | instid1(VALU_DEP_4)
	v_or_b32_e32 v12, v12, v43
	v_lshlrev_b16 v16, 7, v16
	v_cndmask_b32_e64 v17, 0, 1, vcc_lo
	v_cmp_gt_f32_e32 vcc_lo, 0, v46
	v_or_b32_e32 v9, v9, v11
	s_delay_alu instid0(VALU_DEP_4) | instskip(NEXT) | instid1(VALU_DEP_4)
	v_or_b32_e32 v14, v16, v14
	v_lshlrev_b16 v17, 7, v17
	v_cndmask_b32_e64 v18, 0, 1, vcc_lo
	v_cmp_gt_f32_e32 vcc_lo, 0, v40
	s_delay_alu instid0(VALU_DEP_4) | instskip(NEXT) | instid1(VALU_DEP_4)
	v_or_b32_e32 v14, v14, v49
	v_or_b32_e32 v16, v17, v20
	s_delay_alu instid0(VALU_DEP_4)
	v_lshlrev_b16 v18, 7, v18
	v_cndmask_b32_e64 v23, 0, 1, vcc_lo
	v_cmp_gt_f32_e32 vcc_lo, 0, v33
	v_lshlrev_b16 v11, 8, v14
	v_or_b32_e32 v16, v16, v53
	v_or_b32_e32 v17, v18, v22
	v_lshlrev_b16 v18, 4, v42
	v_cndmask_b32_e64 v22, 0, 1, vcc_lo
	v_cmp_gt_f32_e32 vcc_lo, 0, v21
	v_lshlrev_b16 v20, 7, v23
	v_lshlrev_b16 v23, 4, v32
	v_or_b32_e32 v17, v17, v55
	v_and_b32_e32 v14, 0xffff, v9
	v_cndmask_b32_e64 v21, 0, 1, vcc_lo
	v_cmp_gt_f32_e32 vcc_lo, 0, v27
	v_or_b32_e32 v18, v20, v18
	v_lshlrev_b16 v20, 4, v38
	s_delay_alu instid0(VALU_DEP_4) | instskip(SKIP_3) | instid1(VALU_DEP_4)
	v_lshlrev_b16 v21, 7, v21
	v_cndmask_b32_e64 v24, 0, 1, vcc_lo
	v_cmp_gt_f32_e32 vcc_lo, 0, v8
	v_or_b32_e32 v18, v18, v57
	v_or_b32_e32 v21, v21, v25
	s_delay_alu instid0(VALU_DEP_4) | instskip(SKIP_2) | instid1(VALU_DEP_2)
	v_lshlrev_b16 v24, 7, v24
	v_cndmask_b32_e64 v8, 0, 1, vcc_lo
	v_cmp_gt_f32_e32 vcc_lo, 0, v15
	v_lshlrev_b16 v8, 7, v8
	v_cndmask_b32_e64 v15, 0, 1, vcc_lo
	s_delay_alu instid0(VALU_DEP_2) | instskip(NEXT) | instid1(VALU_DEP_2)
	v_or_b32_e32 v8, v8, v13
	v_lshlrev_b16 v15, 7, v15
	v_lshlrev_b16 v13, 7, v22
	v_or_b32_e32 v22, v24, v23
	s_delay_alu instid0(VALU_DEP_4) | instskip(NEXT) | instid1(VALU_DEP_4)
	v_or_b32_e32 v8, v8, v10
	v_or_b32_e32 v15, v15, v19
	;; [unrolled: 1-line block ×5, first 2 shown]
	v_lshlrev_b16 v8, 8, v8
	v_or_b32_e32 v15, v15, v65
	v_lshlrev_b16 v19, 8, v19
	v_lshrrev_b32_e32 v20, 23, v3
	v_or_b32_e32 v10, v10, v59
	s_delay_alu instid0(VALU_DEP_4) | instskip(NEXT) | instid1(VALU_DEP_4)
	v_or_b32_e32 v8, v15, v8
	v_or_b32_e32 v3, v13, v19
	v_lshlrev_b16 v13, 8, v17
	s_delay_alu instid0(VALU_DEP_4) | instskip(NEXT) | instid1(VALU_DEP_4)
	v_lshlrev_b16 v10, 8, v10
	v_lshlrev_b32_e32 v15, 16, v8
	s_delay_alu instid0(VALU_DEP_4) | instskip(NEXT) | instid1(VALU_DEP_4)
	v_and_b32_e32 v3, 0xffff, v3
	v_or_b32_e32 v8, v16, v13
	v_mul_lo_u32 v16, v0, s6
	v_or_b32_e32 v10, v18, v10
	s_delay_alu instid0(VALU_DEP_3)
	v_and_b32_e32 v13, 0xffff, v8
	v_or_b32_e32 v8, v12, v11
	v_and_b32_e32 v12, 0xffff, v4
	v_or_b32_e32 v4, v6, v5
	s_waitcnt lgkmcnt(0)
	v_mad_u64_u32 v[6:7], null, v0, s4, s[0:1]
	v_lshlrev_b32_e32 v11, 16, v8
	v_mad_u64_u32 v[8:9], null, v0, s5, v[2:3]
	v_lshlrev_b32_e32 v0, 16, v4
	v_lshlrev_b32_e32 v9, 4, v2
	;; [unrolled: 1-line block ×3, first 2 shown]
	v_add3_u32 v1, v1, v7, v16
	v_or_b32_e32 v5, v3, v15
	v_or_b32_e32 v2, v12, v0
	v_ashrrev_i32_e32 v7, 31, v8
	v_add_co_u32 v0, vcc_lo, v6, v9
	v_add_co_ci_u32_e32 v1, vcc_lo, 0, v1, vcc_lo
	v_add_co_u32 v6, vcc_lo, s2, v8
	v_or_b32_e32 v4, v13, v10
	v_or_b32_e32 v3, v14, v11
	v_add_co_ci_u32_e32 v7, vcc_lo, s3, v7, vcc_lo
	global_store_b128 v[0:1], v[2:5], off
	global_store_b8 v[6:7], v20, off
.LBB30_390:
	s_nop 0
	s_sendmsg sendmsg(MSG_DEALLOC_VGPRS)
	s_endpgm
	.section	.rodata,"a",@progbits
	.p2align	6, 0x0
	.amdhsa_kernel _ZN5aiter18quant_mxfp4_kernelI12hip_bfloat16LNS_16MxScaleRoundModeE1ELb0ELb0ELb0EEEvPKT_PhPfliiib
		.amdhsa_group_segment_fixed_size 0
		.amdhsa_private_segment_fixed_size 0
		.amdhsa_kernarg_size 304
		.amdhsa_user_sgpr_count 15
		.amdhsa_user_sgpr_dispatch_ptr 0
		.amdhsa_user_sgpr_queue_ptr 0
		.amdhsa_user_sgpr_kernarg_segment_ptr 1
		.amdhsa_user_sgpr_dispatch_id 0
		.amdhsa_user_sgpr_private_segment_size 0
		.amdhsa_wavefront_size32 1
		.amdhsa_uses_dynamic_stack 0
		.amdhsa_enable_private_segment 0
		.amdhsa_system_sgpr_workgroup_id_x 1
		.amdhsa_system_sgpr_workgroup_id_y 0
		.amdhsa_system_sgpr_workgroup_id_z 0
		.amdhsa_system_sgpr_workgroup_info 0
		.amdhsa_system_vgpr_workitem_id 0
		.amdhsa_next_free_vgpr 69
		.amdhsa_next_free_sgpr 16
		.amdhsa_reserve_vcc 1
		.amdhsa_float_round_mode_32 0
		.amdhsa_float_round_mode_16_64 0
		.amdhsa_float_denorm_mode_32 3
		.amdhsa_float_denorm_mode_16_64 3
		.amdhsa_dx10_clamp 1
		.amdhsa_ieee_mode 1
		.amdhsa_fp16_overflow 0
		.amdhsa_workgroup_processor_mode 1
		.amdhsa_memory_ordered 1
		.amdhsa_forward_progress 0
		.amdhsa_shared_vgpr_count 0
		.amdhsa_exception_fp_ieee_invalid_op 0
		.amdhsa_exception_fp_denorm_src 0
		.amdhsa_exception_fp_ieee_div_zero 0
		.amdhsa_exception_fp_ieee_overflow 0
		.amdhsa_exception_fp_ieee_underflow 0
		.amdhsa_exception_fp_ieee_inexact 0
		.amdhsa_exception_int_div_zero 0
	.end_amdhsa_kernel
	.section	.text._ZN5aiter18quant_mxfp4_kernelI12hip_bfloat16LNS_16MxScaleRoundModeE1ELb0ELb0ELb0EEEvPKT_PhPfliiib,"axG",@progbits,_ZN5aiter18quant_mxfp4_kernelI12hip_bfloat16LNS_16MxScaleRoundModeE1ELb0ELb0ELb0EEEvPKT_PhPfliiib,comdat
.Lfunc_end30:
	.size	_ZN5aiter18quant_mxfp4_kernelI12hip_bfloat16LNS_16MxScaleRoundModeE1ELb0ELb0ELb0EEEvPKT_PhPfliiib, .Lfunc_end30-_ZN5aiter18quant_mxfp4_kernelI12hip_bfloat16LNS_16MxScaleRoundModeE1ELb0ELb0ELb0EEEvPKT_PhPfliiib
                                        ; -- End function
	.section	.AMDGPU.csdata,"",@progbits
; Kernel info:
; codeLenInByte = 9952
; NumSgprs: 18
; NumVgprs: 69
; ScratchSize: 0
; MemoryBound: 0
; FloatMode: 240
; IeeeMode: 1
; LDSByteSize: 0 bytes/workgroup (compile time only)
; SGPRBlocks: 2
; VGPRBlocks: 8
; NumSGPRsForWavesPerEU: 18
; NumVGPRsForWavesPerEU: 69
; Occupancy: 16
; WaveLimiterHint : 0
; COMPUTE_PGM_RSRC2:SCRATCH_EN: 0
; COMPUTE_PGM_RSRC2:USER_SGPR: 15
; COMPUTE_PGM_RSRC2:TRAP_HANDLER: 0
; COMPUTE_PGM_RSRC2:TGID_X_EN: 1
; COMPUTE_PGM_RSRC2:TGID_Y_EN: 0
; COMPUTE_PGM_RSRC2:TGID_Z_EN: 0
; COMPUTE_PGM_RSRC2:TIDIG_COMP_CNT: 0
	.section	.text._ZN5aiter18quant_mxfp4_kernelI12hip_bfloat16LNS_16MxScaleRoundModeE2ELb1ELb0ELb1EEEvPKT_PhPfliiib,"axG",@progbits,_ZN5aiter18quant_mxfp4_kernelI12hip_bfloat16LNS_16MxScaleRoundModeE2ELb1ELb0ELb1EEEvPKT_PhPfliiib,comdat
	.protected	_ZN5aiter18quant_mxfp4_kernelI12hip_bfloat16LNS_16MxScaleRoundModeE2ELb1ELb0ELb1EEEvPKT_PhPfliiib ; -- Begin function _ZN5aiter18quant_mxfp4_kernelI12hip_bfloat16LNS_16MxScaleRoundModeE2ELb1ELb0ELb1EEEvPKT_PhPfliiib
	.globl	_ZN5aiter18quant_mxfp4_kernelI12hip_bfloat16LNS_16MxScaleRoundModeE2ELb1ELb0ELb1EEEvPKT_PhPfliiib
	.p2align	8
	.type	_ZN5aiter18quant_mxfp4_kernelI12hip_bfloat16LNS_16MxScaleRoundModeE2ELb1ELb0ELb1EEEvPKT_PhPfliiib,@function
_ZN5aiter18quant_mxfp4_kernelI12hip_bfloat16LNS_16MxScaleRoundModeE2ELb1ELb0ELb1EEEvPKT_PhPfliiib: ; @_ZN5aiter18quant_mxfp4_kernelI12hip_bfloat16LNS_16MxScaleRoundModeE2ELb1ELb0ELb1EEEvPKT_PhPfliiib
; %bb.0:
	s_clause 0x1
	s_load_b32 s2, s[0:1], 0x3c
	s_load_b128 s[4:7], s[0:1], 0x20
	v_mov_b32_e32 v1, 0
	s_mov_b32 s3, exec_lo
	s_delay_alu instid0(VALU_DEP_1) | instskip(SKIP_2) | instid1(SALU_CYCLE_1)
	v_mov_b32_e32 v4, v1
	s_waitcnt lgkmcnt(0)
	s_and_b32 s2, s2, 0xffff
	v_mad_u64_u32 v[2:3], null, s2, s15, v[0:1]
	s_ashr_i32 s2, s6, 31
                                        ; implicit-def: $vgpr0_vgpr1
	s_delay_alu instid0(VALU_DEP_1) | instid1(SALU_CYCLE_1)
	v_or_b32_e32 v5, s2, v3
	s_delay_alu instid0(VALU_DEP_1)
	v_cmpx_ne_u64_e32 0, v[4:5]
	s_xor_b32 s3, exec_lo, s3
	s_cbranch_execz .LBB31_2
; %bb.1:
	s_add_u32 s10, s6, s2
	s_mov_b32 s8, s2
	s_mov_b32 s9, s2
	s_addc_u32 s11, s2, s2
	s_delay_alu instid0(SALU_CYCLE_1) | instskip(NEXT) | instid1(SALU_CYCLE_1)
	s_xor_b64 s[10:11], s[10:11], s[8:9]
	v_cvt_f32_u32_e32 v0, s10
	v_cvt_f32_u32_e32 v1, s11
	s_sub_u32 s2, 0, s10
	s_subb_u32 s7, 0, s11
	s_delay_alu instid0(VALU_DEP_1) | instskip(NEXT) | instid1(VALU_DEP_1)
	v_fmamk_f32 v0, v1, 0x4f800000, v0
	v_rcp_f32_e32 v0, v0
	s_waitcnt_depctr 0xfff
	v_mul_f32_e32 v0, 0x5f7ffffc, v0
	s_delay_alu instid0(VALU_DEP_1) | instskip(NEXT) | instid1(VALU_DEP_1)
	v_mul_f32_e32 v1, 0x2f800000, v0
	v_trunc_f32_e32 v1, v1
	s_delay_alu instid0(VALU_DEP_1) | instskip(SKIP_1) | instid1(VALU_DEP_2)
	v_fmamk_f32 v0, v1, 0xcf800000, v0
	v_cvt_u32_f32_e32 v1, v1
	v_cvt_u32_f32_e32 v0, v0
	s_delay_alu instid0(VALU_DEP_2) | instskip(NEXT) | instid1(VALU_DEP_2)
	v_mul_lo_u32 v4, s2, v1
	v_mul_hi_u32 v5, s2, v0
	v_mul_lo_u32 v6, s7, v0
	s_delay_alu instid0(VALU_DEP_2) | instskip(SKIP_1) | instid1(VALU_DEP_2)
	v_add_nc_u32_e32 v4, v5, v4
	v_mul_lo_u32 v5, s2, v0
	v_add_nc_u32_e32 v4, v4, v6
	s_delay_alu instid0(VALU_DEP_2) | instskip(NEXT) | instid1(VALU_DEP_2)
	v_mul_hi_u32 v6, v0, v5
	v_mul_lo_u32 v7, v0, v4
	v_mul_hi_u32 v8, v0, v4
	v_mul_hi_u32 v9, v1, v5
	v_mul_lo_u32 v5, v1, v5
	v_mul_hi_u32 v10, v1, v4
	v_mul_lo_u32 v4, v1, v4
	v_add_co_u32 v6, vcc_lo, v6, v7
	v_add_co_ci_u32_e32 v7, vcc_lo, 0, v8, vcc_lo
	s_delay_alu instid0(VALU_DEP_2) | instskip(NEXT) | instid1(VALU_DEP_2)
	v_add_co_u32 v5, vcc_lo, v6, v5
	v_add_co_ci_u32_e32 v5, vcc_lo, v7, v9, vcc_lo
	v_add_co_ci_u32_e32 v6, vcc_lo, 0, v10, vcc_lo
	v_ashrrev_i32_e32 v9, 31, v3
	s_delay_alu instid0(VALU_DEP_3) | instskip(NEXT) | instid1(VALU_DEP_3)
	v_add_co_u32 v4, vcc_lo, v5, v4
	v_add_co_ci_u32_e32 v5, vcc_lo, 0, v6, vcc_lo
	s_delay_alu instid0(VALU_DEP_2) | instskip(NEXT) | instid1(VALU_DEP_2)
	v_add_co_u32 v0, vcc_lo, v0, v4
	v_add_co_ci_u32_e32 v1, vcc_lo, v1, v5, vcc_lo
	s_delay_alu instid0(VALU_DEP_2) | instskip(SKIP_1) | instid1(VALU_DEP_3)
	v_mul_hi_u32 v4, s2, v0
	v_mul_lo_u32 v6, s7, v0
	v_mul_lo_u32 v5, s2, v1
	s_delay_alu instid0(VALU_DEP_1) | instskip(SKIP_1) | instid1(VALU_DEP_2)
	v_add_nc_u32_e32 v4, v4, v5
	v_mul_lo_u32 v5, s2, v0
	v_add_nc_u32_e32 v4, v4, v6
	s_delay_alu instid0(VALU_DEP_2) | instskip(NEXT) | instid1(VALU_DEP_2)
	v_mul_hi_u32 v6, v0, v5
	v_mul_lo_u32 v7, v0, v4
	v_mul_hi_u32 v8, v0, v4
	v_mul_hi_u32 v10, v1, v5
	v_mul_lo_u32 v5, v1, v5
	v_mul_hi_u32 v11, v1, v4
	v_mul_lo_u32 v4, v1, v4
	v_add_co_u32 v6, vcc_lo, v6, v7
	v_add_co_ci_u32_e32 v7, vcc_lo, 0, v8, vcc_lo
	s_delay_alu instid0(VALU_DEP_2) | instskip(NEXT) | instid1(VALU_DEP_2)
	v_add_co_u32 v5, vcc_lo, v6, v5
	v_add_co_ci_u32_e32 v5, vcc_lo, v7, v10, vcc_lo
	v_add_co_ci_u32_e32 v6, vcc_lo, 0, v11, vcc_lo
	v_add_co_u32 v7, vcc_lo, v2, v9
	v_add_co_ci_u32_e32 v3, vcc_lo, v3, v9, vcc_lo
	s_delay_alu instid0(VALU_DEP_4) | instskip(NEXT) | instid1(VALU_DEP_4)
	v_add_co_u32 v4, vcc_lo, v5, v4
	v_add_co_ci_u32_e32 v5, vcc_lo, 0, v6, vcc_lo
	s_delay_alu instid0(VALU_DEP_4) | instskip(NEXT) | instid1(VALU_DEP_3)
	v_xor_b32_e32 v7, v7, v9
	v_add_co_u32 v6, vcc_lo, v0, v4
	s_delay_alu instid0(VALU_DEP_3) | instskip(SKIP_1) | instid1(VALU_DEP_3)
	v_add_co_ci_u32_e32 v8, vcc_lo, v1, v5, vcc_lo
	v_xor_b32_e32 v10, v3, v9
	v_mul_hi_u32 v11, v7, v6
	s_delay_alu instid0(VALU_DEP_3) | instskip(NEXT) | instid1(VALU_DEP_3)
	v_mad_u64_u32 v[0:1], null, v7, v8, 0
	v_mad_u64_u32 v[3:4], null, v10, v6, 0
	;; [unrolled: 1-line block ×3, first 2 shown]
	s_delay_alu instid0(VALU_DEP_3) | instskip(NEXT) | instid1(VALU_DEP_4)
	v_add_co_u32 v0, vcc_lo, v11, v0
	v_add_co_ci_u32_e32 v1, vcc_lo, 0, v1, vcc_lo
	s_delay_alu instid0(VALU_DEP_2) | instskip(NEXT) | instid1(VALU_DEP_2)
	v_add_co_u32 v0, vcc_lo, v0, v3
	v_add_co_ci_u32_e32 v0, vcc_lo, v1, v4, vcc_lo
	v_add_co_ci_u32_e32 v1, vcc_lo, 0, v6, vcc_lo
	s_delay_alu instid0(VALU_DEP_2) | instskip(NEXT) | instid1(VALU_DEP_2)
	v_add_co_u32 v3, vcc_lo, v0, v5
	v_add_co_ci_u32_e32 v4, vcc_lo, 0, v1, vcc_lo
	s_delay_alu instid0(VALU_DEP_2) | instskip(SKIP_1) | instid1(VALU_DEP_3)
	v_mul_lo_u32 v5, s11, v3
	v_mad_u64_u32 v[0:1], null, s10, v3, 0
	v_mul_lo_u32 v6, s10, v4
	s_delay_alu instid0(VALU_DEP_2) | instskip(NEXT) | instid1(VALU_DEP_2)
	v_sub_co_u32 v0, vcc_lo, v7, v0
	v_add3_u32 v1, v1, v6, v5
	s_delay_alu instid0(VALU_DEP_1) | instskip(NEXT) | instid1(VALU_DEP_1)
	v_sub_nc_u32_e32 v5, v10, v1
	v_subrev_co_ci_u32_e64 v5, s2, s11, v5, vcc_lo
	v_add_co_u32 v6, s2, v3, 2
	s_delay_alu instid0(VALU_DEP_1) | instskip(SKIP_3) | instid1(VALU_DEP_3)
	v_add_co_ci_u32_e64 v7, s2, 0, v4, s2
	v_sub_co_u32 v8, s2, v0, s10
	v_sub_co_ci_u32_e32 v1, vcc_lo, v10, v1, vcc_lo
	v_subrev_co_ci_u32_e64 v5, s2, 0, v5, s2
	v_cmp_le_u32_e32 vcc_lo, s10, v8
	s_delay_alu instid0(VALU_DEP_3) | instskip(SKIP_1) | instid1(VALU_DEP_4)
	v_cmp_eq_u32_e64 s2, s11, v1
	v_cndmask_b32_e64 v8, 0, -1, vcc_lo
	v_cmp_le_u32_e32 vcc_lo, s11, v5
	v_cndmask_b32_e64 v10, 0, -1, vcc_lo
	v_cmp_le_u32_e32 vcc_lo, s10, v0
	;; [unrolled: 2-line block ×3, first 2 shown]
	v_cndmask_b32_e64 v11, 0, -1, vcc_lo
	v_cmp_eq_u32_e32 vcc_lo, s11, v5
	s_delay_alu instid0(VALU_DEP_2) | instskip(SKIP_3) | instid1(VALU_DEP_3)
	v_cndmask_b32_e64 v0, v11, v0, s2
	v_cndmask_b32_e32 v5, v10, v8, vcc_lo
	v_add_co_u32 v8, vcc_lo, v3, 1
	v_add_co_ci_u32_e32 v10, vcc_lo, 0, v4, vcc_lo
	v_cmp_ne_u32_e32 vcc_lo, 0, v5
	s_delay_alu instid0(VALU_DEP_2) | instskip(NEXT) | instid1(VALU_DEP_4)
	v_cndmask_b32_e32 v1, v10, v7, vcc_lo
	v_cndmask_b32_e32 v5, v8, v6, vcc_lo
	v_cmp_ne_u32_e32 vcc_lo, 0, v0
	v_xor_b32_e32 v0, s8, v9
	s_delay_alu instid0(VALU_DEP_3) | instskip(SKIP_2) | instid1(VALU_DEP_3)
	v_cndmask_b32_e32 v3, v3, v5, vcc_lo
	v_cndmask_b32_e32 v1, v4, v1, vcc_lo
	v_xor_b32_e32 v4, s9, v9
	v_xor_b32_e32 v3, v3, v0
	s_delay_alu instid0(VALU_DEP_2) | instskip(NEXT) | instid1(VALU_DEP_2)
	v_xor_b32_e32 v1, v1, v4
	v_sub_co_u32 v0, vcc_lo, v3, v0
	s_delay_alu instid0(VALU_DEP_2)
	v_sub_co_ci_u32_e32 v1, vcc_lo, v1, v4, vcc_lo
.LBB31_2:
	s_and_not1_saveexec_b32 s2, s3
	s_cbranch_execz .LBB31_4
; %bb.3:
	v_cvt_f32_u32_e32 v0, s6
	s_sub_i32 s3, 0, s6
	s_delay_alu instid0(VALU_DEP_1) | instskip(SKIP_2) | instid1(VALU_DEP_1)
	v_rcp_iflag_f32_e32 v0, v0
	s_waitcnt_depctr 0xfff
	v_mul_f32_e32 v0, 0x4f7ffffe, v0
	v_cvt_u32_f32_e32 v0, v0
	s_delay_alu instid0(VALU_DEP_1) | instskip(NEXT) | instid1(VALU_DEP_1)
	v_mul_lo_u32 v1, s3, v0
	v_mul_hi_u32 v1, v0, v1
	s_delay_alu instid0(VALU_DEP_1) | instskip(NEXT) | instid1(VALU_DEP_1)
	v_add_nc_u32_e32 v0, v0, v1
	v_mul_hi_u32 v0, v2, v0
	s_delay_alu instid0(VALU_DEP_1) | instskip(SKIP_1) | instid1(VALU_DEP_2)
	v_mul_lo_u32 v1, v0, s6
	v_add_nc_u32_e32 v3, 1, v0
	v_sub_nc_u32_e32 v1, v2, v1
	s_delay_alu instid0(VALU_DEP_1) | instskip(SKIP_1) | instid1(VALU_DEP_2)
	v_subrev_nc_u32_e32 v4, s6, v1
	v_cmp_le_u32_e32 vcc_lo, s6, v1
	v_dual_cndmask_b32 v1, v1, v4 :: v_dual_cndmask_b32 v0, v0, v3
	s_delay_alu instid0(VALU_DEP_1) | instskip(NEXT) | instid1(VALU_DEP_2)
	v_cmp_le_u32_e32 vcc_lo, s6, v1
	v_add_nc_u32_e32 v3, 1, v0
	s_delay_alu instid0(VALU_DEP_1)
	v_dual_mov_b32 v1, 0 :: v_dual_cndmask_b32 v0, v0, v3
.LBB31_4:
	s_or_b32 exec_lo, exec_lo, s2
	s_load_b64 s[2:3], s[0:1], 0x18
	s_delay_alu instid0(VALU_DEP_1) | instskip(NEXT) | instid1(VALU_DEP_1)
	v_mad_u64_u32 v[3:4], null, v0, s6, 0
	v_sub_co_u32 v2, null, v2, v3
	s_waitcnt lgkmcnt(0)
	v_cmp_gt_i64_e32 vcc_lo, s[2:3], v[0:1]
	s_delay_alu instid0(VALU_DEP_2) | instskip(NEXT) | instid1(VALU_DEP_1)
	v_cmp_gt_i32_e64 s2, s5, v2
	s_and_b32 s2, vcc_lo, s2
	s_delay_alu instid0(SALU_CYCLE_1)
	s_and_saveexec_b32 s3, s2
	s_cbranch_execz .LBB31_390
; %bb.5:
	s_ashr_i32 s5, s4, 31
	s_load_b64 s[2:3], s[0:1], 0x0
	v_mul_lo_u32 v5, v1, s4
	v_mad_u64_u32 v[3:4], null, v0, s4, 0
	v_mul_lo_u32 v6, v0, s5
	s_delay_alu instid0(VALU_DEP_1) | instskip(SKIP_1) | instid1(VALU_DEP_2)
	v_add3_u32 v4, v4, v6, v5
	v_dual_mov_b32 v6, 0 :: v_dual_lshlrev_b32 v5, 5, v2
	v_lshlrev_b64 v[3:4], 1, v[3:4]
	s_delay_alu instid0(VALU_DEP_2) | instskip(SKIP_1) | instid1(VALU_DEP_2)
	v_lshlrev_b64 v[5:6], 1, v[5:6]
	s_waitcnt lgkmcnt(0)
	v_add_co_u32 v3, vcc_lo, s2, v3
	s_delay_alu instid0(VALU_DEP_3) | instskip(SKIP_1) | instid1(VALU_DEP_2)
	v_add_co_ci_u32_e32 v4, vcc_lo, s3, v4, vcc_lo
	s_mov_b32 s2, 0xc2fe0000
	v_add_co_u32 v7, vcc_lo, v3, v5
	s_delay_alu instid0(VALU_DEP_2)
	v_add_co_ci_u32_e32 v8, vcc_lo, v4, v6, vcc_lo
	s_clause 0x3
	global_load_b128 v[3:6], v[7:8], off
	global_load_b128 v[10:13], v[7:8], off offset:16
	global_load_b128 v[52:55], v[7:8], off offset:32
	;; [unrolled: 1-line block ×3, first 2 shown]
	s_waitcnt vmcnt(3)
	v_lshlrev_b32_e32 v17, 16, v3
	v_and_b32_e32 v7, 0xffff0000, v3
	v_lshlrev_b32_e32 v9, 16, v4
	v_and_b32_e32 v14, 0xffff0000, v4
	;; [unrolled: 2-line block ×3, first 2 shown]
	v_max3_f32 v3, |v17|, 0, |v7|
	v_lshlrev_b32_e32 v22, 16, v6
	v_and_b32_e32 v26, 0xffff0000, v6
	s_waitcnt vmcnt(2)
	v_lshlrev_b32_e32 v28, 16, v10
	v_and_b32_e32 v32, 0xffff0000, v10
	v_max3_f32 v3, v3, |v9|, |v14|
	v_lshlrev_b32_e32 v34, 16, v11
	v_and_b32_e32 v38, 0xffff0000, v11
	v_lshlrev_b32_e32 v40, 16, v12
	v_and_b32_e32 v42, 0xffff0000, v12
	v_max3_f32 v3, v3, |v16|, |v20|
	v_lshlrev_b32_e32 v45, 16, v13
	v_and_b32_e32 v47, 0xffff0000, v13
	s_waitcnt vmcnt(1)
	v_lshlrev_b32_e32 v51, 16, v52
	v_and_b32_e32 v52, 0xffff0000, v52
	v_max3_f32 v3, v3, |v22|, |v26|
	v_lshlrev_b32_e32 v48, 16, v53
	v_and_b32_e32 v46, 0xffff0000, v53
	v_lshlrev_b32_e32 v41, 16, v54
	v_and_b32_e32 v39, 0xffff0000, v54
	v_max3_f32 v3, v3, |v28|, |v32|
	;; [unrolled: 11-line block ×3, first 2 shown]
	v_lshlrev_b32_e32 v13, 16, v59
	v_and_b32_e32 v8, 0xffff0000, v59
	s_delay_alu instid0(VALU_DEP_3) | instskip(NEXT) | instid1(VALU_DEP_1)
	v_max3_f32 v3, v3, |v45|, |v47|
	v_max3_f32 v3, v3, |v51|, |v52|
	s_delay_alu instid0(VALU_DEP_1) | instskip(NEXT) | instid1(VALU_DEP_1)
	v_max3_f32 v3, v3, |v48|, |v46|
	v_max3_f32 v3, v3, |v41|, |v39|
	s_delay_alu instid0(VALU_DEP_1) | instskip(NEXT) | instid1(VALU_DEP_1)
	;; [unrolled: 3-line block ×4, first 2 shown]
	v_max3_f32 v3, v3, |v13|, |v8|
	v_add_nc_u32_e32 v3, 0x200000, v3
	s_delay_alu instid0(VALU_DEP_1) | instskip(NEXT) | instid1(VALU_DEP_1)
	v_and_b32_e32 v3, 0x7f800000, v3
	v_cmp_gt_f32_e32 vcc_lo, 0x800000, v3
	v_cndmask_b32_e64 v4, 1.0, 0x4f800000, vcc_lo
	s_delay_alu instid0(VALU_DEP_1) | instskip(SKIP_1) | instid1(VALU_DEP_2)
	v_mul_f32_e32 v3, v3, v4
	v_cndmask_b32_e64 v4, 0, 0x42000000, vcc_lo
	v_log_f32_e32 v3, v3
	s_waitcnt_depctr 0xfff
	v_sub_f32_e32 v3, v3, v4
	s_delay_alu instid0(VALU_DEP_1) | instskip(NEXT) | instid1(VALU_DEP_1)
	v_floor_f32_e32 v3, v3
	v_add_f32_e32 v3, -2.0, v3
	s_delay_alu instid0(VALU_DEP_1) | instskip(SKIP_1) | instid1(VALU_DEP_1)
	v_maxmin_f32 v3, v3, s2, 0x42fe0000
	s_mov_b32 s2, exec_lo
	v_cmp_gt_f32_e32 vcc_lo, 0xc2fc0000, v3
	v_cndmask_b32_e64 v4, 0, 0x42800000, vcc_lo
	s_delay_alu instid0(VALU_DEP_1) | instskip(SKIP_1) | instid1(VALU_DEP_2)
	v_add_f32_e32 v3, v3, v4
	v_cndmask_b32_e64 v4, 1.0, 0x1f800000, vcc_lo
	v_exp_f32_e32 v3, v3
	s_waitcnt_depctr 0xfff
	v_mul_f32_e32 v3, v3, v4
	s_delay_alu instid0(VALU_DEP_1) | instskip(SKIP_1) | instid1(VALU_DEP_2)
	v_div_scale_f32 v4, null, v3, v3, 1.0
	v_div_scale_f32 v10, vcc_lo, 1.0, v3, 1.0
	v_rcp_f32_e32 v5, v4
	s_waitcnt_depctr 0xfff
	v_fma_f32 v6, -v4, v5, 1.0
	s_delay_alu instid0(VALU_DEP_1) | instskip(NEXT) | instid1(VALU_DEP_1)
	v_fmac_f32_e32 v5, v6, v5
	v_mul_f32_e32 v6, v10, v5
	s_delay_alu instid0(VALU_DEP_1) | instskip(NEXT) | instid1(VALU_DEP_1)
	v_fma_f32 v11, -v4, v6, v10
	v_fmac_f32_e32 v6, v11, v5
	s_delay_alu instid0(VALU_DEP_1) | instskip(NEXT) | instid1(VALU_DEP_1)
	v_fma_f32 v4, -v4, v6, v10
	v_div_fmas_f32 v4, v4, v5, v6
	v_cmp_neq_f32_e32 vcc_lo, 0, v3
	v_mov_b32_e32 v6, 7
	s_delay_alu instid0(VALU_DEP_3) | instskip(NEXT) | instid1(VALU_DEP_1)
	v_div_fixup_f32 v4, v4, v3, 1.0
	v_cndmask_b32_e32 v12, 0, v4, vcc_lo
	s_delay_alu instid0(VALU_DEP_1) | instskip(NEXT) | instid1(VALU_DEP_1)
	v_dual_mov_b32 v4, 7 :: v_dual_mul_f32 v5, v12, v17
	v_cmpx_nle_f32_e64 0x40a00000, |v5|
	s_cbranch_execz .LBB31_17
; %bb.6:
	v_mov_b32_e32 v4, 6
	s_mov_b32 s3, exec_lo
	v_cmpx_nle_f32_e64 0x40600000, |v5|
	s_cbranch_execz .LBB31_16
; %bb.7:
	v_mov_b32_e32 v4, 5
	s_mov_b32 s5, exec_lo
	;; [unrolled: 5-line block ×5, first 2 shown]
	v_cmpx_nle_f32_e64 0x3f400000, |v5|
; %bb.11:
	v_cmp_le_f32_e64 s10, 0x3e800000, |v5|
	s_delay_alu instid0(VALU_DEP_1)
	v_cndmask_b32_e64 v4, 0, 1, s10
; %bb.12:
	s_or_b32 exec_lo, exec_lo, s9
.LBB31_13:
	s_delay_alu instid0(SALU_CYCLE_1)
	s_or_b32 exec_lo, exec_lo, s8
.LBB31_14:
	s_delay_alu instid0(SALU_CYCLE_1)
	s_or_b32 exec_lo, exec_lo, s7
.LBB31_15:
	s_delay_alu instid0(SALU_CYCLE_1)
	s_or_b32 exec_lo, exec_lo, s5
.LBB31_16:
	s_delay_alu instid0(SALU_CYCLE_1)
	s_or_b32 exec_lo, exec_lo, s3
.LBB31_17:
	s_delay_alu instid0(SALU_CYCLE_1) | instskip(SKIP_2) | instid1(VALU_DEP_1)
	s_or_b32 exec_lo, exec_lo, s2
	v_mul_f32_e32 v7, v12, v7
	s_mov_b32 s2, exec_lo
	v_cmpx_nle_f32_e64 0x40a00000, |v7|
	s_cbranch_execz .LBB31_29
; %bb.18:
	v_mov_b32_e32 v6, 6
	s_mov_b32 s3, exec_lo
	v_cmpx_nle_f32_e64 0x40600000, |v7|
	s_cbranch_execz .LBB31_28
; %bb.19:
	v_mov_b32_e32 v6, 5
	s_mov_b32 s5, exec_lo
	v_cmpx_nle_f32_e64 0x40200000, |v7|
	s_cbranch_execz .LBB31_27
; %bb.20:
	v_mov_b32_e32 v6, 4
	s_mov_b32 s7, exec_lo
	v_cmpx_nle_f32_e64 0x3fe00000, |v7|
	s_cbranch_execz .LBB31_26
; %bb.21:
	v_mov_b32_e32 v6, 3
	s_mov_b32 s8, exec_lo
	v_cmpx_nle_f32_e64 0x3fa00000, |v7|
	s_cbranch_execz .LBB31_25
; %bb.22:
	v_mov_b32_e32 v6, 2
	s_mov_b32 s9, exec_lo
	v_cmpx_nle_f32_e64 0x3f400000, |v7|
; %bb.23:
	v_cmp_le_f32_e64 s10, 0x3e800000, |v7|
	s_delay_alu instid0(VALU_DEP_1)
	v_cndmask_b32_e64 v6, 0, 1, s10
; %bb.24:
	s_or_b32 exec_lo, exec_lo, s9
.LBB31_25:
	s_delay_alu instid0(SALU_CYCLE_1)
	s_or_b32 exec_lo, exec_lo, s8
.LBB31_26:
	s_delay_alu instid0(SALU_CYCLE_1)
	s_or_b32 exec_lo, exec_lo, s7
.LBB31_27:
	s_delay_alu instid0(SALU_CYCLE_1)
	s_or_b32 exec_lo, exec_lo, s5
.LBB31_28:
	s_delay_alu instid0(SALU_CYCLE_1)
	s_or_b32 exec_lo, exec_lo, s3
.LBB31_29:
	s_delay_alu instid0(SALU_CYCLE_1) | instskip(SKIP_3) | instid1(VALU_DEP_2)
	s_or_b32 exec_lo, exec_lo, s2
	v_dual_mul_f32 v10, v12, v9 :: v_dual_mov_b32 v11, 7
	v_mov_b32_e32 v9, 7
	s_mov_b32 s2, exec_lo
	v_cmpx_nle_f32_e64 0x40a00000, |v10|
	s_cbranch_execz .LBB31_41
; %bb.30:
	v_mov_b32_e32 v9, 6
	s_mov_b32 s3, exec_lo
	v_cmpx_nle_f32_e64 0x40600000, |v10|
	s_cbranch_execz .LBB31_40
; %bb.31:
	;; [unrolled: 5-line block ×5, first 2 shown]
	v_mov_b32_e32 v9, 2
	s_mov_b32 s9, exec_lo
	v_cmpx_nle_f32_e64 0x3f400000, |v10|
; %bb.35:
	v_cmp_le_f32_e64 s10, 0x3e800000, |v10|
	s_delay_alu instid0(VALU_DEP_1)
	v_cndmask_b32_e64 v9, 0, 1, s10
; %bb.36:
	s_or_b32 exec_lo, exec_lo, s9
.LBB31_37:
	s_delay_alu instid0(SALU_CYCLE_1)
	s_or_b32 exec_lo, exec_lo, s8
.LBB31_38:
	s_delay_alu instid0(SALU_CYCLE_1)
	s_or_b32 exec_lo, exec_lo, s7
.LBB31_39:
	s_delay_alu instid0(SALU_CYCLE_1)
	s_or_b32 exec_lo, exec_lo, s5
.LBB31_40:
	s_delay_alu instid0(SALU_CYCLE_1)
	s_or_b32 exec_lo, exec_lo, s3
.LBB31_41:
	s_delay_alu instid0(SALU_CYCLE_1) | instskip(SKIP_2) | instid1(VALU_DEP_1)
	s_or_b32 exec_lo, exec_lo, s2
	v_mul_f32_e32 v14, v12, v14
	s_mov_b32 s2, exec_lo
	v_cmpx_nle_f32_e64 0x40a00000, |v14|
	s_cbranch_execz .LBB31_53
; %bb.42:
	v_mov_b32_e32 v11, 6
	s_mov_b32 s3, exec_lo
	v_cmpx_nle_f32_e64 0x40600000, |v14|
	s_cbranch_execz .LBB31_52
; %bb.43:
	v_mov_b32_e32 v11, 5
	;; [unrolled: 5-line block ×5, first 2 shown]
	s_mov_b32 s9, exec_lo
	v_cmpx_nle_f32_e64 0x3f400000, |v14|
; %bb.47:
	v_cmp_le_f32_e64 s10, 0x3e800000, |v14|
	s_delay_alu instid0(VALU_DEP_1)
	v_cndmask_b32_e64 v11, 0, 1, s10
; %bb.48:
	s_or_b32 exec_lo, exec_lo, s9
.LBB31_49:
	s_delay_alu instid0(SALU_CYCLE_1)
	s_or_b32 exec_lo, exec_lo, s8
.LBB31_50:
	s_delay_alu instid0(SALU_CYCLE_1)
	s_or_b32 exec_lo, exec_lo, s7
.LBB31_51:
	s_delay_alu instid0(SALU_CYCLE_1)
	s_or_b32 exec_lo, exec_lo, s5
.LBB31_52:
	s_delay_alu instid0(SALU_CYCLE_1)
	s_or_b32 exec_lo, exec_lo, s3
.LBB31_53:
	s_delay_alu instid0(SALU_CYCLE_1) | instskip(SKIP_3) | instid1(VALU_DEP_2)
	s_or_b32 exec_lo, exec_lo, s2
	v_dual_mul_f32 v18, v12, v16 :: v_dual_mov_b32 v17, 7
	v_mov_b32_e32 v16, 7
	s_mov_b32 s2, exec_lo
	v_cmpx_nle_f32_e64 0x40a00000, |v18|
	s_cbranch_execz .LBB31_65
; %bb.54:
	v_mov_b32_e32 v17, 6
	s_mov_b32 s3, exec_lo
	v_cmpx_nle_f32_e64 0x40600000, |v18|
	s_cbranch_execz .LBB31_64
; %bb.55:
	;; [unrolled: 5-line block ×5, first 2 shown]
	v_mov_b32_e32 v17, 2
	s_mov_b32 s9, exec_lo
	v_cmpx_nle_f32_e64 0x3f400000, |v18|
; %bb.59:
	v_cmp_le_f32_e64 s10, 0x3e800000, |v18|
	s_delay_alu instid0(VALU_DEP_1)
	v_cndmask_b32_e64 v17, 0, 1, s10
; %bb.60:
	s_or_b32 exec_lo, exec_lo, s9
.LBB31_61:
	s_delay_alu instid0(SALU_CYCLE_1)
	s_or_b32 exec_lo, exec_lo, s8
.LBB31_62:
	s_delay_alu instid0(SALU_CYCLE_1)
	s_or_b32 exec_lo, exec_lo, s7
.LBB31_63:
	s_delay_alu instid0(SALU_CYCLE_1)
	s_or_b32 exec_lo, exec_lo, s5
.LBB31_64:
	s_delay_alu instid0(SALU_CYCLE_1)
	s_or_b32 exec_lo, exec_lo, s3
.LBB31_65:
	s_delay_alu instid0(SALU_CYCLE_1) | instskip(SKIP_2) | instid1(VALU_DEP_1)
	s_or_b32 exec_lo, exec_lo, s2
	v_mul_f32_e32 v20, v12, v20
	s_mov_b32 s2, exec_lo
	v_cmpx_nle_f32_e64 0x40a00000, |v20|
	s_cbranch_execz .LBB31_77
; %bb.66:
	v_mov_b32_e32 v16, 6
	s_mov_b32 s3, exec_lo
	v_cmpx_nle_f32_e64 0x40600000, |v20|
	s_cbranch_execz .LBB31_76
; %bb.67:
	v_mov_b32_e32 v16, 5
	;; [unrolled: 5-line block ×5, first 2 shown]
	s_mov_b32 s9, exec_lo
	v_cmpx_nle_f32_e64 0x3f400000, |v20|
; %bb.71:
	v_cmp_le_f32_e64 s10, 0x3e800000, |v20|
	s_delay_alu instid0(VALU_DEP_1)
	v_cndmask_b32_e64 v16, 0, 1, s10
; %bb.72:
	s_or_b32 exec_lo, exec_lo, s9
.LBB31_73:
	s_delay_alu instid0(SALU_CYCLE_1)
	s_or_b32 exec_lo, exec_lo, s8
.LBB31_74:
	s_delay_alu instid0(SALU_CYCLE_1)
	s_or_b32 exec_lo, exec_lo, s7
.LBB31_75:
	s_delay_alu instid0(SALU_CYCLE_1)
	s_or_b32 exec_lo, exec_lo, s5
.LBB31_76:
	s_delay_alu instid0(SALU_CYCLE_1)
	s_or_b32 exec_lo, exec_lo, s3
.LBB31_77:
	s_delay_alu instid0(SALU_CYCLE_1) | instskip(SKIP_3) | instid1(VALU_DEP_2)
	s_or_b32 exec_lo, exec_lo, s2
	v_dual_mul_f32 v24, v12, v22 :: v_dual_mov_b32 v23, 7
	v_mov_b32_e32 v22, 7
	s_mov_b32 s2, exec_lo
	v_cmpx_nle_f32_e64 0x40a00000, |v24|
	s_cbranch_execz .LBB31_89
; %bb.78:
	v_mov_b32_e32 v23, 6
	s_mov_b32 s3, exec_lo
	v_cmpx_nle_f32_e64 0x40600000, |v24|
	s_cbranch_execz .LBB31_88
; %bb.79:
	;; [unrolled: 5-line block ×5, first 2 shown]
	v_mov_b32_e32 v23, 2
	s_mov_b32 s9, exec_lo
	v_cmpx_nle_f32_e64 0x3f400000, |v24|
; %bb.83:
	v_cmp_le_f32_e64 s10, 0x3e800000, |v24|
	s_delay_alu instid0(VALU_DEP_1)
	v_cndmask_b32_e64 v23, 0, 1, s10
; %bb.84:
	s_or_b32 exec_lo, exec_lo, s9
.LBB31_85:
	s_delay_alu instid0(SALU_CYCLE_1)
	s_or_b32 exec_lo, exec_lo, s8
.LBB31_86:
	s_delay_alu instid0(SALU_CYCLE_1)
	s_or_b32 exec_lo, exec_lo, s7
.LBB31_87:
	s_delay_alu instid0(SALU_CYCLE_1)
	s_or_b32 exec_lo, exec_lo, s5
.LBB31_88:
	s_delay_alu instid0(SALU_CYCLE_1)
	s_or_b32 exec_lo, exec_lo, s3
.LBB31_89:
	s_delay_alu instid0(SALU_CYCLE_1) | instskip(SKIP_2) | instid1(VALU_DEP_1)
	s_or_b32 exec_lo, exec_lo, s2
	v_mul_f32_e32 v26, v12, v26
	s_mov_b32 s2, exec_lo
	v_cmpx_nle_f32_e64 0x40a00000, |v26|
	s_cbranch_execz .LBB31_101
; %bb.90:
	v_mov_b32_e32 v22, 6
	s_mov_b32 s3, exec_lo
	v_cmpx_nle_f32_e64 0x40600000, |v26|
	s_cbranch_execz .LBB31_100
; %bb.91:
	v_mov_b32_e32 v22, 5
	;; [unrolled: 5-line block ×5, first 2 shown]
	s_mov_b32 s9, exec_lo
	v_cmpx_nle_f32_e64 0x3f400000, |v26|
; %bb.95:
	v_cmp_le_f32_e64 s10, 0x3e800000, |v26|
	s_delay_alu instid0(VALU_DEP_1)
	v_cndmask_b32_e64 v22, 0, 1, s10
; %bb.96:
	s_or_b32 exec_lo, exec_lo, s9
.LBB31_97:
	s_delay_alu instid0(SALU_CYCLE_1)
	s_or_b32 exec_lo, exec_lo, s8
.LBB31_98:
	s_delay_alu instid0(SALU_CYCLE_1)
	s_or_b32 exec_lo, exec_lo, s7
.LBB31_99:
	s_delay_alu instid0(SALU_CYCLE_1)
	s_or_b32 exec_lo, exec_lo, s5
.LBB31_100:
	s_delay_alu instid0(SALU_CYCLE_1)
	s_or_b32 exec_lo, exec_lo, s3
.LBB31_101:
	s_delay_alu instid0(SALU_CYCLE_1) | instskip(SKIP_3) | instid1(VALU_DEP_2)
	s_or_b32 exec_lo, exec_lo, s2
	v_dual_mul_f32 v29, v12, v28 :: v_dual_mov_b32 v28, 7
	v_mov_b32_e32 v30, 7
	s_mov_b32 s2, exec_lo
	v_cmpx_nle_f32_e64 0x40a00000, |v29|
	s_cbranch_execz .LBB31_113
; %bb.102:
	v_mov_b32_e32 v30, 6
	s_mov_b32 s3, exec_lo
	v_cmpx_nle_f32_e64 0x40600000, |v29|
	s_cbranch_execz .LBB31_112
; %bb.103:
	;; [unrolled: 5-line block ×5, first 2 shown]
	v_mov_b32_e32 v30, 2
	s_mov_b32 s9, exec_lo
	v_cmpx_nle_f32_e64 0x3f400000, |v29|
; %bb.107:
	v_cmp_le_f32_e64 s10, 0x3e800000, |v29|
	s_delay_alu instid0(VALU_DEP_1)
	v_cndmask_b32_e64 v30, 0, 1, s10
; %bb.108:
	s_or_b32 exec_lo, exec_lo, s9
.LBB31_109:
	s_delay_alu instid0(SALU_CYCLE_1)
	s_or_b32 exec_lo, exec_lo, s8
.LBB31_110:
	s_delay_alu instid0(SALU_CYCLE_1)
	s_or_b32 exec_lo, exec_lo, s7
.LBB31_111:
	s_delay_alu instid0(SALU_CYCLE_1)
	s_or_b32 exec_lo, exec_lo, s5
.LBB31_112:
	s_delay_alu instid0(SALU_CYCLE_1)
	s_or_b32 exec_lo, exec_lo, s3
.LBB31_113:
	s_delay_alu instid0(SALU_CYCLE_1) | instskip(SKIP_2) | instid1(VALU_DEP_1)
	s_or_b32 exec_lo, exec_lo, s2
	v_mul_f32_e32 v32, v12, v32
	s_mov_b32 s2, exec_lo
	v_cmpx_nle_f32_e64 0x40a00000, |v32|
	s_cbranch_execz .LBB31_125
; %bb.114:
	v_mov_b32_e32 v28, 6
	s_mov_b32 s3, exec_lo
	v_cmpx_nle_f32_e64 0x40600000, |v32|
	s_cbranch_execz .LBB31_124
; %bb.115:
	v_mov_b32_e32 v28, 5
	;; [unrolled: 5-line block ×5, first 2 shown]
	s_mov_b32 s9, exec_lo
	v_cmpx_nle_f32_e64 0x3f400000, |v32|
; %bb.119:
	v_cmp_le_f32_e64 s10, 0x3e800000, |v32|
	s_delay_alu instid0(VALU_DEP_1)
	v_cndmask_b32_e64 v28, 0, 1, s10
; %bb.120:
	s_or_b32 exec_lo, exec_lo, s9
.LBB31_121:
	s_delay_alu instid0(SALU_CYCLE_1)
	s_or_b32 exec_lo, exec_lo, s8
.LBB31_122:
	s_delay_alu instid0(SALU_CYCLE_1)
	s_or_b32 exec_lo, exec_lo, s7
.LBB31_123:
	s_delay_alu instid0(SALU_CYCLE_1)
	s_or_b32 exec_lo, exec_lo, s5
.LBB31_124:
	s_delay_alu instid0(SALU_CYCLE_1)
	s_or_b32 exec_lo, exec_lo, s3
.LBB31_125:
	s_delay_alu instid0(SALU_CYCLE_1) | instskip(SKIP_3) | instid1(VALU_DEP_2)
	s_or_b32 exec_lo, exec_lo, s2
	v_dual_mul_f32 v37, v12, v34 :: v_dual_mov_b32 v34, 7
	v_mov_b32_e32 v35, 7
	s_mov_b32 s2, exec_lo
	v_cmpx_nle_f32_e64 0x40a00000, |v37|
	s_cbranch_execz .LBB31_137
; %bb.126:
	v_mov_b32_e32 v35, 6
	s_mov_b32 s3, exec_lo
	v_cmpx_nle_f32_e64 0x40600000, |v37|
	s_cbranch_execz .LBB31_136
; %bb.127:
	;; [unrolled: 5-line block ×5, first 2 shown]
	v_mov_b32_e32 v35, 2
	s_mov_b32 s9, exec_lo
	v_cmpx_nle_f32_e64 0x3f400000, |v37|
; %bb.131:
	v_cmp_le_f32_e64 s10, 0x3e800000, |v37|
	s_delay_alu instid0(VALU_DEP_1)
	v_cndmask_b32_e64 v35, 0, 1, s10
; %bb.132:
	s_or_b32 exec_lo, exec_lo, s9
.LBB31_133:
	s_delay_alu instid0(SALU_CYCLE_1)
	s_or_b32 exec_lo, exec_lo, s8
.LBB31_134:
	s_delay_alu instid0(SALU_CYCLE_1)
	s_or_b32 exec_lo, exec_lo, s7
.LBB31_135:
	s_delay_alu instid0(SALU_CYCLE_1)
	s_or_b32 exec_lo, exec_lo, s5
.LBB31_136:
	s_delay_alu instid0(SALU_CYCLE_1)
	s_or_b32 exec_lo, exec_lo, s3
.LBB31_137:
	s_delay_alu instid0(SALU_CYCLE_1) | instskip(SKIP_2) | instid1(VALU_DEP_1)
	s_or_b32 exec_lo, exec_lo, s2
	v_mul_f32_e32 v38, v12, v38
	s_mov_b32 s2, exec_lo
	v_cmpx_nle_f32_e64 0x40a00000, |v38|
	s_cbranch_execz .LBB31_149
; %bb.138:
	v_mov_b32_e32 v34, 6
	s_mov_b32 s3, exec_lo
	v_cmpx_nle_f32_e64 0x40600000, |v38|
	s_cbranch_execz .LBB31_148
; %bb.139:
	v_mov_b32_e32 v34, 5
	;; [unrolled: 5-line block ×5, first 2 shown]
	s_mov_b32 s9, exec_lo
	v_cmpx_nle_f32_e64 0x3f400000, |v38|
; %bb.143:
	v_cmp_le_f32_e64 s10, 0x3e800000, |v38|
	s_delay_alu instid0(VALU_DEP_1)
	v_cndmask_b32_e64 v34, 0, 1, s10
; %bb.144:
	s_or_b32 exec_lo, exec_lo, s9
.LBB31_145:
	s_delay_alu instid0(SALU_CYCLE_1)
	s_or_b32 exec_lo, exec_lo, s8
.LBB31_146:
	s_delay_alu instid0(SALU_CYCLE_1)
	s_or_b32 exec_lo, exec_lo, s7
.LBB31_147:
	s_delay_alu instid0(SALU_CYCLE_1)
	s_or_b32 exec_lo, exec_lo, s5
.LBB31_148:
	s_delay_alu instid0(SALU_CYCLE_1)
	s_or_b32 exec_lo, exec_lo, s3
.LBB31_149:
	s_delay_alu instid0(SALU_CYCLE_1) | instskip(SKIP_3) | instid1(VALU_DEP_2)
	s_or_b32 exec_lo, exec_lo, s2
	v_dual_mul_f32 v44, v12, v40 :: v_dual_mov_b32 v43, 7
	v_mov_b32_e32 v40, 7
	s_mov_b32 s2, exec_lo
	v_cmpx_nle_f32_e64 0x40a00000, |v44|
	s_cbranch_execz .LBB31_161
; %bb.150:
	v_mov_b32_e32 v43, 6
	s_mov_b32 s3, exec_lo
	v_cmpx_nle_f32_e64 0x40600000, |v44|
	s_cbranch_execz .LBB31_160
; %bb.151:
	;; [unrolled: 5-line block ×5, first 2 shown]
	v_mov_b32_e32 v43, 2
	s_mov_b32 s9, exec_lo
	v_cmpx_nle_f32_e64 0x3f400000, |v44|
; %bb.155:
	v_cmp_le_f32_e64 s10, 0x3e800000, |v44|
	s_delay_alu instid0(VALU_DEP_1)
	v_cndmask_b32_e64 v43, 0, 1, s10
; %bb.156:
	s_or_b32 exec_lo, exec_lo, s9
.LBB31_157:
	s_delay_alu instid0(SALU_CYCLE_1)
	s_or_b32 exec_lo, exec_lo, s8
.LBB31_158:
	s_delay_alu instid0(SALU_CYCLE_1)
	s_or_b32 exec_lo, exec_lo, s7
.LBB31_159:
	s_delay_alu instid0(SALU_CYCLE_1)
	s_or_b32 exec_lo, exec_lo, s5
.LBB31_160:
	s_delay_alu instid0(SALU_CYCLE_1)
	s_or_b32 exec_lo, exec_lo, s3
.LBB31_161:
	s_delay_alu instid0(SALU_CYCLE_1) | instskip(SKIP_2) | instid1(VALU_DEP_1)
	s_or_b32 exec_lo, exec_lo, s2
	v_mul_f32_e32 v42, v12, v42
	s_mov_b32 s2, exec_lo
	v_cmpx_nle_f32_e64 0x40a00000, |v42|
	s_cbranch_execz .LBB31_173
; %bb.162:
	v_mov_b32_e32 v40, 6
	s_mov_b32 s3, exec_lo
	v_cmpx_nle_f32_e64 0x40600000, |v42|
	s_cbranch_execz .LBB31_172
; %bb.163:
	v_mov_b32_e32 v40, 5
	;; [unrolled: 5-line block ×5, first 2 shown]
	s_mov_b32 s9, exec_lo
	v_cmpx_nle_f32_e64 0x3f400000, |v42|
; %bb.167:
	v_cmp_le_f32_e64 s10, 0x3e800000, |v42|
	s_delay_alu instid0(VALU_DEP_1)
	v_cndmask_b32_e64 v40, 0, 1, s10
; %bb.168:
	s_or_b32 exec_lo, exec_lo, s9
.LBB31_169:
	s_delay_alu instid0(SALU_CYCLE_1)
	s_or_b32 exec_lo, exec_lo, s8
.LBB31_170:
	s_delay_alu instid0(SALU_CYCLE_1)
	s_or_b32 exec_lo, exec_lo, s7
.LBB31_171:
	s_delay_alu instid0(SALU_CYCLE_1)
	s_or_b32 exec_lo, exec_lo, s5
.LBB31_172:
	s_delay_alu instid0(SALU_CYCLE_1)
	s_or_b32 exec_lo, exec_lo, s3
.LBB31_173:
	s_delay_alu instid0(SALU_CYCLE_1) | instskip(SKIP_3) | instid1(VALU_DEP_2)
	s_or_b32 exec_lo, exec_lo, s2
	v_dual_mul_f32 v50, v12, v45 :: v_dual_mov_b32 v45, 7
	v_mov_b32_e32 v49, 7
	s_mov_b32 s2, exec_lo
	v_cmpx_nle_f32_e64 0x40a00000, |v50|
	s_cbranch_execz .LBB31_185
; %bb.174:
	v_mov_b32_e32 v49, 6
	s_mov_b32 s3, exec_lo
	v_cmpx_nle_f32_e64 0x40600000, |v50|
	s_cbranch_execz .LBB31_184
; %bb.175:
	;; [unrolled: 5-line block ×5, first 2 shown]
	v_mov_b32_e32 v49, 2
	s_mov_b32 s9, exec_lo
	v_cmpx_nle_f32_e64 0x3f400000, |v50|
; %bb.179:
	v_cmp_le_f32_e64 s10, 0x3e800000, |v50|
	s_delay_alu instid0(VALU_DEP_1)
	v_cndmask_b32_e64 v49, 0, 1, s10
; %bb.180:
	s_or_b32 exec_lo, exec_lo, s9
.LBB31_181:
	s_delay_alu instid0(SALU_CYCLE_1)
	s_or_b32 exec_lo, exec_lo, s8
.LBB31_182:
	s_delay_alu instid0(SALU_CYCLE_1)
	s_or_b32 exec_lo, exec_lo, s7
.LBB31_183:
	s_delay_alu instid0(SALU_CYCLE_1)
	s_or_b32 exec_lo, exec_lo, s5
.LBB31_184:
	s_delay_alu instid0(SALU_CYCLE_1)
	s_or_b32 exec_lo, exec_lo, s3
.LBB31_185:
	s_delay_alu instid0(SALU_CYCLE_1) | instskip(SKIP_2) | instid1(VALU_DEP_1)
	s_or_b32 exec_lo, exec_lo, s2
	v_mul_f32_e32 v47, v12, v47
	s_mov_b32 s2, exec_lo
	v_cmpx_nle_f32_e64 0x40a00000, |v47|
	s_cbranch_execz .LBB31_197
; %bb.186:
	v_mov_b32_e32 v45, 6
	s_mov_b32 s3, exec_lo
	v_cmpx_nle_f32_e64 0x40600000, |v47|
	s_cbranch_execz .LBB31_196
; %bb.187:
	v_mov_b32_e32 v45, 5
	;; [unrolled: 5-line block ×5, first 2 shown]
	s_mov_b32 s9, exec_lo
	v_cmpx_nle_f32_e64 0x3f400000, |v47|
; %bb.191:
	v_cmp_le_f32_e64 s10, 0x3e800000, |v47|
	s_delay_alu instid0(VALU_DEP_1)
	v_cndmask_b32_e64 v45, 0, 1, s10
; %bb.192:
	s_or_b32 exec_lo, exec_lo, s9
.LBB31_193:
	s_delay_alu instid0(SALU_CYCLE_1)
	s_or_b32 exec_lo, exec_lo, s8
.LBB31_194:
	s_delay_alu instid0(SALU_CYCLE_1)
	s_or_b32 exec_lo, exec_lo, s7
.LBB31_195:
	s_delay_alu instid0(SALU_CYCLE_1)
	s_or_b32 exec_lo, exec_lo, s5
.LBB31_196:
	s_delay_alu instid0(SALU_CYCLE_1)
	s_or_b32 exec_lo, exec_lo, s3
.LBB31_197:
	s_delay_alu instid0(SALU_CYCLE_1) | instskip(SKIP_3) | instid1(VALU_DEP_2)
	s_or_b32 exec_lo, exec_lo, s2
	v_dual_mul_f32 v54, v12, v51 :: v_dual_mov_b32 v51, 7
	v_mov_b32_e32 v53, 7
	s_mov_b32 s2, exec_lo
	v_cmpx_nle_f32_e64 0x40a00000, |v54|
	s_cbranch_execz .LBB31_209
; %bb.198:
	v_mov_b32_e32 v53, 6
	s_mov_b32 s3, exec_lo
	v_cmpx_nle_f32_e64 0x40600000, |v54|
	s_cbranch_execz .LBB31_208
; %bb.199:
	;; [unrolled: 5-line block ×5, first 2 shown]
	v_mov_b32_e32 v53, 2
	s_mov_b32 s9, exec_lo
	v_cmpx_nle_f32_e64 0x3f400000, |v54|
; %bb.203:
	v_cmp_le_f32_e64 s10, 0x3e800000, |v54|
	s_delay_alu instid0(VALU_DEP_1)
	v_cndmask_b32_e64 v53, 0, 1, s10
; %bb.204:
	s_or_b32 exec_lo, exec_lo, s9
.LBB31_205:
	s_delay_alu instid0(SALU_CYCLE_1)
	s_or_b32 exec_lo, exec_lo, s8
.LBB31_206:
	s_delay_alu instid0(SALU_CYCLE_1)
	s_or_b32 exec_lo, exec_lo, s7
.LBB31_207:
	s_delay_alu instid0(SALU_CYCLE_1)
	s_or_b32 exec_lo, exec_lo, s5
.LBB31_208:
	s_delay_alu instid0(SALU_CYCLE_1)
	s_or_b32 exec_lo, exec_lo, s3
.LBB31_209:
	s_delay_alu instid0(SALU_CYCLE_1) | instskip(SKIP_2) | instid1(VALU_DEP_1)
	s_or_b32 exec_lo, exec_lo, s2
	v_mul_f32_e32 v52, v12, v52
	s_mov_b32 s2, exec_lo
	v_cmpx_nle_f32_e64 0x40a00000, |v52|
	s_cbranch_execz .LBB31_221
; %bb.210:
	v_mov_b32_e32 v51, 6
	s_mov_b32 s3, exec_lo
	v_cmpx_nle_f32_e64 0x40600000, |v52|
	s_cbranch_execz .LBB31_220
; %bb.211:
	v_mov_b32_e32 v51, 5
	;; [unrolled: 5-line block ×5, first 2 shown]
	s_mov_b32 s9, exec_lo
	v_cmpx_nle_f32_e64 0x3f400000, |v52|
; %bb.215:
	v_cmp_le_f32_e64 s10, 0x3e800000, |v52|
	s_delay_alu instid0(VALU_DEP_1)
	v_cndmask_b32_e64 v51, 0, 1, s10
; %bb.216:
	s_or_b32 exec_lo, exec_lo, s9
.LBB31_217:
	s_delay_alu instid0(SALU_CYCLE_1)
	s_or_b32 exec_lo, exec_lo, s8
.LBB31_218:
	s_delay_alu instid0(SALU_CYCLE_1)
	s_or_b32 exec_lo, exec_lo, s7
.LBB31_219:
	s_delay_alu instid0(SALU_CYCLE_1)
	s_or_b32 exec_lo, exec_lo, s5
.LBB31_220:
	s_delay_alu instid0(SALU_CYCLE_1)
	s_or_b32 exec_lo, exec_lo, s3
.LBB31_221:
	s_delay_alu instid0(SALU_CYCLE_1) | instskip(SKIP_3) | instid1(VALU_DEP_2)
	s_or_b32 exec_lo, exec_lo, s2
	v_dual_mul_f32 v55, v12, v48 :: v_dual_mov_b32 v48, 7
	v_mov_b32_e32 v56, 7
	s_mov_b32 s2, exec_lo
	v_cmpx_nle_f32_e64 0x40a00000, |v55|
	s_cbranch_execz .LBB31_233
; %bb.222:
	v_mov_b32_e32 v56, 6
	s_mov_b32 s3, exec_lo
	v_cmpx_nle_f32_e64 0x40600000, |v55|
	s_cbranch_execz .LBB31_232
; %bb.223:
	;; [unrolled: 5-line block ×5, first 2 shown]
	v_mov_b32_e32 v56, 2
	s_mov_b32 s9, exec_lo
	v_cmpx_nle_f32_e64 0x3f400000, |v55|
; %bb.227:
	v_cmp_le_f32_e64 s10, 0x3e800000, |v55|
	s_delay_alu instid0(VALU_DEP_1)
	v_cndmask_b32_e64 v56, 0, 1, s10
; %bb.228:
	s_or_b32 exec_lo, exec_lo, s9
.LBB31_229:
	s_delay_alu instid0(SALU_CYCLE_1)
	s_or_b32 exec_lo, exec_lo, s8
.LBB31_230:
	s_delay_alu instid0(SALU_CYCLE_1)
	s_or_b32 exec_lo, exec_lo, s7
.LBB31_231:
	s_delay_alu instid0(SALU_CYCLE_1)
	s_or_b32 exec_lo, exec_lo, s5
.LBB31_232:
	s_delay_alu instid0(SALU_CYCLE_1)
	s_or_b32 exec_lo, exec_lo, s3
.LBB31_233:
	s_delay_alu instid0(SALU_CYCLE_1) | instskip(SKIP_2) | instid1(VALU_DEP_1)
	s_or_b32 exec_lo, exec_lo, s2
	v_mul_f32_e32 v46, v12, v46
	s_mov_b32 s2, exec_lo
	v_cmpx_nle_f32_e64 0x40a00000, |v46|
	s_cbranch_execz .LBB31_245
; %bb.234:
	v_mov_b32_e32 v48, 6
	s_mov_b32 s3, exec_lo
	v_cmpx_nle_f32_e64 0x40600000, |v46|
	s_cbranch_execz .LBB31_244
; %bb.235:
	v_mov_b32_e32 v48, 5
	;; [unrolled: 5-line block ×5, first 2 shown]
	s_mov_b32 s9, exec_lo
	v_cmpx_nle_f32_e64 0x3f400000, |v46|
; %bb.239:
	v_cmp_le_f32_e64 s10, 0x3e800000, |v46|
	s_delay_alu instid0(VALU_DEP_1)
	v_cndmask_b32_e64 v48, 0, 1, s10
; %bb.240:
	s_or_b32 exec_lo, exec_lo, s9
.LBB31_241:
	s_delay_alu instid0(SALU_CYCLE_1)
	s_or_b32 exec_lo, exec_lo, s8
.LBB31_242:
	s_delay_alu instid0(SALU_CYCLE_1)
	s_or_b32 exec_lo, exec_lo, s7
.LBB31_243:
	s_delay_alu instid0(SALU_CYCLE_1)
	s_or_b32 exec_lo, exec_lo, s5
.LBB31_244:
	s_delay_alu instid0(SALU_CYCLE_1)
	s_or_b32 exec_lo, exec_lo, s3
.LBB31_245:
	s_delay_alu instid0(SALU_CYCLE_1) | instskip(SKIP_3) | instid1(VALU_DEP_2)
	s_or_b32 exec_lo, exec_lo, s2
	v_dual_mul_f32 v58, v12, v41 :: v_dual_mov_b32 v41, 7
	v_mov_b32_e32 v57, 7
	s_mov_b32 s2, exec_lo
	v_cmpx_nle_f32_e64 0x40a00000, |v58|
	s_cbranch_execz .LBB31_257
; %bb.246:
	v_mov_b32_e32 v57, 6
	s_mov_b32 s3, exec_lo
	v_cmpx_nle_f32_e64 0x40600000, |v58|
	s_cbranch_execz .LBB31_256
; %bb.247:
	;; [unrolled: 5-line block ×5, first 2 shown]
	v_mov_b32_e32 v57, 2
	s_mov_b32 s9, exec_lo
	v_cmpx_nle_f32_e64 0x3f400000, |v58|
; %bb.251:
	v_cmp_le_f32_e64 s10, 0x3e800000, |v58|
	s_delay_alu instid0(VALU_DEP_1)
	v_cndmask_b32_e64 v57, 0, 1, s10
; %bb.252:
	s_or_b32 exec_lo, exec_lo, s9
.LBB31_253:
	s_delay_alu instid0(SALU_CYCLE_1)
	s_or_b32 exec_lo, exec_lo, s8
.LBB31_254:
	s_delay_alu instid0(SALU_CYCLE_1)
	s_or_b32 exec_lo, exec_lo, s7
.LBB31_255:
	s_delay_alu instid0(SALU_CYCLE_1)
	s_or_b32 exec_lo, exec_lo, s5
.LBB31_256:
	s_delay_alu instid0(SALU_CYCLE_1)
	s_or_b32 exec_lo, exec_lo, s3
.LBB31_257:
	s_delay_alu instid0(SALU_CYCLE_1) | instskip(SKIP_2) | instid1(VALU_DEP_1)
	s_or_b32 exec_lo, exec_lo, s2
	v_mul_f32_e32 v39, v12, v39
	s_mov_b32 s2, exec_lo
	v_cmpx_nle_f32_e64 0x40a00000, |v39|
	s_cbranch_execz .LBB31_269
; %bb.258:
	v_mov_b32_e32 v41, 6
	s_mov_b32 s3, exec_lo
	v_cmpx_nle_f32_e64 0x40600000, |v39|
	s_cbranch_execz .LBB31_268
; %bb.259:
	v_mov_b32_e32 v41, 5
	;; [unrolled: 5-line block ×5, first 2 shown]
	s_mov_b32 s9, exec_lo
	v_cmpx_nle_f32_e64 0x3f400000, |v39|
; %bb.263:
	v_cmp_le_f32_e64 s10, 0x3e800000, |v39|
	s_delay_alu instid0(VALU_DEP_1)
	v_cndmask_b32_e64 v41, 0, 1, s10
; %bb.264:
	s_or_b32 exec_lo, exec_lo, s9
.LBB31_265:
	s_delay_alu instid0(SALU_CYCLE_1)
	s_or_b32 exec_lo, exec_lo, s8
.LBB31_266:
	s_delay_alu instid0(SALU_CYCLE_1)
	s_or_b32 exec_lo, exec_lo, s7
.LBB31_267:
	s_delay_alu instid0(SALU_CYCLE_1)
	s_or_b32 exec_lo, exec_lo, s5
.LBB31_268:
	s_delay_alu instid0(SALU_CYCLE_1)
	s_or_b32 exec_lo, exec_lo, s3
.LBB31_269:
	s_delay_alu instid0(SALU_CYCLE_1) | instskip(SKIP_3) | instid1(VALU_DEP_2)
	s_or_b32 exec_lo, exec_lo, s2
	v_dual_mul_f32 v60, v12, v36 :: v_dual_mov_b32 v59, 7
	v_mov_b32_e32 v36, 7
	s_mov_b32 s2, exec_lo
	v_cmpx_nle_f32_e64 0x40a00000, |v60|
	s_cbranch_execz .LBB31_281
; %bb.270:
	v_mov_b32_e32 v59, 6
	s_mov_b32 s3, exec_lo
	v_cmpx_nle_f32_e64 0x40600000, |v60|
	s_cbranch_execz .LBB31_280
; %bb.271:
	;; [unrolled: 5-line block ×5, first 2 shown]
	v_mov_b32_e32 v59, 2
	s_mov_b32 s9, exec_lo
	v_cmpx_nle_f32_e64 0x3f400000, |v60|
; %bb.275:
	v_cmp_le_f32_e64 s10, 0x3e800000, |v60|
	s_delay_alu instid0(VALU_DEP_1)
	v_cndmask_b32_e64 v59, 0, 1, s10
; %bb.276:
	s_or_b32 exec_lo, exec_lo, s9
.LBB31_277:
	s_delay_alu instid0(SALU_CYCLE_1)
	s_or_b32 exec_lo, exec_lo, s8
.LBB31_278:
	s_delay_alu instid0(SALU_CYCLE_1)
	s_or_b32 exec_lo, exec_lo, s7
.LBB31_279:
	s_delay_alu instid0(SALU_CYCLE_1)
	s_or_b32 exec_lo, exec_lo, s5
.LBB31_280:
	s_delay_alu instid0(SALU_CYCLE_1)
	s_or_b32 exec_lo, exec_lo, s3
.LBB31_281:
	s_delay_alu instid0(SALU_CYCLE_1) | instskip(SKIP_2) | instid1(VALU_DEP_1)
	s_or_b32 exec_lo, exec_lo, s2
	v_mul_f32_e32 v33, v12, v33
	s_mov_b32 s2, exec_lo
	v_cmpx_nle_f32_e64 0x40a00000, |v33|
	s_cbranch_execz .LBB31_293
; %bb.282:
	v_mov_b32_e32 v36, 6
	s_mov_b32 s3, exec_lo
	v_cmpx_nle_f32_e64 0x40600000, |v33|
	s_cbranch_execz .LBB31_292
; %bb.283:
	v_mov_b32_e32 v36, 5
	;; [unrolled: 5-line block ×5, first 2 shown]
	s_mov_b32 s9, exec_lo
	v_cmpx_nle_f32_e64 0x3f400000, |v33|
; %bb.287:
	v_cmp_le_f32_e64 s10, 0x3e800000, |v33|
	s_delay_alu instid0(VALU_DEP_1)
	v_cndmask_b32_e64 v36, 0, 1, s10
; %bb.288:
	s_or_b32 exec_lo, exec_lo, s9
.LBB31_289:
	s_delay_alu instid0(SALU_CYCLE_1)
	s_or_b32 exec_lo, exec_lo, s8
.LBB31_290:
	s_delay_alu instid0(SALU_CYCLE_1)
	s_or_b32 exec_lo, exec_lo, s7
.LBB31_291:
	s_delay_alu instid0(SALU_CYCLE_1)
	s_or_b32 exec_lo, exec_lo, s5
.LBB31_292:
	s_delay_alu instid0(SALU_CYCLE_1)
	s_or_b32 exec_lo, exec_lo, s3
.LBB31_293:
	s_delay_alu instid0(SALU_CYCLE_1) | instskip(SKIP_3) | instid1(VALU_DEP_2)
	s_or_b32 exec_lo, exec_lo, s2
	v_dual_mul_f32 v62, v12, v31 :: v_dual_mov_b32 v31, 7
	v_mov_b32_e32 v61, 7
	s_mov_b32 s2, exec_lo
	v_cmpx_nle_f32_e64 0x40a00000, |v62|
	s_cbranch_execz .LBB31_305
; %bb.294:
	v_mov_b32_e32 v61, 6
	s_mov_b32 s3, exec_lo
	v_cmpx_nle_f32_e64 0x40600000, |v62|
	s_cbranch_execz .LBB31_304
; %bb.295:
	;; [unrolled: 5-line block ×5, first 2 shown]
	v_mov_b32_e32 v61, 2
	s_mov_b32 s9, exec_lo
	v_cmpx_nle_f32_e64 0x3f400000, |v62|
; %bb.299:
	v_cmp_le_f32_e64 s10, 0x3e800000, |v62|
	s_delay_alu instid0(VALU_DEP_1)
	v_cndmask_b32_e64 v61, 0, 1, s10
; %bb.300:
	s_or_b32 exec_lo, exec_lo, s9
.LBB31_301:
	s_delay_alu instid0(SALU_CYCLE_1)
	s_or_b32 exec_lo, exec_lo, s8
.LBB31_302:
	s_delay_alu instid0(SALU_CYCLE_1)
	s_or_b32 exec_lo, exec_lo, s7
.LBB31_303:
	s_delay_alu instid0(SALU_CYCLE_1)
	s_or_b32 exec_lo, exec_lo, s5
.LBB31_304:
	s_delay_alu instid0(SALU_CYCLE_1)
	s_or_b32 exec_lo, exec_lo, s3
.LBB31_305:
	s_delay_alu instid0(SALU_CYCLE_1) | instskip(SKIP_2) | instid1(VALU_DEP_1)
	s_or_b32 exec_lo, exec_lo, s2
	v_mul_f32_e32 v27, v12, v27
	s_mov_b32 s2, exec_lo
	v_cmpx_nle_f32_e64 0x40a00000, |v27|
	s_cbranch_execz .LBB31_317
; %bb.306:
	v_mov_b32_e32 v31, 6
	s_mov_b32 s3, exec_lo
	v_cmpx_nle_f32_e64 0x40600000, |v27|
	s_cbranch_execz .LBB31_316
; %bb.307:
	v_mov_b32_e32 v31, 5
	;; [unrolled: 5-line block ×5, first 2 shown]
	s_mov_b32 s9, exec_lo
	v_cmpx_nle_f32_e64 0x3f400000, |v27|
; %bb.311:
	v_cmp_le_f32_e64 s10, 0x3e800000, |v27|
	s_delay_alu instid0(VALU_DEP_1)
	v_cndmask_b32_e64 v31, 0, 1, s10
; %bb.312:
	s_or_b32 exec_lo, exec_lo, s9
.LBB31_313:
	s_delay_alu instid0(SALU_CYCLE_1)
	s_or_b32 exec_lo, exec_lo, s8
.LBB31_314:
	s_delay_alu instid0(SALU_CYCLE_1)
	s_or_b32 exec_lo, exec_lo, s7
.LBB31_315:
	s_delay_alu instid0(SALU_CYCLE_1)
	s_or_b32 exec_lo, exec_lo, s5
.LBB31_316:
	s_delay_alu instid0(SALU_CYCLE_1)
	s_or_b32 exec_lo, exec_lo, s3
.LBB31_317:
	s_delay_alu instid0(SALU_CYCLE_1) | instskip(SKIP_3) | instid1(VALU_DEP_2)
	s_or_b32 exec_lo, exec_lo, s2
	v_dual_mul_f32 v64, v12, v25 :: v_dual_mov_b32 v25, 7
	v_mov_b32_e32 v63, 7
	s_mov_b32 s2, exec_lo
	v_cmpx_nle_f32_e64 0x40a00000, |v64|
	s_cbranch_execz .LBB31_329
; %bb.318:
	v_mov_b32_e32 v63, 6
	s_mov_b32 s3, exec_lo
	v_cmpx_nle_f32_e64 0x40600000, |v64|
	s_cbranch_execz .LBB31_328
; %bb.319:
	;; [unrolled: 5-line block ×5, first 2 shown]
	v_mov_b32_e32 v63, 2
	s_mov_b32 s9, exec_lo
	v_cmpx_nle_f32_e64 0x3f400000, |v64|
; %bb.323:
	v_cmp_le_f32_e64 s10, 0x3e800000, |v64|
	s_delay_alu instid0(VALU_DEP_1)
	v_cndmask_b32_e64 v63, 0, 1, s10
; %bb.324:
	s_or_b32 exec_lo, exec_lo, s9
.LBB31_325:
	s_delay_alu instid0(SALU_CYCLE_1)
	s_or_b32 exec_lo, exec_lo, s8
.LBB31_326:
	s_delay_alu instid0(SALU_CYCLE_1)
	s_or_b32 exec_lo, exec_lo, s7
.LBB31_327:
	s_delay_alu instid0(SALU_CYCLE_1)
	s_or_b32 exec_lo, exec_lo, s5
.LBB31_328:
	s_delay_alu instid0(SALU_CYCLE_1)
	s_or_b32 exec_lo, exec_lo, s3
.LBB31_329:
	s_delay_alu instid0(SALU_CYCLE_1) | instskip(SKIP_2) | instid1(VALU_DEP_1)
	s_or_b32 exec_lo, exec_lo, s2
	v_mul_f32_e32 v21, v12, v21
	s_mov_b32 s2, exec_lo
	v_cmpx_nle_f32_e64 0x40a00000, |v21|
	s_cbranch_execz .LBB31_341
; %bb.330:
	v_mov_b32_e32 v25, 6
	s_mov_b32 s3, exec_lo
	v_cmpx_nle_f32_e64 0x40600000, |v21|
	s_cbranch_execz .LBB31_340
; %bb.331:
	v_mov_b32_e32 v25, 5
	;; [unrolled: 5-line block ×5, first 2 shown]
	s_mov_b32 s9, exec_lo
	v_cmpx_nle_f32_e64 0x3f400000, |v21|
; %bb.335:
	v_cmp_le_f32_e64 s10, 0x3e800000, |v21|
	s_delay_alu instid0(VALU_DEP_1)
	v_cndmask_b32_e64 v25, 0, 1, s10
; %bb.336:
	s_or_b32 exec_lo, exec_lo, s9
.LBB31_337:
	s_delay_alu instid0(SALU_CYCLE_1)
	s_or_b32 exec_lo, exec_lo, s8
.LBB31_338:
	s_delay_alu instid0(SALU_CYCLE_1)
	s_or_b32 exec_lo, exec_lo, s7
.LBB31_339:
	s_delay_alu instid0(SALU_CYCLE_1)
	s_or_b32 exec_lo, exec_lo, s5
.LBB31_340:
	s_delay_alu instid0(SALU_CYCLE_1)
	s_or_b32 exec_lo, exec_lo, s3
.LBB31_341:
	s_delay_alu instid0(SALU_CYCLE_1) | instskip(SKIP_3) | instid1(VALU_DEP_2)
	s_or_b32 exec_lo, exec_lo, s2
	v_dual_mul_f32 v65, v12, v19 :: v_dual_mov_b32 v66, 7
	v_mov_b32_e32 v19, 7
	s_mov_b32 s2, exec_lo
	v_cmpx_nle_f32_e64 0x40a00000, |v65|
	s_cbranch_execz .LBB31_353
; %bb.342:
	v_mov_b32_e32 v66, 6
	s_mov_b32 s3, exec_lo
	v_cmpx_nle_f32_e64 0x40600000, |v65|
	s_cbranch_execz .LBB31_352
; %bb.343:
	;; [unrolled: 5-line block ×5, first 2 shown]
	v_mov_b32_e32 v66, 2
	s_mov_b32 s9, exec_lo
	v_cmpx_nle_f32_e64 0x3f400000, |v65|
; %bb.347:
	v_cmp_le_f32_e64 s10, 0x3e800000, |v65|
	s_delay_alu instid0(VALU_DEP_1)
	v_cndmask_b32_e64 v66, 0, 1, s10
; %bb.348:
	s_or_b32 exec_lo, exec_lo, s9
.LBB31_349:
	s_delay_alu instid0(SALU_CYCLE_1)
	s_or_b32 exec_lo, exec_lo, s8
.LBB31_350:
	s_delay_alu instid0(SALU_CYCLE_1)
	s_or_b32 exec_lo, exec_lo, s7
.LBB31_351:
	s_delay_alu instid0(SALU_CYCLE_1)
	s_or_b32 exec_lo, exec_lo, s5
.LBB31_352:
	s_delay_alu instid0(SALU_CYCLE_1)
	s_or_b32 exec_lo, exec_lo, s3
.LBB31_353:
	s_delay_alu instid0(SALU_CYCLE_1) | instskip(SKIP_2) | instid1(VALU_DEP_1)
	s_or_b32 exec_lo, exec_lo, s2
	v_mul_f32_e32 v15, v12, v15
	s_mov_b32 s2, exec_lo
	v_cmpx_nle_f32_e64 0x40a00000, |v15|
	s_cbranch_execz .LBB31_365
; %bb.354:
	v_mov_b32_e32 v19, 6
	s_mov_b32 s3, exec_lo
	v_cmpx_nle_f32_e64 0x40600000, |v15|
	s_cbranch_execz .LBB31_364
; %bb.355:
	v_mov_b32_e32 v19, 5
	;; [unrolled: 5-line block ×5, first 2 shown]
	s_mov_b32 s9, exec_lo
	v_cmpx_nle_f32_e64 0x3f400000, |v15|
; %bb.359:
	v_cmp_le_f32_e64 s10, 0x3e800000, |v15|
	s_delay_alu instid0(VALU_DEP_1)
	v_cndmask_b32_e64 v19, 0, 1, s10
; %bb.360:
	s_or_b32 exec_lo, exec_lo, s9
.LBB31_361:
	s_delay_alu instid0(SALU_CYCLE_1)
	s_or_b32 exec_lo, exec_lo, s8
.LBB31_362:
	s_delay_alu instid0(SALU_CYCLE_1)
	s_or_b32 exec_lo, exec_lo, s7
.LBB31_363:
	s_delay_alu instid0(SALU_CYCLE_1)
	s_or_b32 exec_lo, exec_lo, s5
.LBB31_364:
	s_delay_alu instid0(SALU_CYCLE_1)
	s_or_b32 exec_lo, exec_lo, s3
.LBB31_365:
	s_delay_alu instid0(SALU_CYCLE_1) | instskip(SKIP_4) | instid1(VALU_DEP_2)
	s_or_b32 exec_lo, exec_lo, s2
	s_load_b64 s[2:3], s[0:1], 0x10
	v_dual_mul_f32 v67, v12, v13 :: v_dual_mov_b32 v68, 7
	v_mov_b32_e32 v13, 7
	s_mov_b32 s5, exec_lo
	v_cmpx_nle_f32_e64 0x40a00000, |v67|
	s_cbranch_execz .LBB31_377
; %bb.366:
	v_mov_b32_e32 v68, 6
	s_mov_b32 s7, exec_lo
	v_cmpx_nle_f32_e64 0x40600000, |v67|
	s_cbranch_execz .LBB31_376
; %bb.367:
	;; [unrolled: 5-line block ×5, first 2 shown]
	v_mov_b32_e32 v68, 2
	s_mov_b32 s11, exec_lo
	v_cmpx_nle_f32_e64 0x3f400000, |v67|
; %bb.371:
	v_cmp_le_f32_e64 s12, 0x3e800000, |v67|
	s_delay_alu instid0(VALU_DEP_1)
	v_cndmask_b32_e64 v68, 0, 1, s12
; %bb.372:
	s_or_b32 exec_lo, exec_lo, s11
.LBB31_373:
	s_delay_alu instid0(SALU_CYCLE_1)
	s_or_b32 exec_lo, exec_lo, s10
.LBB31_374:
	s_delay_alu instid0(SALU_CYCLE_1)
	s_or_b32 exec_lo, exec_lo, s9
.LBB31_375:
	s_delay_alu instid0(SALU_CYCLE_1)
	s_or_b32 exec_lo, exec_lo, s8
.LBB31_376:
	s_delay_alu instid0(SALU_CYCLE_1)
	s_or_b32 exec_lo, exec_lo, s7
.LBB31_377:
	s_delay_alu instid0(SALU_CYCLE_1) | instskip(SKIP_3) | instid1(VALU_DEP_1)
	s_or_b32 exec_lo, exec_lo, s5
	s_load_b64 s[0:1], s[0:1], 0x8
	v_mul_f32_e32 v8, v12, v8
	s_mov_b32 s5, exec_lo
	v_cmpx_nle_f32_e64 0x40a00000, |v8|
	s_cbranch_execz .LBB31_389
; %bb.378:
	v_mov_b32_e32 v13, 6
	s_mov_b32 s7, exec_lo
	v_cmpx_nle_f32_e64 0x40600000, |v8|
	s_cbranch_execz .LBB31_388
; %bb.379:
	v_mov_b32_e32 v13, 5
	;; [unrolled: 5-line block ×5, first 2 shown]
	s_mov_b32 s11, exec_lo
	v_cmpx_nle_f32_e64 0x3f400000, |v8|
; %bb.383:
	v_cmp_le_f32_e64 s12, 0x3e800000, |v8|
	s_delay_alu instid0(VALU_DEP_1)
	v_cndmask_b32_e64 v13, 0, 1, s12
; %bb.384:
	s_or_b32 exec_lo, exec_lo, s11
.LBB31_385:
	s_delay_alu instid0(SALU_CYCLE_1)
	s_or_b32 exec_lo, exec_lo, s10
.LBB31_386:
	s_delay_alu instid0(SALU_CYCLE_1)
	s_or_b32 exec_lo, exec_lo, s9
.LBB31_387:
	s_delay_alu instid0(SALU_CYCLE_1)
	s_or_b32 exec_lo, exec_lo, s8
.LBB31_388:
	s_delay_alu instid0(SALU_CYCLE_1)
	s_or_b32 exec_lo, exec_lo, s7
.LBB31_389:
	s_delay_alu instid0(SALU_CYCLE_1)
	s_or_b32 exec_lo, exec_lo, s5
	v_cmp_gt_f32_e32 vcc_lo, 0, v67
	v_lshlrev_b16 v6, 4, v6
	v_lshlrev_b16 v25, 4, v25
	;; [unrolled: 1-line block ×4, first 2 shown]
	v_cndmask_b32_e64 v12, 0, 1, vcc_lo
	v_cmp_gt_f32_e32 vcc_lo, 0, v65
	s_lshr_b32 s5, s4, 31
	s_delay_alu instid0(SALU_CYCLE_1) | instskip(NEXT) | instid1(VALU_DEP_2)
	s_add_i32 s4, s4, s5
	v_lshlrev_b16 v12, 3, v12
	v_cndmask_b32_e64 v65, 0, 1, vcc_lo
	v_cmp_gt_f32_e32 vcc_lo, 0, v64
	s_ashr_i32 s4, s4, 1
	s_delay_alu instid0(SALU_CYCLE_1) | instskip(NEXT) | instid1(VALU_DEP_2)
	s_ashr_i32 s5, s4, 31
	v_lshlrev_b16 v65, 3, v65
	v_cndmask_b32_e64 v64, 0, 1, vcc_lo
	v_cmp_gt_f32_e32 vcc_lo, 0, v62
	v_or_b32_e32 v12, v12, v68
	v_mul_lo_u32 v1, v1, s4
	v_or_b32_e32 v65, v65, v66
	v_lshlrev_b16 v64, 3, v64
	v_cndmask_b32_e64 v62, 0, 1, vcc_lo
	v_cmp_gt_f32_e32 vcc_lo, 0, v60
	s_delay_alu instid0(VALU_DEP_3) | instskip(NEXT) | instid1(VALU_DEP_3)
	v_or_b32_e32 v63, v64, v63
	v_lshlrev_b16 v62, 3, v62
	v_cndmask_b32_e64 v60, 0, 1, vcc_lo
	v_cmp_gt_f32_e32 vcc_lo, 0, v58
	s_delay_alu instid0(VALU_DEP_3) | instskip(NEXT) | instid1(VALU_DEP_3)
	;; [unrolled: 5-line block ×10, first 2 shown]
	v_or_b32_e32 v29, v29, v30
	v_lshlrev_b16 v24, 3, v24
	v_cndmask_b32_e64 v18, 0, 1, vcc_lo
	v_cmp_gt_f32_e32 vcc_lo, 0, v5
	s_delay_alu instid0(VALU_DEP_2) | instskip(SKIP_2) | instid1(VALU_DEP_2)
	v_lshlrev_b16 v18, 3, v18
	v_cndmask_b32_e64 v5, 0, 1, vcc_lo
	v_cmp_gt_f32_e32 vcc_lo, 0, v7
	v_lshlrev_b16 v5, 3, v5
	v_cndmask_b32_e64 v7, 0, 1, vcc_lo
	v_cmp_gt_f32_e32 vcc_lo, 0, v10
	s_delay_alu instid0(VALU_DEP_3) | instskip(NEXT) | instid1(VALU_DEP_3)
	v_or_b32_e32 v4, v5, v4
	v_lshlrev_b16 v7, 7, v7
	v_cndmask_b32_e64 v10, 0, 1, vcc_lo
	v_cmp_gt_f32_e32 vcc_lo, 0, v14
	s_delay_alu instid0(VALU_DEP_3)
	v_or_b32_e32 v5, v7, v6
	v_lshlrev_b16 v6, 4, v11
	v_cndmask_b32_e64 v14, 0, 1, vcc_lo
	v_cmp_gt_f32_e32 vcc_lo, 0, v20
	v_lshlrev_b16 v10, 3, v10
	v_or_b32_e32 v4, v5, v4
	v_or_b32_e32 v11, v24, v23
	v_lshlrev_b16 v7, 7, v14
	v_or_b32_e32 v14, v18, v17
	v_or_b32_e32 v9, v10, v9
	v_lshlrev_b16 v10, 4, v22
	v_lshlrev_b16 v22, 4, v34
	v_or_b32_e32 v5, v7, v6
	v_cndmask_b32_e64 v6, 0, 1, vcc_lo
	v_cmp_gt_f32_e32 vcc_lo, 0, v26
	v_lshlrev_b16 v23, 4, v40
	s_delay_alu instid0(VALU_DEP_4)
	v_or_b32_e32 v9, v5, v9
	v_lshlrev_b16 v5, 4, v16
	v_cndmask_b32_e64 v7, 0, 1, vcc_lo
	v_cmp_gt_f32_e32 vcc_lo, 0, v32
	v_lshlrev_b16 v6, 7, v6
	v_lshlrev_b16 v16, 4, v28
	;; [unrolled: 1-line block ×4, first 2 shown]
	v_cndmask_b32_e64 v17, 0, 1, vcc_lo
	v_cmp_gt_f32_e32 vcc_lo, 0, v38
	v_or_b32_e32 v5, v6, v5
	v_or_b32_e32 v4, v4, v9
	;; [unrolled: 1-line block ×3, first 2 shown]
	v_lshlrev_b16 v17, 7, v17
	v_cndmask_b32_e64 v18, 0, 1, vcc_lo
	v_cmp_gt_f32_e32 vcc_lo, 0, v42
	v_or_b32_e32 v14, v5, v14
	v_or_b32_e32 v11, v6, v11
	;; [unrolled: 1-line block ×3, first 2 shown]
	v_lshlrev_b16 v18, 7, v18
	v_cndmask_b32_e64 v20, 0, 1, vcc_lo
	v_cmp_gt_f32_e32 vcc_lo, 0, v52
	v_lshlrev_b16 v6, 4, v51
	v_lshlrev_b16 v5, 4, v45
	v_or_b32_e32 v10, v18, v22
	v_lshlrev_b16 v20, 7, v20
	v_cndmask_b32_e64 v17, 0, 1, vcc_lo
	v_cmp_gt_f32_e32 vcc_lo, 0, v46
	v_lshlrev_b16 v22, 4, v48
	v_or_b32_e32 v10, v10, v35
	v_or_b32_e32 v16, v20, v23
	v_lshlrev_b16 v17, 7, v17
	v_cndmask_b32_e64 v18, 0, 1, vcc_lo
	v_cmp_gt_f32_e32 vcc_lo, 0, v39
	v_lshlrev_b16 v23, 4, v41
	v_or_b32_e32 v7, v7, v29
	v_or_b32_e32 v6, v17, v6
	v_lshlrev_b16 v18, 7, v18
	v_cndmask_b32_e64 v20, 0, 1, vcc_lo
	v_cmp_gt_f32_e32 vcc_lo, 0, v47
	v_or_b32_e32 v16, v16, v43
	v_or_b32_e32 v6, v6, v53
	;; [unrolled: 1-line block ×3, first 2 shown]
	v_lshlrev_b16 v20, 7, v20
	v_cndmask_b32_e64 v24, 0, 1, vcc_lo
	v_cmp_gt_f32_e32 vcc_lo, 0, v33
	v_lshlrev_b16 v22, 4, v36
	v_or_b32_e32 v17, v17, v55
	v_or_b32_e32 v18, v20, v23
	v_lshlrev_b16 v23, 4, v31
	v_cndmask_b32_e64 v20, 0, 1, vcc_lo
	v_cmp_gt_f32_e32 vcc_lo, 0, v21
	v_lshlrev_b16 v17, 8, v17
	v_or_b32_e32 v18, v18, v57
	v_lshlrev_b16 v11, 8, v11
	v_lshlrev_b16 v20, 7, v20
	v_cndmask_b32_e64 v21, 0, 1, vcc_lo
	v_cmp_gt_f32_e32 vcc_lo, 0, v27
	v_or_b32_e32 v6, v6, v17
	s_delay_alu instid0(VALU_DEP_3) | instskip(SKIP_2) | instid1(VALU_DEP_3)
	v_lshlrev_b16 v21, 7, v21
	v_cndmask_b32_e64 v26, 0, 1, vcc_lo
	v_cmp_gt_f32_e32 vcc_lo, 0, v8
	v_or_b32_e32 v21, v21, v25
	s_delay_alu instid0(VALU_DEP_3) | instskip(SKIP_2) | instid1(VALU_DEP_2)
	v_lshlrev_b16 v26, 7, v26
	v_cndmask_b32_e64 v8, 0, 1, vcc_lo
	v_cmp_gt_f32_e32 vcc_lo, 0, v15
	v_lshlrev_b16 v8, 7, v8
	v_cndmask_b32_e64 v15, 0, 1, vcc_lo
	s_delay_alu instid0(VALU_DEP_2) | instskip(NEXT) | instid1(VALU_DEP_2)
	v_or_b32_e32 v8, v8, v13
	v_lshlrev_b16 v15, 7, v15
	v_or_b32_e32 v13, v20, v22
	v_or_b32_e32 v20, v26, v23
	s_delay_alu instid0(VALU_DEP_4) | instskip(NEXT) | instid1(VALU_DEP_4)
	v_or_b32_e32 v8, v8, v12
	v_or_b32_e32 v15, v15, v19
	;; [unrolled: 1-line block ×5, first 2 shown]
	v_lshlrev_b16 v8, 8, v8
	v_or_b32_e32 v15, v15, v65
	v_lshlrev_b16 v19, 8, v19
	v_lshlrev_b16 v12, 8, v12
	;; [unrolled: 1-line block ×3, first 2 shown]
	s_delay_alu instid0(VALU_DEP_4) | instskip(NEXT) | instid1(VALU_DEP_4)
	v_or_b32_e32 v8, v15, v8
	v_or_b32_e32 v13, v13, v19
	s_delay_alu instid0(VALU_DEP_4) | instskip(NEXT) | instid1(VALU_DEP_4)
	v_or_b32_e32 v12, v18, v12
	v_or_b32_e32 v5, v20, v5
	v_ashrrev_i32_e32 v18, 31, v0
	v_lshlrev_b32_e32 v8, 16, v8
	v_and_b32_e32 v13, 0xffff, v13
	v_and_b32_e32 v15, 0xffff, v6
	v_lshlrev_b32_e32 v12, 16, v12
	v_or_b32_e32 v17, v5, v49
	v_lshrrev_b32_e32 v19, 23, v3
	v_or_b32_e32 v6, v13, v8
	v_lshrrev_b32_e32 v8, 27, v18
	v_or_b32_e32 v5, v15, v12
	v_lshlrev_b16 v3, 8, v10
	v_lshlrev_b16 v10, 8, v17
	s_delay_alu instid0(VALU_DEP_4) | instskip(SKIP_1) | instid1(VALU_DEP_4)
	v_add_nc_u32_e32 v12, v0, v8
	v_or_b32_e32 v8, v14, v11
	v_or_b32_e32 v3, v7, v3
	s_delay_alu instid0(VALU_DEP_4)
	v_or_b32_e32 v7, v16, v10
	v_and_b32_e32 v10, 0xffff, v4
	v_and_b32_e32 v9, 0xffe0, v12
	v_lshlrev_b32_e32 v8, 16, v8
	v_and_b32_e32 v3, 0xffff, v3
	v_lshlrev_b32_e32 v7, 16, v7
	v_lshrrev_b32_e32 v11, 28, v18
	v_sub_nc_u32_e32 v9, v0, v9
	v_lshlrev_b32_e32 v14, 8, v2
	s_delay_alu instid0(VALU_DEP_4) | instskip(SKIP_1) | instid1(VALU_DEP_4)
	v_or_b32_e32 v4, v3, v7
	v_or_b32_e32 v3, v10, v8
	v_bfe_i32 v7, v9, 0, 8
	v_lshlrev_b32_e32 v8, 4, v0
	v_and_b32_e32 v10, -16, v0
	v_add_nc_u32_e32 v11, v0, v11
	s_delay_alu instid0(VALU_DEP_4) | instskip(NEXT) | instid1(VALU_DEP_4)
	v_lshrrev_b16 v7, 11, v7
	v_and_b32_e32 v13, 0xf0, v8
	s_delay_alu instid0(VALU_DEP_4) | instskip(NEXT) | instid1(VALU_DEP_4)
	v_mul_lo_u32 v15, v10, s5
	v_and_b32_e32 v11, 0x3ffffff0, v11
	s_delay_alu instid0(VALU_DEP_4)
	v_and_b32_e32 v16, 15, v7
	s_waitcnt lgkmcnt(0)
	v_mad_u64_u32 v[7:8], null, v10, s4, s[0:1]
	v_lshrrev_b32_e32 v10, 5, v12
	v_lshlrev_b32_e32 v12, 6, v2
	v_add_nc_u16 v9, v9, v16
	v_sub_nc_u32_e32 v0, v0, v11
	v_and_b32_e32 v16, 0x3fffff8, v2
	v_mul_lo_u32 v10, v10, s6
	v_and_b32_e32 v12, 0xc0, v12
	v_bfe_i32 v9, v9, 0, 8
	v_lshrrev_b32_e32 v2, 1, v2
	v_add3_u32 v1, v1, v8, v15
	v_and_b32_e32 v11, 0x7ffffe00, v14
	v_lshl_add_u32 v0, v0, 2, v12
	v_ashrrev_i16 v9, 4, v9
	v_add_lshl_u32 v8, v10, v16, 5
	v_and_b32_e32 v12, 0x100, v14
	s_delay_alu instid0(VALU_DEP_4) | instskip(NEXT) | instid1(VALU_DEP_4)
	v_and_or_b32 v0, v2, 2, v0
	v_bfe_i32 v9, v9, 0, 16
	v_add_co_u32 v2, vcc_lo, v7, v13
	v_add_co_ci_u32_e32 v1, vcc_lo, 0, v1, vcc_lo
	s_delay_alu instid0(VALU_DEP_3) | instskip(NEXT) | instid1(VALU_DEP_3)
	v_add3_u32 v7, v0, v8, v9
	v_add_co_u32 v0, vcc_lo, v2, v11
	s_delay_alu instid0(VALU_DEP_3) | instskip(NEXT) | instid1(VALU_DEP_3)
	v_add_co_ci_u32_e32 v1, vcc_lo, 0, v1, vcc_lo
	v_ashrrev_i32_e32 v2, 31, v7
	s_delay_alu instid0(VALU_DEP_3) | instskip(NEXT) | instid1(VALU_DEP_3)
	v_add_co_u32 v0, vcc_lo, v0, v12
	v_add_co_ci_u32_e32 v1, vcc_lo, 0, v1, vcc_lo
	v_add_co_u32 v7, vcc_lo, s2, v7
	s_delay_alu instid0(VALU_DEP_4)
	v_add_co_ci_u32_e32 v8, vcc_lo, s3, v2, vcc_lo
	global_store_b128 v[0:1], v[3:6], off
	global_store_b8 v[7:8], v19, off
.LBB31_390:
	s_nop 0
	s_sendmsg sendmsg(MSG_DEALLOC_VGPRS)
	s_endpgm
	.section	.rodata,"a",@progbits
	.p2align	6, 0x0
	.amdhsa_kernel _ZN5aiter18quant_mxfp4_kernelI12hip_bfloat16LNS_16MxScaleRoundModeE2ELb1ELb0ELb1EEEvPKT_PhPfliiib
		.amdhsa_group_segment_fixed_size 0
		.amdhsa_private_segment_fixed_size 0
		.amdhsa_kernarg_size 304
		.amdhsa_user_sgpr_count 15
		.amdhsa_user_sgpr_dispatch_ptr 0
		.amdhsa_user_sgpr_queue_ptr 0
		.amdhsa_user_sgpr_kernarg_segment_ptr 1
		.amdhsa_user_sgpr_dispatch_id 0
		.amdhsa_user_sgpr_private_segment_size 0
		.amdhsa_wavefront_size32 1
		.amdhsa_uses_dynamic_stack 0
		.amdhsa_enable_private_segment 0
		.amdhsa_system_sgpr_workgroup_id_x 1
		.amdhsa_system_sgpr_workgroup_id_y 0
		.amdhsa_system_sgpr_workgroup_id_z 0
		.amdhsa_system_sgpr_workgroup_info 0
		.amdhsa_system_vgpr_workitem_id 0
		.amdhsa_next_free_vgpr 69
		.amdhsa_next_free_sgpr 16
		.amdhsa_reserve_vcc 1
		.amdhsa_float_round_mode_32 0
		.amdhsa_float_round_mode_16_64 0
		.amdhsa_float_denorm_mode_32 3
		.amdhsa_float_denorm_mode_16_64 3
		.amdhsa_dx10_clamp 1
		.amdhsa_ieee_mode 1
		.amdhsa_fp16_overflow 0
		.amdhsa_workgroup_processor_mode 1
		.amdhsa_memory_ordered 1
		.amdhsa_forward_progress 0
		.amdhsa_shared_vgpr_count 0
		.amdhsa_exception_fp_ieee_invalid_op 0
		.amdhsa_exception_fp_denorm_src 0
		.amdhsa_exception_fp_ieee_div_zero 0
		.amdhsa_exception_fp_ieee_overflow 0
		.amdhsa_exception_fp_ieee_underflow 0
		.amdhsa_exception_fp_ieee_inexact 0
		.amdhsa_exception_int_div_zero 0
	.end_amdhsa_kernel
	.section	.text._ZN5aiter18quant_mxfp4_kernelI12hip_bfloat16LNS_16MxScaleRoundModeE2ELb1ELb0ELb1EEEvPKT_PhPfliiib,"axG",@progbits,_ZN5aiter18quant_mxfp4_kernelI12hip_bfloat16LNS_16MxScaleRoundModeE2ELb1ELb0ELb1EEEvPKT_PhPfliiib,comdat
.Lfunc_end31:
	.size	_ZN5aiter18quant_mxfp4_kernelI12hip_bfloat16LNS_16MxScaleRoundModeE2ELb1ELb0ELb1EEEvPKT_PhPfliiib, .Lfunc_end31-_ZN5aiter18quant_mxfp4_kernelI12hip_bfloat16LNS_16MxScaleRoundModeE2ELb1ELb0ELb1EEEvPKT_PhPfliiib
                                        ; -- End function
	.section	.AMDGPU.csdata,"",@progbits
; Kernel info:
; codeLenInByte = 10280
; NumSgprs: 18
; NumVgprs: 69
; ScratchSize: 0
; MemoryBound: 0
; FloatMode: 240
; IeeeMode: 1
; LDSByteSize: 0 bytes/workgroup (compile time only)
; SGPRBlocks: 2
; VGPRBlocks: 8
; NumSGPRsForWavesPerEU: 18
; NumVGPRsForWavesPerEU: 69
; Occupancy: 16
; WaveLimiterHint : 0
; COMPUTE_PGM_RSRC2:SCRATCH_EN: 0
; COMPUTE_PGM_RSRC2:USER_SGPR: 15
; COMPUTE_PGM_RSRC2:TRAP_HANDLER: 0
; COMPUTE_PGM_RSRC2:TGID_X_EN: 1
; COMPUTE_PGM_RSRC2:TGID_Y_EN: 0
; COMPUTE_PGM_RSRC2:TGID_Z_EN: 0
; COMPUTE_PGM_RSRC2:TIDIG_COMP_CNT: 0
	.section	.text._ZN5aiter18quant_mxfp4_kernelI12hip_bfloat16LNS_16MxScaleRoundModeE2ELb1ELb0ELb0EEEvPKT_PhPfliiib,"axG",@progbits,_ZN5aiter18quant_mxfp4_kernelI12hip_bfloat16LNS_16MxScaleRoundModeE2ELb1ELb0ELb0EEEvPKT_PhPfliiib,comdat
	.protected	_ZN5aiter18quant_mxfp4_kernelI12hip_bfloat16LNS_16MxScaleRoundModeE2ELb1ELb0ELb0EEEvPKT_PhPfliiib ; -- Begin function _ZN5aiter18quant_mxfp4_kernelI12hip_bfloat16LNS_16MxScaleRoundModeE2ELb1ELb0ELb0EEEvPKT_PhPfliiib
	.globl	_ZN5aiter18quant_mxfp4_kernelI12hip_bfloat16LNS_16MxScaleRoundModeE2ELb1ELb0ELb0EEEvPKT_PhPfliiib
	.p2align	8
	.type	_ZN5aiter18quant_mxfp4_kernelI12hip_bfloat16LNS_16MxScaleRoundModeE2ELb1ELb0ELb0EEEvPKT_PhPfliiib,@function
_ZN5aiter18quant_mxfp4_kernelI12hip_bfloat16LNS_16MxScaleRoundModeE2ELb1ELb0ELb0EEEvPKT_PhPfliiib: ; @_ZN5aiter18quant_mxfp4_kernelI12hip_bfloat16LNS_16MxScaleRoundModeE2ELb1ELb0ELb0EEEvPKT_PhPfliiib
; %bb.0:
	s_clause 0x1
	s_load_b32 s2, s[0:1], 0x3c
	s_load_b128 s[4:7], s[0:1], 0x20
	v_mov_b32_e32 v1, 0
	s_mov_b32 s3, exec_lo
	s_delay_alu instid0(VALU_DEP_1) | instskip(SKIP_2) | instid1(SALU_CYCLE_1)
	v_mov_b32_e32 v4, v1
	s_waitcnt lgkmcnt(0)
	s_and_b32 s2, s2, 0xffff
	v_mad_u64_u32 v[2:3], null, s2, s15, v[0:1]
	s_ashr_i32 s2, s6, 31
                                        ; implicit-def: $vgpr0_vgpr1
	s_delay_alu instid0(VALU_DEP_1) | instid1(SALU_CYCLE_1)
	v_or_b32_e32 v5, s2, v3
	s_delay_alu instid0(VALU_DEP_1)
	v_cmpx_ne_u64_e32 0, v[4:5]
	s_xor_b32 s3, exec_lo, s3
	s_cbranch_execz .LBB32_2
; %bb.1:
	s_add_u32 s10, s6, s2
	s_mov_b32 s8, s2
	s_mov_b32 s9, s2
	s_addc_u32 s11, s2, s2
	s_delay_alu instid0(SALU_CYCLE_1) | instskip(NEXT) | instid1(SALU_CYCLE_1)
	s_xor_b64 s[10:11], s[10:11], s[8:9]
	v_cvt_f32_u32_e32 v0, s10
	v_cvt_f32_u32_e32 v1, s11
	s_sub_u32 s2, 0, s10
	s_subb_u32 s7, 0, s11
	s_delay_alu instid0(VALU_DEP_1) | instskip(NEXT) | instid1(VALU_DEP_1)
	v_fmamk_f32 v0, v1, 0x4f800000, v0
	v_rcp_f32_e32 v0, v0
	s_waitcnt_depctr 0xfff
	v_mul_f32_e32 v0, 0x5f7ffffc, v0
	s_delay_alu instid0(VALU_DEP_1) | instskip(NEXT) | instid1(VALU_DEP_1)
	v_mul_f32_e32 v1, 0x2f800000, v0
	v_trunc_f32_e32 v1, v1
	s_delay_alu instid0(VALU_DEP_1) | instskip(SKIP_1) | instid1(VALU_DEP_2)
	v_fmamk_f32 v0, v1, 0xcf800000, v0
	v_cvt_u32_f32_e32 v1, v1
	v_cvt_u32_f32_e32 v0, v0
	s_delay_alu instid0(VALU_DEP_2) | instskip(NEXT) | instid1(VALU_DEP_2)
	v_mul_lo_u32 v4, s2, v1
	v_mul_hi_u32 v5, s2, v0
	v_mul_lo_u32 v6, s7, v0
	s_delay_alu instid0(VALU_DEP_2) | instskip(SKIP_1) | instid1(VALU_DEP_2)
	v_add_nc_u32_e32 v4, v5, v4
	v_mul_lo_u32 v5, s2, v0
	v_add_nc_u32_e32 v4, v4, v6
	s_delay_alu instid0(VALU_DEP_2) | instskip(NEXT) | instid1(VALU_DEP_2)
	v_mul_hi_u32 v6, v0, v5
	v_mul_lo_u32 v7, v0, v4
	v_mul_hi_u32 v8, v0, v4
	v_mul_hi_u32 v9, v1, v5
	v_mul_lo_u32 v5, v1, v5
	v_mul_hi_u32 v10, v1, v4
	v_mul_lo_u32 v4, v1, v4
	v_add_co_u32 v6, vcc_lo, v6, v7
	v_add_co_ci_u32_e32 v7, vcc_lo, 0, v8, vcc_lo
	s_delay_alu instid0(VALU_DEP_2) | instskip(NEXT) | instid1(VALU_DEP_2)
	v_add_co_u32 v5, vcc_lo, v6, v5
	v_add_co_ci_u32_e32 v5, vcc_lo, v7, v9, vcc_lo
	v_add_co_ci_u32_e32 v6, vcc_lo, 0, v10, vcc_lo
	v_ashrrev_i32_e32 v9, 31, v3
	s_delay_alu instid0(VALU_DEP_3) | instskip(NEXT) | instid1(VALU_DEP_3)
	v_add_co_u32 v4, vcc_lo, v5, v4
	v_add_co_ci_u32_e32 v5, vcc_lo, 0, v6, vcc_lo
	s_delay_alu instid0(VALU_DEP_2) | instskip(NEXT) | instid1(VALU_DEP_2)
	v_add_co_u32 v0, vcc_lo, v0, v4
	v_add_co_ci_u32_e32 v1, vcc_lo, v1, v5, vcc_lo
	s_delay_alu instid0(VALU_DEP_2) | instskip(SKIP_1) | instid1(VALU_DEP_3)
	v_mul_hi_u32 v4, s2, v0
	v_mul_lo_u32 v6, s7, v0
	v_mul_lo_u32 v5, s2, v1
	s_delay_alu instid0(VALU_DEP_1) | instskip(SKIP_1) | instid1(VALU_DEP_2)
	v_add_nc_u32_e32 v4, v4, v5
	v_mul_lo_u32 v5, s2, v0
	v_add_nc_u32_e32 v4, v4, v6
	s_delay_alu instid0(VALU_DEP_2) | instskip(NEXT) | instid1(VALU_DEP_2)
	v_mul_hi_u32 v6, v0, v5
	v_mul_lo_u32 v7, v0, v4
	v_mul_hi_u32 v8, v0, v4
	v_mul_hi_u32 v10, v1, v5
	v_mul_lo_u32 v5, v1, v5
	v_mul_hi_u32 v11, v1, v4
	v_mul_lo_u32 v4, v1, v4
	v_add_co_u32 v6, vcc_lo, v6, v7
	v_add_co_ci_u32_e32 v7, vcc_lo, 0, v8, vcc_lo
	s_delay_alu instid0(VALU_DEP_2) | instskip(NEXT) | instid1(VALU_DEP_2)
	v_add_co_u32 v5, vcc_lo, v6, v5
	v_add_co_ci_u32_e32 v5, vcc_lo, v7, v10, vcc_lo
	v_add_co_ci_u32_e32 v6, vcc_lo, 0, v11, vcc_lo
	v_add_co_u32 v7, vcc_lo, v2, v9
	v_add_co_ci_u32_e32 v3, vcc_lo, v3, v9, vcc_lo
	s_delay_alu instid0(VALU_DEP_4) | instskip(NEXT) | instid1(VALU_DEP_4)
	v_add_co_u32 v4, vcc_lo, v5, v4
	v_add_co_ci_u32_e32 v5, vcc_lo, 0, v6, vcc_lo
	s_delay_alu instid0(VALU_DEP_4) | instskip(NEXT) | instid1(VALU_DEP_3)
	v_xor_b32_e32 v7, v7, v9
	v_add_co_u32 v6, vcc_lo, v0, v4
	s_delay_alu instid0(VALU_DEP_3) | instskip(SKIP_1) | instid1(VALU_DEP_3)
	v_add_co_ci_u32_e32 v8, vcc_lo, v1, v5, vcc_lo
	v_xor_b32_e32 v10, v3, v9
	v_mul_hi_u32 v11, v7, v6
	s_delay_alu instid0(VALU_DEP_3) | instskip(NEXT) | instid1(VALU_DEP_3)
	v_mad_u64_u32 v[0:1], null, v7, v8, 0
	v_mad_u64_u32 v[3:4], null, v10, v6, 0
	;; [unrolled: 1-line block ×3, first 2 shown]
	s_delay_alu instid0(VALU_DEP_3) | instskip(NEXT) | instid1(VALU_DEP_4)
	v_add_co_u32 v0, vcc_lo, v11, v0
	v_add_co_ci_u32_e32 v1, vcc_lo, 0, v1, vcc_lo
	s_delay_alu instid0(VALU_DEP_2) | instskip(NEXT) | instid1(VALU_DEP_2)
	v_add_co_u32 v0, vcc_lo, v0, v3
	v_add_co_ci_u32_e32 v0, vcc_lo, v1, v4, vcc_lo
	v_add_co_ci_u32_e32 v1, vcc_lo, 0, v6, vcc_lo
	s_delay_alu instid0(VALU_DEP_2) | instskip(NEXT) | instid1(VALU_DEP_2)
	v_add_co_u32 v3, vcc_lo, v0, v5
	v_add_co_ci_u32_e32 v4, vcc_lo, 0, v1, vcc_lo
	s_delay_alu instid0(VALU_DEP_2) | instskip(SKIP_1) | instid1(VALU_DEP_3)
	v_mul_lo_u32 v5, s11, v3
	v_mad_u64_u32 v[0:1], null, s10, v3, 0
	v_mul_lo_u32 v6, s10, v4
	s_delay_alu instid0(VALU_DEP_2) | instskip(NEXT) | instid1(VALU_DEP_2)
	v_sub_co_u32 v0, vcc_lo, v7, v0
	v_add3_u32 v1, v1, v6, v5
	s_delay_alu instid0(VALU_DEP_1) | instskip(NEXT) | instid1(VALU_DEP_1)
	v_sub_nc_u32_e32 v5, v10, v1
	v_subrev_co_ci_u32_e64 v5, s2, s11, v5, vcc_lo
	v_add_co_u32 v6, s2, v3, 2
	s_delay_alu instid0(VALU_DEP_1) | instskip(SKIP_3) | instid1(VALU_DEP_3)
	v_add_co_ci_u32_e64 v7, s2, 0, v4, s2
	v_sub_co_u32 v8, s2, v0, s10
	v_sub_co_ci_u32_e32 v1, vcc_lo, v10, v1, vcc_lo
	v_subrev_co_ci_u32_e64 v5, s2, 0, v5, s2
	v_cmp_le_u32_e32 vcc_lo, s10, v8
	s_delay_alu instid0(VALU_DEP_3) | instskip(SKIP_1) | instid1(VALU_DEP_4)
	v_cmp_eq_u32_e64 s2, s11, v1
	v_cndmask_b32_e64 v8, 0, -1, vcc_lo
	v_cmp_le_u32_e32 vcc_lo, s11, v5
	v_cndmask_b32_e64 v10, 0, -1, vcc_lo
	v_cmp_le_u32_e32 vcc_lo, s10, v0
	;; [unrolled: 2-line block ×3, first 2 shown]
	v_cndmask_b32_e64 v11, 0, -1, vcc_lo
	v_cmp_eq_u32_e32 vcc_lo, s11, v5
	s_delay_alu instid0(VALU_DEP_2) | instskip(SKIP_3) | instid1(VALU_DEP_3)
	v_cndmask_b32_e64 v0, v11, v0, s2
	v_cndmask_b32_e32 v5, v10, v8, vcc_lo
	v_add_co_u32 v8, vcc_lo, v3, 1
	v_add_co_ci_u32_e32 v10, vcc_lo, 0, v4, vcc_lo
	v_cmp_ne_u32_e32 vcc_lo, 0, v5
	s_delay_alu instid0(VALU_DEP_2) | instskip(NEXT) | instid1(VALU_DEP_4)
	v_cndmask_b32_e32 v1, v10, v7, vcc_lo
	v_cndmask_b32_e32 v5, v8, v6, vcc_lo
	v_cmp_ne_u32_e32 vcc_lo, 0, v0
	v_xor_b32_e32 v0, s8, v9
	s_delay_alu instid0(VALU_DEP_3) | instskip(SKIP_2) | instid1(VALU_DEP_3)
	v_cndmask_b32_e32 v3, v3, v5, vcc_lo
	v_cndmask_b32_e32 v1, v4, v1, vcc_lo
	v_xor_b32_e32 v4, s9, v9
	v_xor_b32_e32 v3, v3, v0
	s_delay_alu instid0(VALU_DEP_2) | instskip(NEXT) | instid1(VALU_DEP_2)
	v_xor_b32_e32 v1, v1, v4
	v_sub_co_u32 v0, vcc_lo, v3, v0
	s_delay_alu instid0(VALU_DEP_2)
	v_sub_co_ci_u32_e32 v1, vcc_lo, v1, v4, vcc_lo
.LBB32_2:
	s_and_not1_saveexec_b32 s2, s3
	s_cbranch_execz .LBB32_4
; %bb.3:
	v_cvt_f32_u32_e32 v0, s6
	s_sub_i32 s3, 0, s6
	s_delay_alu instid0(VALU_DEP_1) | instskip(SKIP_2) | instid1(VALU_DEP_1)
	v_rcp_iflag_f32_e32 v0, v0
	s_waitcnt_depctr 0xfff
	v_mul_f32_e32 v0, 0x4f7ffffe, v0
	v_cvt_u32_f32_e32 v0, v0
	s_delay_alu instid0(VALU_DEP_1) | instskip(NEXT) | instid1(VALU_DEP_1)
	v_mul_lo_u32 v1, s3, v0
	v_mul_hi_u32 v1, v0, v1
	s_delay_alu instid0(VALU_DEP_1) | instskip(NEXT) | instid1(VALU_DEP_1)
	v_add_nc_u32_e32 v0, v0, v1
	v_mul_hi_u32 v0, v2, v0
	s_delay_alu instid0(VALU_DEP_1) | instskip(SKIP_1) | instid1(VALU_DEP_2)
	v_mul_lo_u32 v1, v0, s6
	v_add_nc_u32_e32 v3, 1, v0
	v_sub_nc_u32_e32 v1, v2, v1
	s_delay_alu instid0(VALU_DEP_1) | instskip(SKIP_1) | instid1(VALU_DEP_2)
	v_subrev_nc_u32_e32 v4, s6, v1
	v_cmp_le_u32_e32 vcc_lo, s6, v1
	v_dual_cndmask_b32 v1, v1, v4 :: v_dual_cndmask_b32 v0, v0, v3
	s_delay_alu instid0(VALU_DEP_1) | instskip(NEXT) | instid1(VALU_DEP_2)
	v_cmp_le_u32_e32 vcc_lo, s6, v1
	v_add_nc_u32_e32 v3, 1, v0
	s_delay_alu instid0(VALU_DEP_1)
	v_dual_mov_b32 v1, 0 :: v_dual_cndmask_b32 v0, v0, v3
.LBB32_4:
	s_or_b32 exec_lo, exec_lo, s2
	s_load_b64 s[2:3], s[0:1], 0x18
	s_delay_alu instid0(VALU_DEP_1) | instskip(NEXT) | instid1(VALU_DEP_1)
	v_mad_u64_u32 v[3:4], null, v0, s6, 0
	v_sub_co_u32 v2, null, v2, v3
	s_waitcnt lgkmcnt(0)
	v_cmp_gt_i64_e32 vcc_lo, s[2:3], v[0:1]
	s_delay_alu instid0(VALU_DEP_2) | instskip(NEXT) | instid1(VALU_DEP_1)
	v_cmp_gt_i32_e64 s2, s5, v2
	s_and_b32 s2, vcc_lo, s2
	s_delay_alu instid0(SALU_CYCLE_1)
	s_and_saveexec_b32 s3, s2
	s_cbranch_execz .LBB32_390
; %bb.5:
	s_ashr_i32 s5, s4, 31
	s_load_b64 s[2:3], s[0:1], 0x0
	v_mul_lo_u32 v5, v1, s4
	v_mad_u64_u32 v[3:4], null, v0, s4, 0
	v_mul_lo_u32 v6, v0, s5
	s_delay_alu instid0(VALU_DEP_1) | instskip(SKIP_1) | instid1(VALU_DEP_2)
	v_add3_u32 v4, v4, v6, v5
	v_dual_mov_b32 v6, 0 :: v_dual_lshlrev_b32 v5, 5, v2
	v_lshlrev_b64 v[3:4], 1, v[3:4]
	s_delay_alu instid0(VALU_DEP_2) | instskip(SKIP_1) | instid1(VALU_DEP_2)
	v_lshlrev_b64 v[5:6], 1, v[5:6]
	s_waitcnt lgkmcnt(0)
	v_add_co_u32 v3, vcc_lo, s2, v3
	s_delay_alu instid0(VALU_DEP_3) | instskip(SKIP_1) | instid1(VALU_DEP_2)
	v_add_co_ci_u32_e32 v4, vcc_lo, s3, v4, vcc_lo
	s_mov_b32 s2, 0xc2fe0000
	v_add_co_u32 v7, vcc_lo, v3, v5
	s_delay_alu instid0(VALU_DEP_2)
	v_add_co_ci_u32_e32 v8, vcc_lo, v4, v6, vcc_lo
	s_clause 0x3
	global_load_b128 v[3:6], v[7:8], off
	global_load_b128 v[10:13], v[7:8], off offset:16
	global_load_b128 v[52:55], v[7:8], off offset:32
	;; [unrolled: 1-line block ×3, first 2 shown]
	s_waitcnt vmcnt(3)
	v_lshlrev_b32_e32 v17, 16, v3
	v_and_b32_e32 v7, 0xffff0000, v3
	v_lshlrev_b32_e32 v9, 16, v4
	v_and_b32_e32 v14, 0xffff0000, v4
	;; [unrolled: 2-line block ×3, first 2 shown]
	v_max3_f32 v3, |v17|, 0, |v7|
	v_lshlrev_b32_e32 v22, 16, v6
	v_and_b32_e32 v26, 0xffff0000, v6
	s_waitcnt vmcnt(2)
	v_lshlrev_b32_e32 v28, 16, v10
	v_and_b32_e32 v32, 0xffff0000, v10
	v_max3_f32 v3, v3, |v9|, |v14|
	v_lshlrev_b32_e32 v34, 16, v11
	v_and_b32_e32 v37, 0xffff0000, v11
	v_lshlrev_b32_e32 v40, 16, v12
	v_and_b32_e32 v41, 0xffff0000, v12
	v_max3_f32 v3, v3, |v16|, |v20|
	v_lshlrev_b32_e32 v46, 16, v13
	v_and_b32_e32 v47, 0xffff0000, v13
	s_waitcnt vmcnt(1)
	v_lshlrev_b32_e32 v51, 16, v52
	v_and_b32_e32 v52, 0xffff0000, v52
	v_max3_f32 v3, v3, |v22|, |v26|
	v_lshlrev_b32_e32 v48, 16, v53
	v_and_b32_e32 v45, 0xffff0000, v53
	v_lshlrev_b32_e32 v42, 16, v54
	v_and_b32_e32 v39, 0xffff0000, v54
	v_max3_f32 v3, v3, |v28|, |v32|
	;; [unrolled: 11-line block ×3, first 2 shown]
	v_lshlrev_b32_e32 v13, 16, v59
	v_and_b32_e32 v8, 0xffff0000, v59
	s_delay_alu instid0(VALU_DEP_3) | instskip(NEXT) | instid1(VALU_DEP_1)
	v_max3_f32 v3, v3, |v46|, |v47|
	v_max3_f32 v3, v3, |v51|, |v52|
	s_delay_alu instid0(VALU_DEP_1) | instskip(NEXT) | instid1(VALU_DEP_1)
	v_max3_f32 v3, v3, |v48|, |v45|
	v_max3_f32 v3, v3, |v42|, |v39|
	s_delay_alu instid0(VALU_DEP_1) | instskip(NEXT) | instid1(VALU_DEP_1)
	;; [unrolled: 3-line block ×4, first 2 shown]
	v_max3_f32 v3, v3, |v13|, |v8|
	v_add_nc_u32_e32 v3, 0x200000, v3
	s_delay_alu instid0(VALU_DEP_1) | instskip(NEXT) | instid1(VALU_DEP_1)
	v_and_b32_e32 v3, 0x7f800000, v3
	v_cmp_gt_f32_e32 vcc_lo, 0x800000, v3
	v_cndmask_b32_e64 v4, 1.0, 0x4f800000, vcc_lo
	s_delay_alu instid0(VALU_DEP_1) | instskip(SKIP_1) | instid1(VALU_DEP_2)
	v_mul_f32_e32 v3, v3, v4
	v_cndmask_b32_e64 v4, 0, 0x42000000, vcc_lo
	v_log_f32_e32 v3, v3
	s_waitcnt_depctr 0xfff
	v_sub_f32_e32 v3, v3, v4
	s_delay_alu instid0(VALU_DEP_1) | instskip(NEXT) | instid1(VALU_DEP_1)
	v_floor_f32_e32 v3, v3
	v_add_f32_e32 v3, -2.0, v3
	s_delay_alu instid0(VALU_DEP_1) | instskip(SKIP_1) | instid1(VALU_DEP_1)
	v_maxmin_f32 v3, v3, s2, 0x42fe0000
	s_mov_b32 s2, exec_lo
	v_cmp_gt_f32_e32 vcc_lo, 0xc2fc0000, v3
	v_cndmask_b32_e64 v4, 0, 0x42800000, vcc_lo
	s_delay_alu instid0(VALU_DEP_1) | instskip(SKIP_1) | instid1(VALU_DEP_2)
	v_add_f32_e32 v3, v3, v4
	v_cndmask_b32_e64 v4, 1.0, 0x1f800000, vcc_lo
	v_exp_f32_e32 v3, v3
	s_waitcnt_depctr 0xfff
	v_mul_f32_e32 v3, v3, v4
	s_delay_alu instid0(VALU_DEP_1) | instskip(SKIP_1) | instid1(VALU_DEP_2)
	v_div_scale_f32 v4, null, v3, v3, 1.0
	v_div_scale_f32 v10, vcc_lo, 1.0, v3, 1.0
	v_rcp_f32_e32 v5, v4
	s_waitcnt_depctr 0xfff
	v_fma_f32 v6, -v4, v5, 1.0
	s_delay_alu instid0(VALU_DEP_1) | instskip(NEXT) | instid1(VALU_DEP_1)
	v_fmac_f32_e32 v5, v6, v5
	v_mul_f32_e32 v6, v10, v5
	s_delay_alu instid0(VALU_DEP_1) | instskip(NEXT) | instid1(VALU_DEP_1)
	v_fma_f32 v11, -v4, v6, v10
	v_fmac_f32_e32 v6, v11, v5
	s_delay_alu instid0(VALU_DEP_1) | instskip(NEXT) | instid1(VALU_DEP_1)
	v_fma_f32 v4, -v4, v6, v10
	v_div_fmas_f32 v4, v4, v5, v6
	v_mov_b32_e32 v6, 7
	v_cmp_neq_f32_e32 vcc_lo, 0, v3
	v_mov_b32_e32 v5, 7
	s_delay_alu instid0(VALU_DEP_4) | instskip(NEXT) | instid1(VALU_DEP_1)
	v_div_fixup_f32 v4, v4, v3, 1.0
	v_cndmask_b32_e32 v12, 0, v4, vcc_lo
	s_delay_alu instid0(VALU_DEP_1) | instskip(NEXT) | instid1(VALU_DEP_1)
	v_mul_f32_e32 v4, v12, v17
	v_cmpx_nle_f32_e64 0x40a00000, |v4|
	s_cbranch_execz .LBB32_17
; %bb.6:
	v_mov_b32_e32 v5, 6
	s_mov_b32 s3, exec_lo
	v_cmpx_nle_f32_e64 0x40600000, |v4|
	s_cbranch_execz .LBB32_16
; %bb.7:
	v_mov_b32_e32 v5, 5
	s_mov_b32 s5, exec_lo
	;; [unrolled: 5-line block ×5, first 2 shown]
	v_cmpx_nle_f32_e64 0x3f400000, |v4|
; %bb.11:
	v_cmp_le_f32_e64 s10, 0x3e800000, |v4|
	s_delay_alu instid0(VALU_DEP_1)
	v_cndmask_b32_e64 v5, 0, 1, s10
; %bb.12:
	s_or_b32 exec_lo, exec_lo, s9
.LBB32_13:
	s_delay_alu instid0(SALU_CYCLE_1)
	s_or_b32 exec_lo, exec_lo, s8
.LBB32_14:
	s_delay_alu instid0(SALU_CYCLE_1)
	s_or_b32 exec_lo, exec_lo, s7
.LBB32_15:
	s_delay_alu instid0(SALU_CYCLE_1)
	s_or_b32 exec_lo, exec_lo, s5
.LBB32_16:
	s_delay_alu instid0(SALU_CYCLE_1)
	s_or_b32 exec_lo, exec_lo, s3
.LBB32_17:
	s_delay_alu instid0(SALU_CYCLE_1) | instskip(SKIP_2) | instid1(VALU_DEP_1)
	s_or_b32 exec_lo, exec_lo, s2
	v_mul_f32_e32 v7, v12, v7
	s_mov_b32 s2, exec_lo
	v_cmpx_nle_f32_e64 0x40a00000, |v7|
	s_cbranch_execz .LBB32_29
; %bb.18:
	v_mov_b32_e32 v6, 6
	s_mov_b32 s3, exec_lo
	v_cmpx_nle_f32_e64 0x40600000, |v7|
	s_cbranch_execz .LBB32_28
; %bb.19:
	v_mov_b32_e32 v6, 5
	;; [unrolled: 5-line block ×5, first 2 shown]
	s_mov_b32 s9, exec_lo
	v_cmpx_nle_f32_e64 0x3f400000, |v7|
; %bb.23:
	v_cmp_le_f32_e64 s10, 0x3e800000, |v7|
	s_delay_alu instid0(VALU_DEP_1)
	v_cndmask_b32_e64 v6, 0, 1, s10
; %bb.24:
	s_or_b32 exec_lo, exec_lo, s9
.LBB32_25:
	s_delay_alu instid0(SALU_CYCLE_1)
	s_or_b32 exec_lo, exec_lo, s8
.LBB32_26:
	s_delay_alu instid0(SALU_CYCLE_1)
	s_or_b32 exec_lo, exec_lo, s7
.LBB32_27:
	s_delay_alu instid0(SALU_CYCLE_1)
	s_or_b32 exec_lo, exec_lo, s5
.LBB32_28:
	s_delay_alu instid0(SALU_CYCLE_1)
	s_or_b32 exec_lo, exec_lo, s3
.LBB32_29:
	s_delay_alu instid0(SALU_CYCLE_1) | instskip(SKIP_3) | instid1(VALU_DEP_2)
	s_or_b32 exec_lo, exec_lo, s2
	v_dual_mul_f32 v10, v12, v9 :: v_dual_mov_b32 v9, 7
	v_mov_b32_e32 v11, 7
	s_mov_b32 s2, exec_lo
	v_cmpx_nle_f32_e64 0x40a00000, |v10|
	s_cbranch_execz .LBB32_41
; %bb.30:
	v_mov_b32_e32 v11, 6
	s_mov_b32 s3, exec_lo
	v_cmpx_nle_f32_e64 0x40600000, |v10|
	s_cbranch_execz .LBB32_40
; %bb.31:
	;; [unrolled: 5-line block ×5, first 2 shown]
	v_mov_b32_e32 v11, 2
	s_mov_b32 s9, exec_lo
	v_cmpx_nle_f32_e64 0x3f400000, |v10|
; %bb.35:
	v_cmp_le_f32_e64 s10, 0x3e800000, |v10|
	s_delay_alu instid0(VALU_DEP_1)
	v_cndmask_b32_e64 v11, 0, 1, s10
; %bb.36:
	s_or_b32 exec_lo, exec_lo, s9
.LBB32_37:
	s_delay_alu instid0(SALU_CYCLE_1)
	s_or_b32 exec_lo, exec_lo, s8
.LBB32_38:
	s_delay_alu instid0(SALU_CYCLE_1)
	s_or_b32 exec_lo, exec_lo, s7
.LBB32_39:
	s_delay_alu instid0(SALU_CYCLE_1)
	s_or_b32 exec_lo, exec_lo, s5
.LBB32_40:
	s_delay_alu instid0(SALU_CYCLE_1)
	s_or_b32 exec_lo, exec_lo, s3
.LBB32_41:
	s_delay_alu instid0(SALU_CYCLE_1) | instskip(SKIP_2) | instid1(VALU_DEP_1)
	s_or_b32 exec_lo, exec_lo, s2
	v_mul_f32_e32 v14, v12, v14
	s_mov_b32 s2, exec_lo
	v_cmpx_nle_f32_e64 0x40a00000, |v14|
	s_cbranch_execz .LBB32_53
; %bb.42:
	v_mov_b32_e32 v9, 6
	s_mov_b32 s3, exec_lo
	v_cmpx_nle_f32_e64 0x40600000, |v14|
	s_cbranch_execz .LBB32_52
; %bb.43:
	v_mov_b32_e32 v9, 5
	;; [unrolled: 5-line block ×5, first 2 shown]
	s_mov_b32 s9, exec_lo
	v_cmpx_nle_f32_e64 0x3f400000, |v14|
; %bb.47:
	v_cmp_le_f32_e64 s10, 0x3e800000, |v14|
	s_delay_alu instid0(VALU_DEP_1)
	v_cndmask_b32_e64 v9, 0, 1, s10
; %bb.48:
	s_or_b32 exec_lo, exec_lo, s9
.LBB32_49:
	s_delay_alu instid0(SALU_CYCLE_1)
	s_or_b32 exec_lo, exec_lo, s8
.LBB32_50:
	s_delay_alu instid0(SALU_CYCLE_1)
	s_or_b32 exec_lo, exec_lo, s7
.LBB32_51:
	s_delay_alu instid0(SALU_CYCLE_1)
	s_or_b32 exec_lo, exec_lo, s5
.LBB32_52:
	s_delay_alu instid0(SALU_CYCLE_1)
	s_or_b32 exec_lo, exec_lo, s3
.LBB32_53:
	s_delay_alu instid0(SALU_CYCLE_1) | instskip(SKIP_3) | instid1(VALU_DEP_2)
	s_or_b32 exec_lo, exec_lo, s2
	v_dual_mul_f32 v18, v12, v16 :: v_dual_mov_b32 v17, 7
	v_mov_b32_e32 v16, 7
	s_mov_b32 s2, exec_lo
	v_cmpx_nle_f32_e64 0x40a00000, |v18|
	s_cbranch_execz .LBB32_65
; %bb.54:
	v_mov_b32_e32 v17, 6
	s_mov_b32 s3, exec_lo
	v_cmpx_nle_f32_e64 0x40600000, |v18|
	s_cbranch_execz .LBB32_64
; %bb.55:
	;; [unrolled: 5-line block ×5, first 2 shown]
	v_mov_b32_e32 v17, 2
	s_mov_b32 s9, exec_lo
	v_cmpx_nle_f32_e64 0x3f400000, |v18|
; %bb.59:
	v_cmp_le_f32_e64 s10, 0x3e800000, |v18|
	s_delay_alu instid0(VALU_DEP_1)
	v_cndmask_b32_e64 v17, 0, 1, s10
; %bb.60:
	s_or_b32 exec_lo, exec_lo, s9
.LBB32_61:
	s_delay_alu instid0(SALU_CYCLE_1)
	s_or_b32 exec_lo, exec_lo, s8
.LBB32_62:
	s_delay_alu instid0(SALU_CYCLE_1)
	s_or_b32 exec_lo, exec_lo, s7
.LBB32_63:
	s_delay_alu instid0(SALU_CYCLE_1)
	s_or_b32 exec_lo, exec_lo, s5
.LBB32_64:
	s_delay_alu instid0(SALU_CYCLE_1)
	s_or_b32 exec_lo, exec_lo, s3
.LBB32_65:
	s_delay_alu instid0(SALU_CYCLE_1) | instskip(SKIP_2) | instid1(VALU_DEP_1)
	s_or_b32 exec_lo, exec_lo, s2
	v_mul_f32_e32 v20, v12, v20
	s_mov_b32 s2, exec_lo
	v_cmpx_nle_f32_e64 0x40a00000, |v20|
	s_cbranch_execz .LBB32_77
; %bb.66:
	v_mov_b32_e32 v16, 6
	s_mov_b32 s3, exec_lo
	v_cmpx_nle_f32_e64 0x40600000, |v20|
	s_cbranch_execz .LBB32_76
; %bb.67:
	v_mov_b32_e32 v16, 5
	;; [unrolled: 5-line block ×5, first 2 shown]
	s_mov_b32 s9, exec_lo
	v_cmpx_nle_f32_e64 0x3f400000, |v20|
; %bb.71:
	v_cmp_le_f32_e64 s10, 0x3e800000, |v20|
	s_delay_alu instid0(VALU_DEP_1)
	v_cndmask_b32_e64 v16, 0, 1, s10
; %bb.72:
	s_or_b32 exec_lo, exec_lo, s9
.LBB32_73:
	s_delay_alu instid0(SALU_CYCLE_1)
	s_or_b32 exec_lo, exec_lo, s8
.LBB32_74:
	s_delay_alu instid0(SALU_CYCLE_1)
	s_or_b32 exec_lo, exec_lo, s7
.LBB32_75:
	s_delay_alu instid0(SALU_CYCLE_1)
	s_or_b32 exec_lo, exec_lo, s5
.LBB32_76:
	s_delay_alu instid0(SALU_CYCLE_1)
	s_or_b32 exec_lo, exec_lo, s3
.LBB32_77:
	s_delay_alu instid0(SALU_CYCLE_1) | instskip(SKIP_3) | instid1(VALU_DEP_2)
	s_or_b32 exec_lo, exec_lo, s2
	v_dual_mul_f32 v24, v12, v22 :: v_dual_mov_b32 v23, 7
	v_mov_b32_e32 v22, 7
	s_mov_b32 s2, exec_lo
	v_cmpx_nle_f32_e64 0x40a00000, |v24|
	s_cbranch_execz .LBB32_89
; %bb.78:
	v_mov_b32_e32 v23, 6
	s_mov_b32 s3, exec_lo
	v_cmpx_nle_f32_e64 0x40600000, |v24|
	s_cbranch_execz .LBB32_88
; %bb.79:
	;; [unrolled: 5-line block ×5, first 2 shown]
	v_mov_b32_e32 v23, 2
	s_mov_b32 s9, exec_lo
	v_cmpx_nle_f32_e64 0x3f400000, |v24|
; %bb.83:
	v_cmp_le_f32_e64 s10, 0x3e800000, |v24|
	s_delay_alu instid0(VALU_DEP_1)
	v_cndmask_b32_e64 v23, 0, 1, s10
; %bb.84:
	s_or_b32 exec_lo, exec_lo, s9
.LBB32_85:
	s_delay_alu instid0(SALU_CYCLE_1)
	s_or_b32 exec_lo, exec_lo, s8
.LBB32_86:
	s_delay_alu instid0(SALU_CYCLE_1)
	s_or_b32 exec_lo, exec_lo, s7
.LBB32_87:
	s_delay_alu instid0(SALU_CYCLE_1)
	s_or_b32 exec_lo, exec_lo, s5
.LBB32_88:
	s_delay_alu instid0(SALU_CYCLE_1)
	s_or_b32 exec_lo, exec_lo, s3
.LBB32_89:
	s_delay_alu instid0(SALU_CYCLE_1) | instskip(SKIP_2) | instid1(VALU_DEP_1)
	s_or_b32 exec_lo, exec_lo, s2
	v_mul_f32_e32 v26, v12, v26
	s_mov_b32 s2, exec_lo
	v_cmpx_nle_f32_e64 0x40a00000, |v26|
	s_cbranch_execz .LBB32_101
; %bb.90:
	v_mov_b32_e32 v22, 6
	s_mov_b32 s3, exec_lo
	v_cmpx_nle_f32_e64 0x40600000, |v26|
	s_cbranch_execz .LBB32_100
; %bb.91:
	v_mov_b32_e32 v22, 5
	;; [unrolled: 5-line block ×5, first 2 shown]
	s_mov_b32 s9, exec_lo
	v_cmpx_nle_f32_e64 0x3f400000, |v26|
; %bb.95:
	v_cmp_le_f32_e64 s10, 0x3e800000, |v26|
	s_delay_alu instid0(VALU_DEP_1)
	v_cndmask_b32_e64 v22, 0, 1, s10
; %bb.96:
	s_or_b32 exec_lo, exec_lo, s9
.LBB32_97:
	s_delay_alu instid0(SALU_CYCLE_1)
	s_or_b32 exec_lo, exec_lo, s8
.LBB32_98:
	s_delay_alu instid0(SALU_CYCLE_1)
	s_or_b32 exec_lo, exec_lo, s7
.LBB32_99:
	s_delay_alu instid0(SALU_CYCLE_1)
	s_or_b32 exec_lo, exec_lo, s5
.LBB32_100:
	s_delay_alu instid0(SALU_CYCLE_1)
	s_or_b32 exec_lo, exec_lo, s3
.LBB32_101:
	s_delay_alu instid0(SALU_CYCLE_1) | instskip(SKIP_3) | instid1(VALU_DEP_2)
	s_or_b32 exec_lo, exec_lo, s2
	v_dual_mul_f32 v29, v12, v28 :: v_dual_mov_b32 v28, 7
	v_mov_b32_e32 v30, 7
	s_mov_b32 s2, exec_lo
	v_cmpx_nle_f32_e64 0x40a00000, |v29|
	s_cbranch_execz .LBB32_113
; %bb.102:
	v_mov_b32_e32 v30, 6
	s_mov_b32 s3, exec_lo
	v_cmpx_nle_f32_e64 0x40600000, |v29|
	s_cbranch_execz .LBB32_112
; %bb.103:
	;; [unrolled: 5-line block ×5, first 2 shown]
	v_mov_b32_e32 v30, 2
	s_mov_b32 s9, exec_lo
	v_cmpx_nle_f32_e64 0x3f400000, |v29|
; %bb.107:
	v_cmp_le_f32_e64 s10, 0x3e800000, |v29|
	s_delay_alu instid0(VALU_DEP_1)
	v_cndmask_b32_e64 v30, 0, 1, s10
; %bb.108:
	s_or_b32 exec_lo, exec_lo, s9
.LBB32_109:
	s_delay_alu instid0(SALU_CYCLE_1)
	s_or_b32 exec_lo, exec_lo, s8
.LBB32_110:
	s_delay_alu instid0(SALU_CYCLE_1)
	s_or_b32 exec_lo, exec_lo, s7
.LBB32_111:
	s_delay_alu instid0(SALU_CYCLE_1)
	s_or_b32 exec_lo, exec_lo, s5
.LBB32_112:
	s_delay_alu instid0(SALU_CYCLE_1)
	s_or_b32 exec_lo, exec_lo, s3
.LBB32_113:
	s_delay_alu instid0(SALU_CYCLE_1) | instskip(SKIP_2) | instid1(VALU_DEP_1)
	s_or_b32 exec_lo, exec_lo, s2
	v_mul_f32_e32 v32, v12, v32
	s_mov_b32 s2, exec_lo
	v_cmpx_nle_f32_e64 0x40a00000, |v32|
	s_cbranch_execz .LBB32_125
; %bb.114:
	v_mov_b32_e32 v28, 6
	s_mov_b32 s3, exec_lo
	v_cmpx_nle_f32_e64 0x40600000, |v32|
	s_cbranch_execz .LBB32_124
; %bb.115:
	v_mov_b32_e32 v28, 5
	;; [unrolled: 5-line block ×5, first 2 shown]
	s_mov_b32 s9, exec_lo
	v_cmpx_nle_f32_e64 0x3f400000, |v32|
; %bb.119:
	v_cmp_le_f32_e64 s10, 0x3e800000, |v32|
	s_delay_alu instid0(VALU_DEP_1)
	v_cndmask_b32_e64 v28, 0, 1, s10
; %bb.120:
	s_or_b32 exec_lo, exec_lo, s9
.LBB32_121:
	s_delay_alu instid0(SALU_CYCLE_1)
	s_or_b32 exec_lo, exec_lo, s8
.LBB32_122:
	s_delay_alu instid0(SALU_CYCLE_1)
	s_or_b32 exec_lo, exec_lo, s7
.LBB32_123:
	s_delay_alu instid0(SALU_CYCLE_1)
	s_or_b32 exec_lo, exec_lo, s5
.LBB32_124:
	s_delay_alu instid0(SALU_CYCLE_1)
	s_or_b32 exec_lo, exec_lo, s3
.LBB32_125:
	s_delay_alu instid0(SALU_CYCLE_1) | instskip(SKIP_4) | instid1(VALU_DEP_3)
	s_or_b32 exec_lo, exec_lo, s2
	v_mul_f32_e32 v36, v12, v34
	v_mov_b32_e32 v34, 7
	v_mov_b32_e32 v38, 7
	s_mov_b32 s2, exec_lo
	v_cmpx_nle_f32_e64 0x40a00000, |v36|
	s_cbranch_execz .LBB32_137
; %bb.126:
	v_mov_b32_e32 v38, 6
	s_mov_b32 s3, exec_lo
	v_cmpx_nle_f32_e64 0x40600000, |v36|
	s_cbranch_execz .LBB32_136
; %bb.127:
	;; [unrolled: 5-line block ×5, first 2 shown]
	v_mov_b32_e32 v38, 2
	s_mov_b32 s9, exec_lo
	v_cmpx_nle_f32_e64 0x3f400000, |v36|
; %bb.131:
	v_cmp_le_f32_e64 s10, 0x3e800000, |v36|
	s_delay_alu instid0(VALU_DEP_1)
	v_cndmask_b32_e64 v38, 0, 1, s10
; %bb.132:
	s_or_b32 exec_lo, exec_lo, s9
.LBB32_133:
	s_delay_alu instid0(SALU_CYCLE_1)
	s_or_b32 exec_lo, exec_lo, s8
.LBB32_134:
	s_delay_alu instid0(SALU_CYCLE_1)
	s_or_b32 exec_lo, exec_lo, s7
.LBB32_135:
	s_delay_alu instid0(SALU_CYCLE_1)
	s_or_b32 exec_lo, exec_lo, s5
.LBB32_136:
	s_delay_alu instid0(SALU_CYCLE_1)
	s_or_b32 exec_lo, exec_lo, s3
.LBB32_137:
	s_delay_alu instid0(SALU_CYCLE_1) | instskip(SKIP_2) | instid1(VALU_DEP_1)
	s_or_b32 exec_lo, exec_lo, s2
	v_mul_f32_e32 v37, v12, v37
	s_mov_b32 s2, exec_lo
	v_cmpx_nle_f32_e64 0x40a00000, |v37|
	s_cbranch_execz .LBB32_149
; %bb.138:
	v_mov_b32_e32 v34, 6
	s_mov_b32 s3, exec_lo
	v_cmpx_nle_f32_e64 0x40600000, |v37|
	s_cbranch_execz .LBB32_148
; %bb.139:
	v_mov_b32_e32 v34, 5
	;; [unrolled: 5-line block ×5, first 2 shown]
	s_mov_b32 s9, exec_lo
	v_cmpx_nle_f32_e64 0x3f400000, |v37|
; %bb.143:
	v_cmp_le_f32_e64 s10, 0x3e800000, |v37|
	s_delay_alu instid0(VALU_DEP_1)
	v_cndmask_b32_e64 v34, 0, 1, s10
; %bb.144:
	s_or_b32 exec_lo, exec_lo, s9
.LBB32_145:
	s_delay_alu instid0(SALU_CYCLE_1)
	s_or_b32 exec_lo, exec_lo, s8
.LBB32_146:
	s_delay_alu instid0(SALU_CYCLE_1)
	s_or_b32 exec_lo, exec_lo, s7
.LBB32_147:
	s_delay_alu instid0(SALU_CYCLE_1)
	s_or_b32 exec_lo, exec_lo, s5
.LBB32_148:
	s_delay_alu instid0(SALU_CYCLE_1)
	s_or_b32 exec_lo, exec_lo, s3
.LBB32_149:
	s_delay_alu instid0(SALU_CYCLE_1) | instskip(SKIP_3) | instid1(VALU_DEP_2)
	s_or_b32 exec_lo, exec_lo, s2
	v_dual_mul_f32 v44, v12, v40 :: v_dual_mov_b32 v43, 7
	v_mov_b32_e32 v40, 7
	s_mov_b32 s2, exec_lo
	v_cmpx_nle_f32_e64 0x40a00000, |v44|
	s_cbranch_execz .LBB32_161
; %bb.150:
	v_mov_b32_e32 v43, 6
	s_mov_b32 s3, exec_lo
	v_cmpx_nle_f32_e64 0x40600000, |v44|
	s_cbranch_execz .LBB32_160
; %bb.151:
	v_mov_b32_e32 v43, 5
	s_mov_b32 s5, exec_lo
	v_cmpx_nle_f32_e64 0x40200000, |v44|
	s_cbranch_execz .LBB32_159
; %bb.152:
	v_mov_b32_e32 v43, 4
	s_mov_b32 s7, exec_lo
	v_cmpx_nle_f32_e64 0x3fe00000, |v44|
	s_cbranch_execz .LBB32_158
; %bb.153:
	v_mov_b32_e32 v43, 3
	s_mov_b32 s8, exec_lo
	v_cmpx_nle_f32_e64 0x3fa00000, |v44|
	s_cbranch_execz .LBB32_157
; %bb.154:
	v_mov_b32_e32 v43, 2
	s_mov_b32 s9, exec_lo
	v_cmpx_nle_f32_e64 0x3f400000, |v44|
; %bb.155:
	v_cmp_le_f32_e64 s10, 0x3e800000, |v44|
	s_delay_alu instid0(VALU_DEP_1)
	v_cndmask_b32_e64 v43, 0, 1, s10
; %bb.156:
	s_or_b32 exec_lo, exec_lo, s9
.LBB32_157:
	s_delay_alu instid0(SALU_CYCLE_1)
	s_or_b32 exec_lo, exec_lo, s8
.LBB32_158:
	s_delay_alu instid0(SALU_CYCLE_1)
	s_or_b32 exec_lo, exec_lo, s7
.LBB32_159:
	s_delay_alu instid0(SALU_CYCLE_1)
	s_or_b32 exec_lo, exec_lo, s5
.LBB32_160:
	s_delay_alu instid0(SALU_CYCLE_1)
	s_or_b32 exec_lo, exec_lo, s3
.LBB32_161:
	s_delay_alu instid0(SALU_CYCLE_1) | instskip(SKIP_2) | instid1(VALU_DEP_1)
	s_or_b32 exec_lo, exec_lo, s2
	v_mul_f32_e32 v41, v12, v41
	s_mov_b32 s2, exec_lo
	v_cmpx_nle_f32_e64 0x40a00000, |v41|
	s_cbranch_execz .LBB32_173
; %bb.162:
	v_mov_b32_e32 v40, 6
	s_mov_b32 s3, exec_lo
	v_cmpx_nle_f32_e64 0x40600000, |v41|
	s_cbranch_execz .LBB32_172
; %bb.163:
	v_mov_b32_e32 v40, 5
	s_mov_b32 s5, exec_lo
	v_cmpx_nle_f32_e64 0x40200000, |v41|
	s_cbranch_execz .LBB32_171
; %bb.164:
	v_mov_b32_e32 v40, 4
	s_mov_b32 s7, exec_lo
	v_cmpx_nle_f32_e64 0x3fe00000, |v41|
	s_cbranch_execz .LBB32_170
; %bb.165:
	v_mov_b32_e32 v40, 3
	s_mov_b32 s8, exec_lo
	v_cmpx_nle_f32_e64 0x3fa00000, |v41|
	s_cbranch_execz .LBB32_169
; %bb.166:
	v_mov_b32_e32 v40, 2
	s_mov_b32 s9, exec_lo
	v_cmpx_nle_f32_e64 0x3f400000, |v41|
; %bb.167:
	v_cmp_le_f32_e64 s10, 0x3e800000, |v41|
	s_delay_alu instid0(VALU_DEP_1)
	v_cndmask_b32_e64 v40, 0, 1, s10
; %bb.168:
	s_or_b32 exec_lo, exec_lo, s9
.LBB32_169:
	s_delay_alu instid0(SALU_CYCLE_1)
	s_or_b32 exec_lo, exec_lo, s8
.LBB32_170:
	s_delay_alu instid0(SALU_CYCLE_1)
	s_or_b32 exec_lo, exec_lo, s7
.LBB32_171:
	s_delay_alu instid0(SALU_CYCLE_1)
	s_or_b32 exec_lo, exec_lo, s5
.LBB32_172:
	s_delay_alu instid0(SALU_CYCLE_1)
	s_or_b32 exec_lo, exec_lo, s3
.LBB32_173:
	s_delay_alu instid0(SALU_CYCLE_1) | instskip(SKIP_3) | instid1(VALU_DEP_2)
	s_or_b32 exec_lo, exec_lo, s2
	v_dual_mul_f32 v50, v12, v46 :: v_dual_mov_b32 v49, 7
	v_mov_b32_e32 v46, 7
	s_mov_b32 s2, exec_lo
	v_cmpx_nle_f32_e64 0x40a00000, |v50|
	s_cbranch_execz .LBB32_185
; %bb.174:
	v_mov_b32_e32 v49, 6
	s_mov_b32 s3, exec_lo
	v_cmpx_nle_f32_e64 0x40600000, |v50|
	s_cbranch_execz .LBB32_184
; %bb.175:
	;; [unrolled: 5-line block ×5, first 2 shown]
	v_mov_b32_e32 v49, 2
	s_mov_b32 s9, exec_lo
	v_cmpx_nle_f32_e64 0x3f400000, |v50|
; %bb.179:
	v_cmp_le_f32_e64 s10, 0x3e800000, |v50|
	s_delay_alu instid0(VALU_DEP_1)
	v_cndmask_b32_e64 v49, 0, 1, s10
; %bb.180:
	s_or_b32 exec_lo, exec_lo, s9
.LBB32_181:
	s_delay_alu instid0(SALU_CYCLE_1)
	s_or_b32 exec_lo, exec_lo, s8
.LBB32_182:
	s_delay_alu instid0(SALU_CYCLE_1)
	s_or_b32 exec_lo, exec_lo, s7
.LBB32_183:
	s_delay_alu instid0(SALU_CYCLE_1)
	s_or_b32 exec_lo, exec_lo, s5
.LBB32_184:
	s_delay_alu instid0(SALU_CYCLE_1)
	s_or_b32 exec_lo, exec_lo, s3
.LBB32_185:
	s_delay_alu instid0(SALU_CYCLE_1) | instskip(SKIP_2) | instid1(VALU_DEP_1)
	s_or_b32 exec_lo, exec_lo, s2
	v_mul_f32_e32 v47, v12, v47
	s_mov_b32 s2, exec_lo
	v_cmpx_nle_f32_e64 0x40a00000, |v47|
	s_cbranch_execz .LBB32_197
; %bb.186:
	v_mov_b32_e32 v46, 6
	s_mov_b32 s3, exec_lo
	v_cmpx_nle_f32_e64 0x40600000, |v47|
	s_cbranch_execz .LBB32_196
; %bb.187:
	v_mov_b32_e32 v46, 5
	;; [unrolled: 5-line block ×5, first 2 shown]
	s_mov_b32 s9, exec_lo
	v_cmpx_nle_f32_e64 0x3f400000, |v47|
; %bb.191:
	v_cmp_le_f32_e64 s10, 0x3e800000, |v47|
	s_delay_alu instid0(VALU_DEP_1)
	v_cndmask_b32_e64 v46, 0, 1, s10
; %bb.192:
	s_or_b32 exec_lo, exec_lo, s9
.LBB32_193:
	s_delay_alu instid0(SALU_CYCLE_1)
	s_or_b32 exec_lo, exec_lo, s8
.LBB32_194:
	s_delay_alu instid0(SALU_CYCLE_1)
	s_or_b32 exec_lo, exec_lo, s7
.LBB32_195:
	s_delay_alu instid0(SALU_CYCLE_1)
	s_or_b32 exec_lo, exec_lo, s5
.LBB32_196:
	s_delay_alu instid0(SALU_CYCLE_1)
	s_or_b32 exec_lo, exec_lo, s3
.LBB32_197:
	s_delay_alu instid0(SALU_CYCLE_1) | instskip(SKIP_3) | instid1(VALU_DEP_2)
	s_or_b32 exec_lo, exec_lo, s2
	v_dual_mul_f32 v54, v12, v51 :: v_dual_mov_b32 v51, 7
	v_mov_b32_e32 v53, 7
	s_mov_b32 s2, exec_lo
	v_cmpx_nle_f32_e64 0x40a00000, |v54|
	s_cbranch_execz .LBB32_209
; %bb.198:
	v_mov_b32_e32 v53, 6
	s_mov_b32 s3, exec_lo
	v_cmpx_nle_f32_e64 0x40600000, |v54|
	s_cbranch_execz .LBB32_208
; %bb.199:
	;; [unrolled: 5-line block ×5, first 2 shown]
	v_mov_b32_e32 v53, 2
	s_mov_b32 s9, exec_lo
	v_cmpx_nle_f32_e64 0x3f400000, |v54|
; %bb.203:
	v_cmp_le_f32_e64 s10, 0x3e800000, |v54|
	s_delay_alu instid0(VALU_DEP_1)
	v_cndmask_b32_e64 v53, 0, 1, s10
; %bb.204:
	s_or_b32 exec_lo, exec_lo, s9
.LBB32_205:
	s_delay_alu instid0(SALU_CYCLE_1)
	s_or_b32 exec_lo, exec_lo, s8
.LBB32_206:
	s_delay_alu instid0(SALU_CYCLE_1)
	s_or_b32 exec_lo, exec_lo, s7
.LBB32_207:
	s_delay_alu instid0(SALU_CYCLE_1)
	s_or_b32 exec_lo, exec_lo, s5
.LBB32_208:
	s_delay_alu instid0(SALU_CYCLE_1)
	s_or_b32 exec_lo, exec_lo, s3
.LBB32_209:
	s_delay_alu instid0(SALU_CYCLE_1) | instskip(SKIP_2) | instid1(VALU_DEP_1)
	s_or_b32 exec_lo, exec_lo, s2
	v_mul_f32_e32 v52, v12, v52
	s_mov_b32 s2, exec_lo
	v_cmpx_nle_f32_e64 0x40a00000, |v52|
	s_cbranch_execz .LBB32_221
; %bb.210:
	v_mov_b32_e32 v51, 6
	s_mov_b32 s3, exec_lo
	v_cmpx_nle_f32_e64 0x40600000, |v52|
	s_cbranch_execz .LBB32_220
; %bb.211:
	v_mov_b32_e32 v51, 5
	;; [unrolled: 5-line block ×5, first 2 shown]
	s_mov_b32 s9, exec_lo
	v_cmpx_nle_f32_e64 0x3f400000, |v52|
; %bb.215:
	v_cmp_le_f32_e64 s10, 0x3e800000, |v52|
	s_delay_alu instid0(VALU_DEP_1)
	v_cndmask_b32_e64 v51, 0, 1, s10
; %bb.216:
	s_or_b32 exec_lo, exec_lo, s9
.LBB32_217:
	s_delay_alu instid0(SALU_CYCLE_1)
	s_or_b32 exec_lo, exec_lo, s8
.LBB32_218:
	s_delay_alu instid0(SALU_CYCLE_1)
	s_or_b32 exec_lo, exec_lo, s7
.LBB32_219:
	s_delay_alu instid0(SALU_CYCLE_1)
	s_or_b32 exec_lo, exec_lo, s5
.LBB32_220:
	s_delay_alu instid0(SALU_CYCLE_1)
	s_or_b32 exec_lo, exec_lo, s3
.LBB32_221:
	s_delay_alu instid0(SALU_CYCLE_1) | instskip(SKIP_3) | instid1(VALU_DEP_2)
	s_or_b32 exec_lo, exec_lo, s2
	v_dual_mul_f32 v55, v12, v48 :: v_dual_mov_b32 v48, 7
	v_mov_b32_e32 v56, 7
	s_mov_b32 s2, exec_lo
	v_cmpx_nle_f32_e64 0x40a00000, |v55|
	s_cbranch_execz .LBB32_233
; %bb.222:
	v_mov_b32_e32 v56, 6
	s_mov_b32 s3, exec_lo
	v_cmpx_nle_f32_e64 0x40600000, |v55|
	s_cbranch_execz .LBB32_232
; %bb.223:
	;; [unrolled: 5-line block ×5, first 2 shown]
	v_mov_b32_e32 v56, 2
	s_mov_b32 s9, exec_lo
	v_cmpx_nle_f32_e64 0x3f400000, |v55|
; %bb.227:
	v_cmp_le_f32_e64 s10, 0x3e800000, |v55|
	s_delay_alu instid0(VALU_DEP_1)
	v_cndmask_b32_e64 v56, 0, 1, s10
; %bb.228:
	s_or_b32 exec_lo, exec_lo, s9
.LBB32_229:
	s_delay_alu instid0(SALU_CYCLE_1)
	s_or_b32 exec_lo, exec_lo, s8
.LBB32_230:
	s_delay_alu instid0(SALU_CYCLE_1)
	s_or_b32 exec_lo, exec_lo, s7
.LBB32_231:
	s_delay_alu instid0(SALU_CYCLE_1)
	s_or_b32 exec_lo, exec_lo, s5
.LBB32_232:
	s_delay_alu instid0(SALU_CYCLE_1)
	s_or_b32 exec_lo, exec_lo, s3
.LBB32_233:
	s_delay_alu instid0(SALU_CYCLE_1) | instskip(SKIP_2) | instid1(VALU_DEP_1)
	s_or_b32 exec_lo, exec_lo, s2
	v_mul_f32_e32 v45, v12, v45
	s_mov_b32 s2, exec_lo
	v_cmpx_nle_f32_e64 0x40a00000, |v45|
	s_cbranch_execz .LBB32_245
; %bb.234:
	v_mov_b32_e32 v48, 6
	s_mov_b32 s3, exec_lo
	v_cmpx_nle_f32_e64 0x40600000, |v45|
	s_cbranch_execz .LBB32_244
; %bb.235:
	v_mov_b32_e32 v48, 5
	;; [unrolled: 5-line block ×5, first 2 shown]
	s_mov_b32 s9, exec_lo
	v_cmpx_nle_f32_e64 0x3f400000, |v45|
; %bb.239:
	v_cmp_le_f32_e64 s10, 0x3e800000, |v45|
	s_delay_alu instid0(VALU_DEP_1)
	v_cndmask_b32_e64 v48, 0, 1, s10
; %bb.240:
	s_or_b32 exec_lo, exec_lo, s9
.LBB32_241:
	s_delay_alu instid0(SALU_CYCLE_1)
	s_or_b32 exec_lo, exec_lo, s8
.LBB32_242:
	s_delay_alu instid0(SALU_CYCLE_1)
	s_or_b32 exec_lo, exec_lo, s7
.LBB32_243:
	s_delay_alu instid0(SALU_CYCLE_1)
	s_or_b32 exec_lo, exec_lo, s5
.LBB32_244:
	s_delay_alu instid0(SALU_CYCLE_1)
	s_or_b32 exec_lo, exec_lo, s3
.LBB32_245:
	s_delay_alu instid0(SALU_CYCLE_1) | instskip(SKIP_3) | instid1(VALU_DEP_2)
	s_or_b32 exec_lo, exec_lo, s2
	v_dual_mul_f32 v57, v12, v42 :: v_dual_mov_b32 v42, 7
	v_mov_b32_e32 v58, 7
	s_mov_b32 s2, exec_lo
	v_cmpx_nle_f32_e64 0x40a00000, |v57|
	s_cbranch_execz .LBB32_257
; %bb.246:
	v_mov_b32_e32 v58, 6
	s_mov_b32 s3, exec_lo
	v_cmpx_nle_f32_e64 0x40600000, |v57|
	s_cbranch_execz .LBB32_256
; %bb.247:
	;; [unrolled: 5-line block ×5, first 2 shown]
	v_mov_b32_e32 v58, 2
	s_mov_b32 s9, exec_lo
	v_cmpx_nle_f32_e64 0x3f400000, |v57|
; %bb.251:
	v_cmp_le_f32_e64 s10, 0x3e800000, |v57|
	s_delay_alu instid0(VALU_DEP_1)
	v_cndmask_b32_e64 v58, 0, 1, s10
; %bb.252:
	s_or_b32 exec_lo, exec_lo, s9
.LBB32_253:
	s_delay_alu instid0(SALU_CYCLE_1)
	s_or_b32 exec_lo, exec_lo, s8
.LBB32_254:
	s_delay_alu instid0(SALU_CYCLE_1)
	s_or_b32 exec_lo, exec_lo, s7
.LBB32_255:
	s_delay_alu instid0(SALU_CYCLE_1)
	s_or_b32 exec_lo, exec_lo, s5
.LBB32_256:
	s_delay_alu instid0(SALU_CYCLE_1)
	s_or_b32 exec_lo, exec_lo, s3
.LBB32_257:
	s_delay_alu instid0(SALU_CYCLE_1) | instskip(SKIP_2) | instid1(VALU_DEP_1)
	s_or_b32 exec_lo, exec_lo, s2
	v_mul_f32_e32 v39, v12, v39
	s_mov_b32 s2, exec_lo
	v_cmpx_nle_f32_e64 0x40a00000, |v39|
	s_cbranch_execz .LBB32_269
; %bb.258:
	v_mov_b32_e32 v42, 6
	s_mov_b32 s3, exec_lo
	v_cmpx_nle_f32_e64 0x40600000, |v39|
	s_cbranch_execz .LBB32_268
; %bb.259:
	v_mov_b32_e32 v42, 5
	;; [unrolled: 5-line block ×5, first 2 shown]
	s_mov_b32 s9, exec_lo
	v_cmpx_nle_f32_e64 0x3f400000, |v39|
; %bb.263:
	v_cmp_le_f32_e64 s10, 0x3e800000, |v39|
	s_delay_alu instid0(VALU_DEP_1)
	v_cndmask_b32_e64 v42, 0, 1, s10
; %bb.264:
	s_or_b32 exec_lo, exec_lo, s9
.LBB32_265:
	s_delay_alu instid0(SALU_CYCLE_1)
	s_or_b32 exec_lo, exec_lo, s8
.LBB32_266:
	s_delay_alu instid0(SALU_CYCLE_1)
	s_or_b32 exec_lo, exec_lo, s7
.LBB32_267:
	s_delay_alu instid0(SALU_CYCLE_1)
	s_or_b32 exec_lo, exec_lo, s5
.LBB32_268:
	s_delay_alu instid0(SALU_CYCLE_1)
	s_or_b32 exec_lo, exec_lo, s3
.LBB32_269:
	s_delay_alu instid0(SALU_CYCLE_1) | instskip(SKIP_3) | instid1(VALU_DEP_2)
	s_or_b32 exec_lo, exec_lo, s2
	v_dual_mul_f32 v60, v12, v35 :: v_dual_mov_b32 v35, 7
	v_mov_b32_e32 v59, 7
	s_mov_b32 s2, exec_lo
	v_cmpx_nle_f32_e64 0x40a00000, |v60|
	s_cbranch_execz .LBB32_281
; %bb.270:
	v_mov_b32_e32 v59, 6
	s_mov_b32 s3, exec_lo
	v_cmpx_nle_f32_e64 0x40600000, |v60|
	s_cbranch_execz .LBB32_280
; %bb.271:
	;; [unrolled: 5-line block ×5, first 2 shown]
	v_mov_b32_e32 v59, 2
	s_mov_b32 s9, exec_lo
	v_cmpx_nle_f32_e64 0x3f400000, |v60|
; %bb.275:
	v_cmp_le_f32_e64 s10, 0x3e800000, |v60|
	s_delay_alu instid0(VALU_DEP_1)
	v_cndmask_b32_e64 v59, 0, 1, s10
; %bb.276:
	s_or_b32 exec_lo, exec_lo, s9
.LBB32_277:
	s_delay_alu instid0(SALU_CYCLE_1)
	s_or_b32 exec_lo, exec_lo, s8
.LBB32_278:
	s_delay_alu instid0(SALU_CYCLE_1)
	s_or_b32 exec_lo, exec_lo, s7
.LBB32_279:
	s_delay_alu instid0(SALU_CYCLE_1)
	s_or_b32 exec_lo, exec_lo, s5
.LBB32_280:
	s_delay_alu instid0(SALU_CYCLE_1)
	s_or_b32 exec_lo, exec_lo, s3
.LBB32_281:
	s_delay_alu instid0(SALU_CYCLE_1) | instskip(SKIP_2) | instid1(VALU_DEP_1)
	s_or_b32 exec_lo, exec_lo, s2
	v_mul_f32_e32 v33, v12, v33
	s_mov_b32 s2, exec_lo
	v_cmpx_nle_f32_e64 0x40a00000, |v33|
	s_cbranch_execz .LBB32_293
; %bb.282:
	v_mov_b32_e32 v35, 6
	s_mov_b32 s3, exec_lo
	v_cmpx_nle_f32_e64 0x40600000, |v33|
	s_cbranch_execz .LBB32_292
; %bb.283:
	v_mov_b32_e32 v35, 5
	;; [unrolled: 5-line block ×5, first 2 shown]
	s_mov_b32 s9, exec_lo
	v_cmpx_nle_f32_e64 0x3f400000, |v33|
; %bb.287:
	v_cmp_le_f32_e64 s10, 0x3e800000, |v33|
	s_delay_alu instid0(VALU_DEP_1)
	v_cndmask_b32_e64 v35, 0, 1, s10
; %bb.288:
	s_or_b32 exec_lo, exec_lo, s9
.LBB32_289:
	s_delay_alu instid0(SALU_CYCLE_1)
	s_or_b32 exec_lo, exec_lo, s8
.LBB32_290:
	s_delay_alu instid0(SALU_CYCLE_1)
	s_or_b32 exec_lo, exec_lo, s7
.LBB32_291:
	s_delay_alu instid0(SALU_CYCLE_1)
	s_or_b32 exec_lo, exec_lo, s5
.LBB32_292:
	s_delay_alu instid0(SALU_CYCLE_1)
	s_or_b32 exec_lo, exec_lo, s3
.LBB32_293:
	s_delay_alu instid0(SALU_CYCLE_1) | instskip(SKIP_3) | instid1(VALU_DEP_2)
	s_or_b32 exec_lo, exec_lo, s2
	v_dual_mul_f32 v62, v12, v31 :: v_dual_mov_b32 v31, 7
	v_mov_b32_e32 v61, 7
	s_mov_b32 s2, exec_lo
	v_cmpx_nle_f32_e64 0x40a00000, |v62|
	s_cbranch_execz .LBB32_305
; %bb.294:
	v_mov_b32_e32 v61, 6
	s_mov_b32 s3, exec_lo
	v_cmpx_nle_f32_e64 0x40600000, |v62|
	s_cbranch_execz .LBB32_304
; %bb.295:
	;; [unrolled: 5-line block ×5, first 2 shown]
	v_mov_b32_e32 v61, 2
	s_mov_b32 s9, exec_lo
	v_cmpx_nle_f32_e64 0x3f400000, |v62|
; %bb.299:
	v_cmp_le_f32_e64 s10, 0x3e800000, |v62|
	s_delay_alu instid0(VALU_DEP_1)
	v_cndmask_b32_e64 v61, 0, 1, s10
; %bb.300:
	s_or_b32 exec_lo, exec_lo, s9
.LBB32_301:
	s_delay_alu instid0(SALU_CYCLE_1)
	s_or_b32 exec_lo, exec_lo, s8
.LBB32_302:
	s_delay_alu instid0(SALU_CYCLE_1)
	s_or_b32 exec_lo, exec_lo, s7
.LBB32_303:
	s_delay_alu instid0(SALU_CYCLE_1)
	s_or_b32 exec_lo, exec_lo, s5
.LBB32_304:
	s_delay_alu instid0(SALU_CYCLE_1)
	s_or_b32 exec_lo, exec_lo, s3
.LBB32_305:
	s_delay_alu instid0(SALU_CYCLE_1) | instskip(SKIP_2) | instid1(VALU_DEP_1)
	s_or_b32 exec_lo, exec_lo, s2
	v_mul_f32_e32 v27, v12, v27
	s_mov_b32 s2, exec_lo
	v_cmpx_nle_f32_e64 0x40a00000, |v27|
	s_cbranch_execz .LBB32_317
; %bb.306:
	v_mov_b32_e32 v31, 6
	s_mov_b32 s3, exec_lo
	v_cmpx_nle_f32_e64 0x40600000, |v27|
	s_cbranch_execz .LBB32_316
; %bb.307:
	v_mov_b32_e32 v31, 5
	s_mov_b32 s5, exec_lo
	v_cmpx_nle_f32_e64 0x40200000, |v27|
	s_cbranch_execz .LBB32_315
; %bb.308:
	v_mov_b32_e32 v31, 4
	s_mov_b32 s7, exec_lo
	v_cmpx_nle_f32_e64 0x3fe00000, |v27|
	s_cbranch_execz .LBB32_314
; %bb.309:
	v_mov_b32_e32 v31, 3
	s_mov_b32 s8, exec_lo
	v_cmpx_nle_f32_e64 0x3fa00000, |v27|
	s_cbranch_execz .LBB32_313
; %bb.310:
	v_mov_b32_e32 v31, 2
	s_mov_b32 s9, exec_lo
	v_cmpx_nle_f32_e64 0x3f400000, |v27|
; %bb.311:
	v_cmp_le_f32_e64 s10, 0x3e800000, |v27|
	s_delay_alu instid0(VALU_DEP_1)
	v_cndmask_b32_e64 v31, 0, 1, s10
; %bb.312:
	s_or_b32 exec_lo, exec_lo, s9
.LBB32_313:
	s_delay_alu instid0(SALU_CYCLE_1)
	s_or_b32 exec_lo, exec_lo, s8
.LBB32_314:
	s_delay_alu instid0(SALU_CYCLE_1)
	s_or_b32 exec_lo, exec_lo, s7
.LBB32_315:
	s_delay_alu instid0(SALU_CYCLE_1)
	s_or_b32 exec_lo, exec_lo, s5
.LBB32_316:
	s_delay_alu instid0(SALU_CYCLE_1)
	s_or_b32 exec_lo, exec_lo, s3
.LBB32_317:
	s_delay_alu instid0(SALU_CYCLE_1) | instskip(SKIP_3) | instid1(VALU_DEP_2)
	s_or_b32 exec_lo, exec_lo, s2
	v_dual_mul_f32 v64, v12, v25 :: v_dual_mov_b32 v25, 7
	v_mov_b32_e32 v63, 7
	s_mov_b32 s2, exec_lo
	v_cmpx_nle_f32_e64 0x40a00000, |v64|
	s_cbranch_execz .LBB32_329
; %bb.318:
	v_mov_b32_e32 v63, 6
	s_mov_b32 s3, exec_lo
	v_cmpx_nle_f32_e64 0x40600000, |v64|
	s_cbranch_execz .LBB32_328
; %bb.319:
	;; [unrolled: 5-line block ×5, first 2 shown]
	v_mov_b32_e32 v63, 2
	s_mov_b32 s9, exec_lo
	v_cmpx_nle_f32_e64 0x3f400000, |v64|
; %bb.323:
	v_cmp_le_f32_e64 s10, 0x3e800000, |v64|
	s_delay_alu instid0(VALU_DEP_1)
	v_cndmask_b32_e64 v63, 0, 1, s10
; %bb.324:
	s_or_b32 exec_lo, exec_lo, s9
.LBB32_325:
	s_delay_alu instid0(SALU_CYCLE_1)
	s_or_b32 exec_lo, exec_lo, s8
.LBB32_326:
	s_delay_alu instid0(SALU_CYCLE_1)
	s_or_b32 exec_lo, exec_lo, s7
.LBB32_327:
	s_delay_alu instid0(SALU_CYCLE_1)
	s_or_b32 exec_lo, exec_lo, s5
.LBB32_328:
	s_delay_alu instid0(SALU_CYCLE_1)
	s_or_b32 exec_lo, exec_lo, s3
.LBB32_329:
	s_delay_alu instid0(SALU_CYCLE_1) | instskip(SKIP_2) | instid1(VALU_DEP_1)
	s_or_b32 exec_lo, exec_lo, s2
	v_mul_f32_e32 v21, v12, v21
	s_mov_b32 s2, exec_lo
	v_cmpx_nle_f32_e64 0x40a00000, |v21|
	s_cbranch_execz .LBB32_341
; %bb.330:
	v_mov_b32_e32 v25, 6
	s_mov_b32 s3, exec_lo
	v_cmpx_nle_f32_e64 0x40600000, |v21|
	s_cbranch_execz .LBB32_340
; %bb.331:
	v_mov_b32_e32 v25, 5
	;; [unrolled: 5-line block ×5, first 2 shown]
	s_mov_b32 s9, exec_lo
	v_cmpx_nle_f32_e64 0x3f400000, |v21|
; %bb.335:
	v_cmp_le_f32_e64 s10, 0x3e800000, |v21|
	s_delay_alu instid0(VALU_DEP_1)
	v_cndmask_b32_e64 v25, 0, 1, s10
; %bb.336:
	s_or_b32 exec_lo, exec_lo, s9
.LBB32_337:
	s_delay_alu instid0(SALU_CYCLE_1)
	s_or_b32 exec_lo, exec_lo, s8
.LBB32_338:
	s_delay_alu instid0(SALU_CYCLE_1)
	s_or_b32 exec_lo, exec_lo, s7
.LBB32_339:
	s_delay_alu instid0(SALU_CYCLE_1)
	s_or_b32 exec_lo, exec_lo, s5
.LBB32_340:
	s_delay_alu instid0(SALU_CYCLE_1)
	s_or_b32 exec_lo, exec_lo, s3
.LBB32_341:
	s_delay_alu instid0(SALU_CYCLE_1) | instskip(SKIP_3) | instid1(VALU_DEP_2)
	s_or_b32 exec_lo, exec_lo, s2
	v_dual_mul_f32 v65, v12, v19 :: v_dual_mov_b32 v66, 7
	v_mov_b32_e32 v19, 7
	s_mov_b32 s2, exec_lo
	v_cmpx_nle_f32_e64 0x40a00000, |v65|
	s_cbranch_execz .LBB32_353
; %bb.342:
	v_mov_b32_e32 v66, 6
	s_mov_b32 s3, exec_lo
	v_cmpx_nle_f32_e64 0x40600000, |v65|
	s_cbranch_execz .LBB32_352
; %bb.343:
	;; [unrolled: 5-line block ×5, first 2 shown]
	v_mov_b32_e32 v66, 2
	s_mov_b32 s9, exec_lo
	v_cmpx_nle_f32_e64 0x3f400000, |v65|
; %bb.347:
	v_cmp_le_f32_e64 s10, 0x3e800000, |v65|
	s_delay_alu instid0(VALU_DEP_1)
	v_cndmask_b32_e64 v66, 0, 1, s10
; %bb.348:
	s_or_b32 exec_lo, exec_lo, s9
.LBB32_349:
	s_delay_alu instid0(SALU_CYCLE_1)
	s_or_b32 exec_lo, exec_lo, s8
.LBB32_350:
	s_delay_alu instid0(SALU_CYCLE_1)
	s_or_b32 exec_lo, exec_lo, s7
.LBB32_351:
	s_delay_alu instid0(SALU_CYCLE_1)
	s_or_b32 exec_lo, exec_lo, s5
.LBB32_352:
	s_delay_alu instid0(SALU_CYCLE_1)
	s_or_b32 exec_lo, exec_lo, s3
.LBB32_353:
	s_delay_alu instid0(SALU_CYCLE_1) | instskip(SKIP_2) | instid1(VALU_DEP_1)
	s_or_b32 exec_lo, exec_lo, s2
	v_mul_f32_e32 v15, v12, v15
	s_mov_b32 s2, exec_lo
	v_cmpx_nle_f32_e64 0x40a00000, |v15|
	s_cbranch_execz .LBB32_365
; %bb.354:
	v_mov_b32_e32 v19, 6
	s_mov_b32 s3, exec_lo
	v_cmpx_nle_f32_e64 0x40600000, |v15|
	s_cbranch_execz .LBB32_364
; %bb.355:
	v_mov_b32_e32 v19, 5
	;; [unrolled: 5-line block ×5, first 2 shown]
	s_mov_b32 s9, exec_lo
	v_cmpx_nle_f32_e64 0x3f400000, |v15|
; %bb.359:
	v_cmp_le_f32_e64 s10, 0x3e800000, |v15|
	s_delay_alu instid0(VALU_DEP_1)
	v_cndmask_b32_e64 v19, 0, 1, s10
; %bb.360:
	s_or_b32 exec_lo, exec_lo, s9
.LBB32_361:
	s_delay_alu instid0(SALU_CYCLE_1)
	s_or_b32 exec_lo, exec_lo, s8
.LBB32_362:
	s_delay_alu instid0(SALU_CYCLE_1)
	s_or_b32 exec_lo, exec_lo, s7
.LBB32_363:
	s_delay_alu instid0(SALU_CYCLE_1)
	s_or_b32 exec_lo, exec_lo, s5
.LBB32_364:
	s_delay_alu instid0(SALU_CYCLE_1)
	s_or_b32 exec_lo, exec_lo, s3
.LBB32_365:
	s_delay_alu instid0(SALU_CYCLE_1) | instskip(SKIP_4) | instid1(VALU_DEP_2)
	s_or_b32 exec_lo, exec_lo, s2
	s_load_b64 s[2:3], s[0:1], 0x10
	v_dual_mul_f32 v67, v12, v13 :: v_dual_mov_b32 v68, 7
	v_mov_b32_e32 v13, 7
	s_mov_b32 s5, exec_lo
	v_cmpx_nle_f32_e64 0x40a00000, |v67|
	s_cbranch_execz .LBB32_377
; %bb.366:
	v_mov_b32_e32 v68, 6
	s_mov_b32 s7, exec_lo
	v_cmpx_nle_f32_e64 0x40600000, |v67|
	s_cbranch_execz .LBB32_376
; %bb.367:
	v_mov_b32_e32 v68, 5
	s_mov_b32 s8, exec_lo
	v_cmpx_nle_f32_e64 0x40200000, |v67|
	s_cbranch_execz .LBB32_375
; %bb.368:
	v_mov_b32_e32 v68, 4
	s_mov_b32 s9, exec_lo
	v_cmpx_nle_f32_e64 0x3fe00000, |v67|
	s_cbranch_execz .LBB32_374
; %bb.369:
	v_mov_b32_e32 v68, 3
	s_mov_b32 s10, exec_lo
	v_cmpx_nle_f32_e64 0x3fa00000, |v67|
	s_cbranch_execz .LBB32_373
; %bb.370:
	v_mov_b32_e32 v68, 2
	s_mov_b32 s11, exec_lo
	v_cmpx_nle_f32_e64 0x3f400000, |v67|
; %bb.371:
	v_cmp_le_f32_e64 s12, 0x3e800000, |v67|
	s_delay_alu instid0(VALU_DEP_1)
	v_cndmask_b32_e64 v68, 0, 1, s12
; %bb.372:
	s_or_b32 exec_lo, exec_lo, s11
.LBB32_373:
	s_delay_alu instid0(SALU_CYCLE_1)
	s_or_b32 exec_lo, exec_lo, s10
.LBB32_374:
	s_delay_alu instid0(SALU_CYCLE_1)
	s_or_b32 exec_lo, exec_lo, s9
.LBB32_375:
	s_delay_alu instid0(SALU_CYCLE_1)
	s_or_b32 exec_lo, exec_lo, s8
.LBB32_376:
	s_delay_alu instid0(SALU_CYCLE_1)
	s_or_b32 exec_lo, exec_lo, s7
.LBB32_377:
	s_delay_alu instid0(SALU_CYCLE_1) | instskip(SKIP_3) | instid1(VALU_DEP_1)
	s_or_b32 exec_lo, exec_lo, s5
	s_load_b64 s[0:1], s[0:1], 0x8
	v_mul_f32_e32 v8, v12, v8
	s_mov_b32 s5, exec_lo
	v_cmpx_nle_f32_e64 0x40a00000, |v8|
	s_cbranch_execz .LBB32_389
; %bb.378:
	v_mov_b32_e32 v13, 6
	s_mov_b32 s7, exec_lo
	v_cmpx_nle_f32_e64 0x40600000, |v8|
	s_cbranch_execz .LBB32_388
; %bb.379:
	v_mov_b32_e32 v13, 5
	;; [unrolled: 5-line block ×5, first 2 shown]
	s_mov_b32 s11, exec_lo
	v_cmpx_nle_f32_e64 0x3f400000, |v8|
; %bb.383:
	v_cmp_le_f32_e64 s12, 0x3e800000, |v8|
	s_delay_alu instid0(VALU_DEP_1)
	v_cndmask_b32_e64 v13, 0, 1, s12
; %bb.384:
	s_or_b32 exec_lo, exec_lo, s11
.LBB32_385:
	s_delay_alu instid0(SALU_CYCLE_1)
	s_or_b32 exec_lo, exec_lo, s10
.LBB32_386:
	s_delay_alu instid0(SALU_CYCLE_1)
	s_or_b32 exec_lo, exec_lo, s9
.LBB32_387:
	s_delay_alu instid0(SALU_CYCLE_1)
	s_or_b32 exec_lo, exec_lo, s8
.LBB32_388:
	s_delay_alu instid0(SALU_CYCLE_1)
	s_or_b32 exec_lo, exec_lo, s7
.LBB32_389:
	s_delay_alu instid0(SALU_CYCLE_1)
	s_or_b32 exec_lo, exec_lo, s5
	v_cmp_gt_f32_e32 vcc_lo, 0, v67
	v_lshlrev_b16 v6, 4, v6
	v_lshlrev_b16 v25, 4, v25
	;; [unrolled: 1-line block ×4, first 2 shown]
	v_cndmask_b32_e64 v12, 0, 1, vcc_lo
	v_cmp_gt_f32_e32 vcc_lo, 0, v65
	s_lshr_b32 s5, s4, 31
	s_delay_alu instid0(SALU_CYCLE_1) | instskip(NEXT) | instid1(VALU_DEP_2)
	s_add_i32 s4, s4, s5
	v_lshlrev_b16 v12, 3, v12
	v_cndmask_b32_e64 v65, 0, 1, vcc_lo
	v_cmp_gt_f32_e32 vcc_lo, 0, v64
	s_ashr_i32 s4, s4, 1
	s_delay_alu instid0(SALU_CYCLE_1) | instskip(NEXT) | instid1(VALU_DEP_2)
	s_ashr_i32 s5, s4, 31
	v_lshlrev_b16 v65, 3, v65
	v_cndmask_b32_e64 v64, 0, 1, vcc_lo
	v_cmp_gt_f32_e32 vcc_lo, 0, v62
	v_or_b32_e32 v12, v12, v68
	v_mul_lo_u32 v1, v1, s4
	v_or_b32_e32 v65, v65, v66
	v_lshlrev_b16 v64, 3, v64
	v_cndmask_b32_e64 v62, 0, 1, vcc_lo
	v_cmp_gt_f32_e32 vcc_lo, 0, v60
	s_delay_alu instid0(VALU_DEP_3) | instskip(NEXT) | instid1(VALU_DEP_3)
	v_or_b32_e32 v63, v64, v63
	v_lshlrev_b16 v62, 3, v62
	v_cndmask_b32_e64 v60, 0, 1, vcc_lo
	v_cmp_gt_f32_e32 vcc_lo, 0, v57
	s_delay_alu instid0(VALU_DEP_3) | instskip(NEXT) | instid1(VALU_DEP_3)
	;; [unrolled: 5-line block ×11, first 2 shown]
	v_or_b32_e32 v23, v24, v23
	v_lshlrev_b16 v18, 3, v18
	v_cndmask_b32_e64 v4, 0, 1, vcc_lo
	v_cmp_gt_f32_e32 vcc_lo, 0, v7
	s_delay_alu instid0(VALU_DEP_2) | instskip(SKIP_2) | instid1(VALU_DEP_3)
	v_lshlrev_b16 v4, 3, v4
	v_cndmask_b32_e64 v7, 0, 1, vcc_lo
	v_cmp_gt_f32_e32 vcc_lo, 0, v10
	v_or_b32_e32 v4, v4, v5
	s_delay_alu instid0(VALU_DEP_3)
	v_lshlrev_b16 v7, 7, v7
	v_cndmask_b32_e64 v10, 0, 1, vcc_lo
	v_cmp_gt_f32_e32 vcc_lo, 0, v14
	v_lshlrev_b16 v14, 4, v22
	v_lshlrev_b16 v22, 4, v48
	v_or_b32_e32 v5, v7, v6
	v_lshlrev_b16 v10, 3, v10
	v_cndmask_b32_e64 v6, 0, 1, vcc_lo
	v_cmp_gt_f32_e32 vcc_lo, 0, v20
	v_or_b32_e32 v7, v18, v17
	v_or_b32_e32 v4, v5, v4
	v_lshlrev_b16 v5, 4, v9
	v_or_b32_e32 v10, v10, v11
	v_cndmask_b32_e64 v9, 0, 1, vcc_lo
	v_cmp_gt_f32_e32 vcc_lo, 0, v26
	v_lshlrev_b16 v6, 7, v6
	v_lshlrev_b16 v17, 4, v40
	;; [unrolled: 1-line block ×4, first 2 shown]
	v_cndmask_b32_e64 v11, 0, 1, vcc_lo
	v_cmp_gt_f32_e32 vcc_lo, 0, v32
	v_or_b32_e32 v5, v6, v5
	v_lshlrev_b16 v6, 4, v16
	s_delay_alu instid0(VALU_DEP_4)
	v_lshlrev_b16 v11, 7, v11
	v_cndmask_b32_e64 v16, 0, 1, vcc_lo
	v_cmp_gt_f32_e32 vcc_lo, 0, v37
	v_or_b32_e32 v10, v5, v10
	v_or_b32_e32 v5, v9, v6
	;; [unrolled: 1-line block ×3, first 2 shown]
	v_lshlrev_b16 v9, 4, v28
	v_cndmask_b32_e64 v14, 0, 1, vcc_lo
	v_cmp_gt_f32_e32 vcc_lo, 0, v41
	v_lshlrev_b16 v11, 7, v16
	v_or_b32_e32 v7, v5, v7
	v_or_b32_e32 v6, v6, v23
	v_lshlrev_b16 v14, 7, v14
	v_cndmask_b32_e64 v16, 0, 1, vcc_lo
	v_or_b32_e32 v9, v11, v9
	v_lshlrev_b16 v11, 4, v34
	v_cmp_gt_f32_e32 vcc_lo, 0, v47
	v_lshlrev_b16 v10, 8, v10
	v_lshlrev_b16 v16, 7, v16
	v_or_b32_e32 v9, v9, v29
	v_or_b32_e32 v5, v14, v11
	v_lshlrev_b16 v14, 4, v46
	v_lshlrev_b16 v6, 8, v6
	v_or_b32_e32 v11, v16, v17
	v_cndmask_b32_e64 v16, 0, 1, vcc_lo
	v_cmp_gt_f32_e32 vcc_lo, 0, v52
	v_or_b32_e32 v23, v5, v36
	v_or_b32_e32 v4, v4, v10
	;; [unrolled: 1-line block ×3, first 2 shown]
	v_lshlrev_b16 v16, 7, v16
	v_cndmask_b32_e64 v17, 0, 1, vcc_lo
	v_cmp_gt_f32_e32 vcc_lo, 0, v45
	v_or_b32_e32 v10, v7, v6
	s_delay_alu instid0(VALU_DEP_4) | instskip(NEXT) | instid1(VALU_DEP_4)
	v_or_b32_e32 v5, v16, v14
	v_lshlrev_b16 v17, 7, v17
	v_cndmask_b32_e64 v18, 0, 1, vcc_lo
	v_cmp_gt_f32_e32 vcc_lo, 0, v39
	v_lshlrev_b32_e32 v10, 16, v10
	s_delay_alu instid0(VALU_DEP_4) | instskip(NEXT) | instid1(VALU_DEP_4)
	v_or_b32_e32 v14, v17, v20
	v_lshlrev_b16 v18, 7, v18
	v_cndmask_b32_e64 v17, 0, 1, vcc_lo
	v_cmp_gt_f32_e32 vcc_lo, 0, v21
	v_lshlrev_b16 v20, 4, v35
	v_or_b32_e32 v14, v14, v53
	v_or_b32_e32 v16, v18, v22
	v_lshlrev_b16 v22, 4, v31
	v_cndmask_b32_e64 v21, 0, 1, vcc_lo
	v_cmp_gt_f32_e32 vcc_lo, 0, v27
	v_or_b32_e32 v18, v5, v49
	v_or_b32_e32 v5, v16, v55
	v_lshlrev_b16 v16, 4, v42
	v_lshlrev_b16 v21, 7, v21
	v_cndmask_b32_e64 v24, 0, 1, vcc_lo
	v_cmp_gt_f32_e32 vcc_lo, 0, v8
	v_lshlrev_b16 v17, 7, v17
	s_delay_alu instid0(VALU_DEP_4) | instskip(NEXT) | instid1(VALU_DEP_4)
	v_or_b32_e32 v21, v21, v25
	v_lshlrev_b16 v24, 7, v24
	v_cndmask_b32_e64 v8, 0, 1, vcc_lo
	v_cmp_gt_f32_e32 vcc_lo, 0, v15
	v_or_b32_e32 v16, v17, v16
	v_lshrrev_b32_e32 v17, 23, v3
	v_or_b32_e32 v22, v24, v22
	v_lshlrev_b16 v8, 7, v8
	v_cndmask_b32_e64 v15, 0, 1, vcc_lo
	v_cmp_gt_f32_e32 vcc_lo, 0, v33
	v_lshlrev_b16 v3, 8, v5
	v_or_b32_e32 v16, v16, v57
	v_or_b32_e32 v8, v8, v13
	v_lshlrev_b16 v15, 7, v15
	v_cndmask_b32_e64 v13, 0, 1, vcc_lo
	v_or_b32_e32 v3, v14, v3
	v_lshlrev_b16 v14, 8, v18
	v_or_b32_e32 v8, v8, v12
	v_or_b32_e32 v15, v15, v19
	;; [unrolled: 1-line block ×3, first 2 shown]
	v_lshlrev_b16 v12, 7, v13
	v_or_b32_e32 v13, v22, v61
	v_lshlrev_b16 v8, 8, v8
	v_or_b32_e32 v15, v15, v65
	v_lshlrev_b16 v19, 8, v19
	v_ashrrev_i32_e32 v21, 31, v0
	v_or_b32_e32 v11, v11, v14
	v_or_b32_e32 v12, v12, v20
	;; [unrolled: 1-line block ×4, first 2 shown]
	v_lshrrev_b32_e32 v15, 27, v21
	v_lshrrev_b32_e32 v14, 28, v21
	v_or_b32_e32 v12, v12, v59
	v_lshlrev_b32_e32 v8, 16, v8
	v_and_b32_e32 v13, 0xffff, v13
	v_add_nc_u32_e32 v15, v0, v15
	v_add_nc_u32_e32 v7, v0, v14
	v_lshlrev_b32_e32 v14, 6, v2
	v_lshlrev_b16 v12, 8, v12
	v_or_b32_e32 v5, v13, v8
	v_and_b32_e32 v8, 0xffe0, v15
	v_lshlrev_b16 v13, 8, v23
	v_and_b32_e32 v7, 0x3ffffff0, v7
	v_or_b32_e32 v12, v16, v12
	v_and_b32_e32 v3, 0xffff, v3
	v_sub_nc_u32_e32 v8, v0, v8
	v_or_b32_e32 v9, v9, v13
	v_sub_nc_u32_e32 v7, v0, v7
	v_lshlrev_b32_e32 v12, 16, v12
	v_lshlrev_b32_e32 v11, 16, v11
	v_bfe_i32 v13, v8, 0, 8
	v_and_b32_e32 v9, 0xffff, v9
	s_delay_alu instid0(VALU_DEP_2) | instskip(NEXT) | instid1(VALU_DEP_1)
	v_lshrrev_b16 v13, 11, v13
	v_and_b32_e32 v6, 15, v13
	v_lshrrev_b32_e32 v13, 5, v15
	v_lshrrev_b32_e32 v15, 1, v2
	s_delay_alu instid0(VALU_DEP_3) | instskip(NEXT) | instid1(VALU_DEP_3)
	v_add_nc_u16 v6, v8, v6
	v_mul_lo_u32 v8, v13, s6
	v_and_b32_e32 v13, 0xc0, v14
	v_and_b32_e32 v14, 0x3fffff8, v2
	s_delay_alu instid0(VALU_DEP_4) | instskip(NEXT) | instid1(VALU_DEP_3)
	v_bfe_i32 v6, v6, 0, 8
	v_lshl_add_u32 v7, v7, 2, v13
	v_mul_lo_u32 v13, v0, s5
	s_delay_alu instid0(VALU_DEP_4) | instskip(NEXT) | instid1(VALU_DEP_4)
	v_add_lshl_u32 v8, v8, v14, 5
	v_ashrrev_i16 v6, 4, v6
	s_delay_alu instid0(VALU_DEP_4) | instskip(NEXT) | instid1(VALU_DEP_2)
	v_and_or_b32 v15, v15, 2, v7
	v_bfe_i32 v14, v6, 0, 16
	s_waitcnt lgkmcnt(0)
	v_mad_u64_u32 v[6:7], null, v0, s4, s[0:1]
	v_and_b32_e32 v0, 0xffff, v4
	v_or_b32_e32 v4, v3, v12
	v_add3_u32 v8, v15, v8, v14
	v_or_b32_e32 v3, v9, v11
	v_lshlrev_b32_e32 v9, 4, v2
	v_or_b32_e32 v2, v0, v10
	v_add3_u32 v1, v1, v7, v13
	v_ashrrev_i32_e32 v7, 31, v8
	s_delay_alu instid0(VALU_DEP_4) | instskip(NEXT) | instid1(VALU_DEP_3)
	v_add_co_u32 v0, vcc_lo, v6, v9
	v_add_co_ci_u32_e32 v1, vcc_lo, 0, v1, vcc_lo
	v_add_co_u32 v6, vcc_lo, s2, v8
	s_delay_alu instid0(VALU_DEP_4)
	v_add_co_ci_u32_e32 v7, vcc_lo, s3, v7, vcc_lo
	global_store_b128 v[0:1], v[2:5], off
	global_store_b8 v[6:7], v17, off
.LBB32_390:
	s_nop 0
	s_sendmsg sendmsg(MSG_DEALLOC_VGPRS)
	s_endpgm
	.section	.rodata,"a",@progbits
	.p2align	6, 0x0
	.amdhsa_kernel _ZN5aiter18quant_mxfp4_kernelI12hip_bfloat16LNS_16MxScaleRoundModeE2ELb1ELb0ELb0EEEvPKT_PhPfliiib
		.amdhsa_group_segment_fixed_size 0
		.amdhsa_private_segment_fixed_size 0
		.amdhsa_kernarg_size 304
		.amdhsa_user_sgpr_count 15
		.amdhsa_user_sgpr_dispatch_ptr 0
		.amdhsa_user_sgpr_queue_ptr 0
		.amdhsa_user_sgpr_kernarg_segment_ptr 1
		.amdhsa_user_sgpr_dispatch_id 0
		.amdhsa_user_sgpr_private_segment_size 0
		.amdhsa_wavefront_size32 1
		.amdhsa_uses_dynamic_stack 0
		.amdhsa_enable_private_segment 0
		.amdhsa_system_sgpr_workgroup_id_x 1
		.amdhsa_system_sgpr_workgroup_id_y 0
		.amdhsa_system_sgpr_workgroup_id_z 0
		.amdhsa_system_sgpr_workgroup_info 0
		.amdhsa_system_vgpr_workitem_id 0
		.amdhsa_next_free_vgpr 69
		.amdhsa_next_free_sgpr 16
		.amdhsa_reserve_vcc 1
		.amdhsa_float_round_mode_32 0
		.amdhsa_float_round_mode_16_64 0
		.amdhsa_float_denorm_mode_32 3
		.amdhsa_float_denorm_mode_16_64 3
		.amdhsa_dx10_clamp 1
		.amdhsa_ieee_mode 1
		.amdhsa_fp16_overflow 0
		.amdhsa_workgroup_processor_mode 1
		.amdhsa_memory_ordered 1
		.amdhsa_forward_progress 0
		.amdhsa_shared_vgpr_count 0
		.amdhsa_exception_fp_ieee_invalid_op 0
		.amdhsa_exception_fp_denorm_src 0
		.amdhsa_exception_fp_ieee_div_zero 0
		.amdhsa_exception_fp_ieee_overflow 0
		.amdhsa_exception_fp_ieee_underflow 0
		.amdhsa_exception_fp_ieee_inexact 0
		.amdhsa_exception_int_div_zero 0
	.end_amdhsa_kernel
	.section	.text._ZN5aiter18quant_mxfp4_kernelI12hip_bfloat16LNS_16MxScaleRoundModeE2ELb1ELb0ELb0EEEvPKT_PhPfliiib,"axG",@progbits,_ZN5aiter18quant_mxfp4_kernelI12hip_bfloat16LNS_16MxScaleRoundModeE2ELb1ELb0ELb0EEEvPKT_PhPfliiib,comdat
.Lfunc_end32:
	.size	_ZN5aiter18quant_mxfp4_kernelI12hip_bfloat16LNS_16MxScaleRoundModeE2ELb1ELb0ELb0EEEvPKT_PhPfliiib, .Lfunc_end32-_ZN5aiter18quant_mxfp4_kernelI12hip_bfloat16LNS_16MxScaleRoundModeE2ELb1ELb0ELb0EEEvPKT_PhPfliiib
                                        ; -- End function
	.section	.AMDGPU.csdata,"",@progbits
; Kernel info:
; codeLenInByte = 10196
; NumSgprs: 18
; NumVgprs: 69
; ScratchSize: 0
; MemoryBound: 0
; FloatMode: 240
; IeeeMode: 1
; LDSByteSize: 0 bytes/workgroup (compile time only)
; SGPRBlocks: 2
; VGPRBlocks: 8
; NumSGPRsForWavesPerEU: 18
; NumVGPRsForWavesPerEU: 69
; Occupancy: 16
; WaveLimiterHint : 0
; COMPUTE_PGM_RSRC2:SCRATCH_EN: 0
; COMPUTE_PGM_RSRC2:USER_SGPR: 15
; COMPUTE_PGM_RSRC2:TRAP_HANDLER: 0
; COMPUTE_PGM_RSRC2:TGID_X_EN: 1
; COMPUTE_PGM_RSRC2:TGID_Y_EN: 0
; COMPUTE_PGM_RSRC2:TGID_Z_EN: 0
; COMPUTE_PGM_RSRC2:TIDIG_COMP_CNT: 0
	.section	.text._ZN5aiter18quant_mxfp4_kernelI12hip_bfloat16LNS_16MxScaleRoundModeE2ELb0ELb1ELb1EEEvPKT_PhPfliiib,"axG",@progbits,_ZN5aiter18quant_mxfp4_kernelI12hip_bfloat16LNS_16MxScaleRoundModeE2ELb0ELb1ELb1EEEvPKT_PhPfliiib,comdat
	.protected	_ZN5aiter18quant_mxfp4_kernelI12hip_bfloat16LNS_16MxScaleRoundModeE2ELb0ELb1ELb1EEEvPKT_PhPfliiib ; -- Begin function _ZN5aiter18quant_mxfp4_kernelI12hip_bfloat16LNS_16MxScaleRoundModeE2ELb0ELb1ELb1EEEvPKT_PhPfliiib
	.globl	_ZN5aiter18quant_mxfp4_kernelI12hip_bfloat16LNS_16MxScaleRoundModeE2ELb0ELb1ELb1EEEvPKT_PhPfliiib
	.p2align	8
	.type	_ZN5aiter18quant_mxfp4_kernelI12hip_bfloat16LNS_16MxScaleRoundModeE2ELb0ELb1ELb1EEEvPKT_PhPfliiib,@function
_ZN5aiter18quant_mxfp4_kernelI12hip_bfloat16LNS_16MxScaleRoundModeE2ELb0ELb1ELb1EEEvPKT_PhPfliiib: ; @_ZN5aiter18quant_mxfp4_kernelI12hip_bfloat16LNS_16MxScaleRoundModeE2ELb0ELb1ELb1EEEvPKT_PhPfliiib
; %bb.0:
	s_clause 0x1
	s_load_b32 s2, s[0:1], 0x3c
	s_load_b128 s[4:7], s[0:1], 0x20
	v_mov_b32_e32 v1, 0
	s_delay_alu instid0(VALU_DEP_1)
	v_mov_b32_e32 v4, v1
	s_waitcnt lgkmcnt(0)
	s_and_b32 s2, s2, 0xffff
	s_mov_b32 s3, s6
	v_mad_u64_u32 v[2:3], null, s2, s15, v[0:1]
	s_ashr_i32 s2, s6, 31
	s_mov_b32 s6, exec_lo
                                        ; implicit-def: $vgpr0_vgpr1
	s_delay_alu instid0(VALU_DEP_1) | instskip(NEXT) | instid1(VALU_DEP_1)
	v_or_b32_e32 v5, s2, v3
	v_cmpx_ne_u64_e32 0, v[4:5]
	s_xor_b32 s6, exec_lo, s6
	s_cbranch_execz .LBB33_2
; %bb.1:
	s_add_u32 s10, s3, s2
	s_mov_b32 s8, s2
	s_mov_b32 s9, s2
	s_addc_u32 s11, s2, s2
	s_delay_alu instid0(SALU_CYCLE_1) | instskip(NEXT) | instid1(SALU_CYCLE_1)
	s_xor_b64 s[10:11], s[10:11], s[8:9]
	v_cvt_f32_u32_e32 v0, s10
	v_cvt_f32_u32_e32 v1, s11
	s_sub_u32 s2, 0, s10
	s_subb_u32 s12, 0, s11
	s_delay_alu instid0(VALU_DEP_1) | instskip(NEXT) | instid1(VALU_DEP_1)
	v_fmamk_f32 v0, v1, 0x4f800000, v0
	v_rcp_f32_e32 v0, v0
	s_waitcnt_depctr 0xfff
	v_mul_f32_e32 v0, 0x5f7ffffc, v0
	s_delay_alu instid0(VALU_DEP_1) | instskip(NEXT) | instid1(VALU_DEP_1)
	v_mul_f32_e32 v1, 0x2f800000, v0
	v_trunc_f32_e32 v1, v1
	s_delay_alu instid0(VALU_DEP_1) | instskip(SKIP_1) | instid1(VALU_DEP_2)
	v_fmamk_f32 v0, v1, 0xcf800000, v0
	v_cvt_u32_f32_e32 v1, v1
	v_cvt_u32_f32_e32 v0, v0
	s_delay_alu instid0(VALU_DEP_2) | instskip(NEXT) | instid1(VALU_DEP_2)
	v_mul_lo_u32 v4, s2, v1
	v_mul_hi_u32 v5, s2, v0
	v_mul_lo_u32 v6, s12, v0
	s_delay_alu instid0(VALU_DEP_2) | instskip(SKIP_1) | instid1(VALU_DEP_2)
	v_add_nc_u32_e32 v4, v5, v4
	v_mul_lo_u32 v5, s2, v0
	v_add_nc_u32_e32 v4, v4, v6
	s_delay_alu instid0(VALU_DEP_2) | instskip(NEXT) | instid1(VALU_DEP_2)
	v_mul_hi_u32 v6, v0, v5
	v_mul_lo_u32 v7, v0, v4
	v_mul_hi_u32 v8, v0, v4
	v_mul_hi_u32 v9, v1, v5
	v_mul_lo_u32 v5, v1, v5
	v_mul_hi_u32 v10, v1, v4
	v_mul_lo_u32 v4, v1, v4
	v_add_co_u32 v6, vcc_lo, v6, v7
	v_add_co_ci_u32_e32 v7, vcc_lo, 0, v8, vcc_lo
	s_delay_alu instid0(VALU_DEP_2) | instskip(NEXT) | instid1(VALU_DEP_2)
	v_add_co_u32 v5, vcc_lo, v6, v5
	v_add_co_ci_u32_e32 v5, vcc_lo, v7, v9, vcc_lo
	v_add_co_ci_u32_e32 v6, vcc_lo, 0, v10, vcc_lo
	v_ashrrev_i32_e32 v9, 31, v3
	s_delay_alu instid0(VALU_DEP_3) | instskip(NEXT) | instid1(VALU_DEP_3)
	v_add_co_u32 v4, vcc_lo, v5, v4
	v_add_co_ci_u32_e32 v5, vcc_lo, 0, v6, vcc_lo
	s_delay_alu instid0(VALU_DEP_2) | instskip(NEXT) | instid1(VALU_DEP_2)
	v_add_co_u32 v0, vcc_lo, v0, v4
	v_add_co_ci_u32_e32 v1, vcc_lo, v1, v5, vcc_lo
	s_delay_alu instid0(VALU_DEP_2) | instskip(SKIP_1) | instid1(VALU_DEP_3)
	v_mul_hi_u32 v4, s2, v0
	v_mul_lo_u32 v6, s12, v0
	v_mul_lo_u32 v5, s2, v1
	s_delay_alu instid0(VALU_DEP_1) | instskip(SKIP_1) | instid1(VALU_DEP_2)
	v_add_nc_u32_e32 v4, v4, v5
	v_mul_lo_u32 v5, s2, v0
	v_add_nc_u32_e32 v4, v4, v6
	s_delay_alu instid0(VALU_DEP_2) | instskip(NEXT) | instid1(VALU_DEP_2)
	v_mul_hi_u32 v6, v0, v5
	v_mul_lo_u32 v7, v0, v4
	v_mul_hi_u32 v8, v0, v4
	v_mul_hi_u32 v10, v1, v5
	v_mul_lo_u32 v5, v1, v5
	v_mul_hi_u32 v11, v1, v4
	v_mul_lo_u32 v4, v1, v4
	v_add_co_u32 v6, vcc_lo, v6, v7
	v_add_co_ci_u32_e32 v7, vcc_lo, 0, v8, vcc_lo
	s_delay_alu instid0(VALU_DEP_2) | instskip(NEXT) | instid1(VALU_DEP_2)
	v_add_co_u32 v5, vcc_lo, v6, v5
	v_add_co_ci_u32_e32 v5, vcc_lo, v7, v10, vcc_lo
	v_add_co_ci_u32_e32 v6, vcc_lo, 0, v11, vcc_lo
	v_add_co_u32 v7, vcc_lo, v2, v9
	v_add_co_ci_u32_e32 v3, vcc_lo, v3, v9, vcc_lo
	s_delay_alu instid0(VALU_DEP_4) | instskip(NEXT) | instid1(VALU_DEP_4)
	v_add_co_u32 v4, vcc_lo, v5, v4
	v_add_co_ci_u32_e32 v5, vcc_lo, 0, v6, vcc_lo
	s_delay_alu instid0(VALU_DEP_4) | instskip(NEXT) | instid1(VALU_DEP_3)
	v_xor_b32_e32 v7, v7, v9
	v_add_co_u32 v6, vcc_lo, v0, v4
	s_delay_alu instid0(VALU_DEP_3) | instskip(SKIP_1) | instid1(VALU_DEP_3)
	v_add_co_ci_u32_e32 v8, vcc_lo, v1, v5, vcc_lo
	v_xor_b32_e32 v10, v3, v9
	v_mul_hi_u32 v11, v7, v6
	s_delay_alu instid0(VALU_DEP_3) | instskip(NEXT) | instid1(VALU_DEP_3)
	v_mad_u64_u32 v[0:1], null, v7, v8, 0
	v_mad_u64_u32 v[3:4], null, v10, v6, 0
	;; [unrolled: 1-line block ×3, first 2 shown]
	s_delay_alu instid0(VALU_DEP_3) | instskip(NEXT) | instid1(VALU_DEP_4)
	v_add_co_u32 v0, vcc_lo, v11, v0
	v_add_co_ci_u32_e32 v1, vcc_lo, 0, v1, vcc_lo
	s_delay_alu instid0(VALU_DEP_2) | instskip(NEXT) | instid1(VALU_DEP_2)
	v_add_co_u32 v0, vcc_lo, v0, v3
	v_add_co_ci_u32_e32 v0, vcc_lo, v1, v4, vcc_lo
	v_add_co_ci_u32_e32 v1, vcc_lo, 0, v6, vcc_lo
	s_delay_alu instid0(VALU_DEP_2) | instskip(NEXT) | instid1(VALU_DEP_2)
	v_add_co_u32 v3, vcc_lo, v0, v5
	v_add_co_ci_u32_e32 v4, vcc_lo, 0, v1, vcc_lo
	s_delay_alu instid0(VALU_DEP_2) | instskip(SKIP_1) | instid1(VALU_DEP_3)
	v_mul_lo_u32 v5, s11, v3
	v_mad_u64_u32 v[0:1], null, s10, v3, 0
	v_mul_lo_u32 v6, s10, v4
	s_delay_alu instid0(VALU_DEP_2) | instskip(NEXT) | instid1(VALU_DEP_2)
	v_sub_co_u32 v0, vcc_lo, v7, v0
	v_add3_u32 v1, v1, v6, v5
	s_delay_alu instid0(VALU_DEP_1) | instskip(NEXT) | instid1(VALU_DEP_1)
	v_sub_nc_u32_e32 v5, v10, v1
	v_subrev_co_ci_u32_e64 v5, s2, s11, v5, vcc_lo
	v_add_co_u32 v6, s2, v3, 2
	s_delay_alu instid0(VALU_DEP_1) | instskip(SKIP_3) | instid1(VALU_DEP_3)
	v_add_co_ci_u32_e64 v7, s2, 0, v4, s2
	v_sub_co_u32 v8, s2, v0, s10
	v_sub_co_ci_u32_e32 v1, vcc_lo, v10, v1, vcc_lo
	v_subrev_co_ci_u32_e64 v5, s2, 0, v5, s2
	v_cmp_le_u32_e32 vcc_lo, s10, v8
	s_delay_alu instid0(VALU_DEP_3) | instskip(SKIP_1) | instid1(VALU_DEP_4)
	v_cmp_eq_u32_e64 s2, s11, v1
	v_cndmask_b32_e64 v8, 0, -1, vcc_lo
	v_cmp_le_u32_e32 vcc_lo, s11, v5
	v_cndmask_b32_e64 v10, 0, -1, vcc_lo
	v_cmp_le_u32_e32 vcc_lo, s10, v0
	;; [unrolled: 2-line block ×3, first 2 shown]
	v_cndmask_b32_e64 v11, 0, -1, vcc_lo
	v_cmp_eq_u32_e32 vcc_lo, s11, v5
	s_delay_alu instid0(VALU_DEP_2) | instskip(SKIP_3) | instid1(VALU_DEP_3)
	v_cndmask_b32_e64 v0, v11, v0, s2
	v_cndmask_b32_e32 v5, v10, v8, vcc_lo
	v_add_co_u32 v8, vcc_lo, v3, 1
	v_add_co_ci_u32_e32 v10, vcc_lo, 0, v4, vcc_lo
	v_cmp_ne_u32_e32 vcc_lo, 0, v5
	s_delay_alu instid0(VALU_DEP_2) | instskip(NEXT) | instid1(VALU_DEP_4)
	v_cndmask_b32_e32 v1, v10, v7, vcc_lo
	v_cndmask_b32_e32 v5, v8, v6, vcc_lo
	v_cmp_ne_u32_e32 vcc_lo, 0, v0
	v_xor_b32_e32 v0, s8, v9
	s_delay_alu instid0(VALU_DEP_3) | instskip(SKIP_2) | instid1(VALU_DEP_3)
	v_cndmask_b32_e32 v3, v3, v5, vcc_lo
	v_cndmask_b32_e32 v1, v4, v1, vcc_lo
	v_xor_b32_e32 v4, s9, v9
	v_xor_b32_e32 v3, v3, v0
	s_delay_alu instid0(VALU_DEP_2) | instskip(NEXT) | instid1(VALU_DEP_2)
	v_xor_b32_e32 v1, v1, v4
	v_sub_co_u32 v0, vcc_lo, v3, v0
	s_delay_alu instid0(VALU_DEP_2)
	v_sub_co_ci_u32_e32 v1, vcc_lo, v1, v4, vcc_lo
.LBB33_2:
	s_and_not1_saveexec_b32 s2, s6
	s_cbranch_execz .LBB33_4
; %bb.3:
	v_cvt_f32_u32_e32 v0, s3
	s_sub_i32 s6, 0, s3
	s_delay_alu instid0(VALU_DEP_1) | instskip(SKIP_2) | instid1(VALU_DEP_1)
	v_rcp_iflag_f32_e32 v0, v0
	s_waitcnt_depctr 0xfff
	v_mul_f32_e32 v0, 0x4f7ffffe, v0
	v_cvt_u32_f32_e32 v0, v0
	s_delay_alu instid0(VALU_DEP_1) | instskip(NEXT) | instid1(VALU_DEP_1)
	v_mul_lo_u32 v1, s6, v0
	v_mul_hi_u32 v1, v0, v1
	s_delay_alu instid0(VALU_DEP_1) | instskip(NEXT) | instid1(VALU_DEP_1)
	v_add_nc_u32_e32 v0, v0, v1
	v_mul_hi_u32 v0, v2, v0
	s_delay_alu instid0(VALU_DEP_1) | instskip(SKIP_1) | instid1(VALU_DEP_2)
	v_mul_lo_u32 v1, v0, s3
	v_add_nc_u32_e32 v3, 1, v0
	v_sub_nc_u32_e32 v1, v2, v1
	s_delay_alu instid0(VALU_DEP_1) | instskip(SKIP_1) | instid1(VALU_DEP_2)
	v_subrev_nc_u32_e32 v4, s3, v1
	v_cmp_le_u32_e32 vcc_lo, s3, v1
	v_dual_cndmask_b32 v1, v1, v4 :: v_dual_cndmask_b32 v0, v0, v3
	s_delay_alu instid0(VALU_DEP_1) | instskip(NEXT) | instid1(VALU_DEP_2)
	v_cmp_le_u32_e32 vcc_lo, s3, v1
	v_add_nc_u32_e32 v3, 1, v0
	s_delay_alu instid0(VALU_DEP_1)
	v_dual_mov_b32 v1, 0 :: v_dual_cndmask_b32 v0, v0, v3
.LBB33_4:
	s_or_b32 exec_lo, exec_lo, s2
	s_load_b64 s[8:9], s[0:1], 0x18
	s_delay_alu instid0(VALU_DEP_1) | instskip(NEXT) | instid1(VALU_DEP_1)
	v_mad_u64_u32 v[3:4], null, v0, s3, 0
	v_sub_co_u32 v5, null, v2, v3
	s_delay_alu instid0(VALU_DEP_1) | instskip(SKIP_2) | instid1(VALU_DEP_2)
	v_cmp_gt_i32_e64 s2, s5, v5
	s_waitcnt lgkmcnt(0)
	v_cmp_gt_i64_e32 vcc_lo, s[8:9], v[0:1]
	s_and_b32 s2, vcc_lo, s2
	s_delay_alu instid0(SALU_CYCLE_1)
	s_and_saveexec_b32 s3, s2
	s_cbranch_execz .LBB33_398
; %bb.5:
	s_ashr_i32 s6, s4, 31
	s_load_b64 s[2:3], s[0:1], 0x0
	v_mul_lo_u32 v2, v1, s4
	v_mad_u64_u32 v[6:7], null, v0, s4, 0
	v_mul_lo_u32 v3, v0, s6
	s_delay_alu instid0(VALU_DEP_1) | instskip(SKIP_1) | instid1(VALU_DEP_2)
	v_add3_u32 v7, v7, v3, v2
	v_dual_mov_b32 v3, 0 :: v_dual_lshlrev_b32 v2, 5, v5
	v_lshlrev_b64 v[6:7], 1, v[6:7]
	s_delay_alu instid0(VALU_DEP_2) | instskip(SKIP_1) | instid1(VALU_DEP_2)
	v_lshlrev_b64 v[3:4], 1, v[2:3]
	s_waitcnt lgkmcnt(0)
	v_add_co_u32 v6, vcc_lo, s2, v6
	s_delay_alu instid0(VALU_DEP_3) | instskip(SKIP_1) | instid1(VALU_DEP_2)
	v_add_co_ci_u32_e32 v7, vcc_lo, s3, v7, vcc_lo
	s_mov_b32 s2, 0xc2fe0000
	v_add_co_u32 v3, vcc_lo, v6, v3
	s_delay_alu instid0(VALU_DEP_2)
	v_add_co_ci_u32_e32 v4, vcc_lo, v7, v4, vcc_lo
	s_clause 0x3
	global_load_b128 v[6:9], v[3:4], off
	global_load_b128 v[35:38], v[3:4], off offset:16
	global_load_b128 v[53:56], v[3:4], off offset:32
	;; [unrolled: 1-line block ×3, first 2 shown]
	s_waitcnt vmcnt(3)
	v_lshlrev_b32_e32 v12, 16, v6
	v_and_b32_e32 v10, 0xffff0000, v6
	v_lshlrev_b32_e32 v11, 16, v7
	v_and_b32_e32 v14, 0xffff0000, v7
	;; [unrolled: 2-line block ×3, first 2 shown]
	v_max3_f32 v3, |v12|, 0, |v10|
	v_lshlrev_b32_e32 v21, 16, v9
	v_and_b32_e32 v25, 0xffff0000, v9
	s_waitcnt vmcnt(2)
	v_lshlrev_b32_e32 v27, 16, v35
	v_and_b32_e32 v31, 0xffff0000, v35
	v_max3_f32 v3, v3, |v11|, |v14|
	v_lshlrev_b32_e32 v33, 16, v36
	v_and_b32_e32 v36, 0xffff0000, v36
	v_lshlrev_b32_e32 v39, 16, v37
	v_and_b32_e32 v41, 0xffff0000, v37
	v_max3_f32 v3, v3, |v15|, |v19|
	v_lshlrev_b32_e32 v45, 16, v38
	v_and_b32_e32 v47, 0xffff0000, v38
	s_waitcnt vmcnt(1)
	v_lshlrev_b32_e32 v51, 16, v53
	v_and_b32_e32 v53, 0xffff0000, v53
	v_max3_f32 v3, v3, |v21|, |v25|
	v_lshlrev_b32_e32 v52, 16, v54
	v_and_b32_e32 v50, 0xffff0000, v54
	v_lshlrev_b32_e32 v46, 16, v55
	v_and_b32_e32 v44, 0xffff0000, v55
	v_max3_f32 v3, v3, |v27|, |v31|
	v_lshlrev_b32_e32 v40, 16, v56
	v_and_b32_e32 v38, 0xffff0000, v56
	s_waitcnt vmcnt(0)
	v_lshlrev_b32_e32 v34, 16, v57
	v_and_b32_e32 v32, 0xffff0000, v57
	v_max3_f32 v3, v3, |v33|, |v36|
	v_lshlrev_b32_e32 v28, 16, v58
	v_and_b32_e32 v26, 0xffff0000, v58
	v_lshlrev_b32_e32 v23, 16, v59
	v_and_b32_e32 v20, 0xffff0000, v59
	v_max3_f32 v3, v3, |v39|, |v41|
	v_lshlrev_b32_e32 v18, 16, v60
	s_delay_alu instid0(VALU_DEP_2) | instskip(NEXT) | instid1(VALU_DEP_1)
	v_max3_f32 v3, v3, |v45|, |v47|
	v_max3_f32 v3, v3, |v51|, |v53|
	s_delay_alu instid0(VALU_DEP_1) | instskip(NEXT) | instid1(VALU_DEP_1)
	v_max3_f32 v3, v3, |v52|, |v50|
	v_max3_f32 v3, v3, |v46|, |v44|
	s_delay_alu instid0(VALU_DEP_1) | instskip(NEXT) | instid1(VALU_DEP_1)
	v_max3_f32 v3, v3, |v40|, |v38|
	v_max3_f32 v3, v3, |v34|, |v32|
	s_delay_alu instid0(VALU_DEP_1) | instskip(SKIP_1) | instid1(VALU_DEP_2)
	v_max3_f32 v4, v3, |v28|, |v26|
	v_and_b32_e32 v3, 0xffff0000, v60
	v_max3_f32 v4, v4, |v23|, |v20|
	s_delay_alu instid0(VALU_DEP_1) | instskip(NEXT) | instid1(VALU_DEP_1)
	v_max3_f32 v4, v4, |v18|, |v3|
	v_add_nc_u32_e32 v4, 0x200000, v4
	s_delay_alu instid0(VALU_DEP_1) | instskip(NEXT) | instid1(VALU_DEP_1)
	v_and_b32_e32 v4, 0x7f800000, v4
	v_cmp_gt_f32_e32 vcc_lo, 0x800000, v4
	v_cndmask_b32_e64 v6, 1.0, 0x4f800000, vcc_lo
	s_delay_alu instid0(VALU_DEP_1) | instskip(SKIP_1) | instid1(VALU_DEP_2)
	v_mul_f32_e32 v4, v4, v6
	v_cndmask_b32_e64 v6, 0, 0x42000000, vcc_lo
	v_log_f32_e32 v4, v4
	s_waitcnt_depctr 0xfff
	v_sub_f32_e32 v4, v4, v6
	s_delay_alu instid0(VALU_DEP_1) | instskip(NEXT) | instid1(VALU_DEP_1)
	v_floor_f32_e32 v4, v4
	v_add_f32_e32 v4, -2.0, v4
	s_delay_alu instid0(VALU_DEP_1) | instskip(SKIP_1) | instid1(VALU_DEP_1)
	v_maxmin_f32 v4, v4, s2, 0x42fe0000
	s_mov_b32 s2, exec_lo
	v_cmp_gt_f32_e32 vcc_lo, 0xc2fc0000, v4
	v_cndmask_b32_e64 v6, 0, 0x42800000, vcc_lo
	s_delay_alu instid0(VALU_DEP_1) | instskip(SKIP_1) | instid1(VALU_DEP_2)
	v_add_f32_e32 v4, v4, v6
	v_cndmask_b32_e64 v6, 1.0, 0x1f800000, vcc_lo
	v_exp_f32_e32 v4, v4
	s_waitcnt_depctr 0xfff
	v_mul_f32_e32 v6, v4, v6
	s_delay_alu instid0(VALU_DEP_1) | instskip(SKIP_1) | instid1(VALU_DEP_2)
	v_div_scale_f32 v4, null, v6, v6, 1.0
	v_div_scale_f32 v9, vcc_lo, 1.0, v6, 1.0
	v_rcp_f32_e32 v7, v4
	s_waitcnt_depctr 0xfff
	v_fma_f32 v8, -v4, v7, 1.0
	s_delay_alu instid0(VALU_DEP_1) | instskip(NEXT) | instid1(VALU_DEP_1)
	v_fmac_f32_e32 v7, v8, v7
	v_mul_f32_e32 v8, v9, v7
	s_delay_alu instid0(VALU_DEP_1) | instskip(NEXT) | instid1(VALU_DEP_1)
	v_fma_f32 v13, -v4, v8, v9
	v_fmac_f32_e32 v8, v13, v7
	s_delay_alu instid0(VALU_DEP_1) | instskip(SKIP_1) | instid1(VALU_DEP_2)
	v_fma_f32 v4, -v4, v8, v9
	v_mov_b32_e32 v9, 7
	v_div_fmas_f32 v4, v4, v7, v8
	v_cmp_neq_f32_e32 vcc_lo, 0, v6
	v_mov_b32_e32 v8, 7
	s_delay_alu instid0(VALU_DEP_3) | instskip(NEXT) | instid1(VALU_DEP_1)
	v_div_fixup_f32 v4, v4, v6, 1.0
	v_cndmask_b32_e32 v4, 0, v4, vcc_lo
	s_delay_alu instid0(VALU_DEP_1) | instskip(NEXT) | instid1(VALU_DEP_1)
	v_mul_f32_e32 v7, v4, v12
	v_cmpx_nle_f32_e64 0x40a00000, |v7|
	s_cbranch_execz .LBB33_17
; %bb.6:
	v_mov_b32_e32 v8, 6
	s_mov_b32 s3, exec_lo
	v_cmpx_nle_f32_e64 0x40600000, |v7|
	s_cbranch_execz .LBB33_16
; %bb.7:
	v_mov_b32_e32 v8, 5
	s_mov_b32 s6, exec_lo
	;; [unrolled: 5-line block ×5, first 2 shown]
	v_cmpx_nle_f32_e64 0x3f400000, |v7|
; %bb.11:
	v_cmp_le_f32_e64 s12, 0x3e800000, |v7|
	s_delay_alu instid0(VALU_DEP_1)
	v_cndmask_b32_e64 v8, 0, 1, s12
; %bb.12:
	s_or_b32 exec_lo, exec_lo, s11
.LBB33_13:
	s_delay_alu instid0(SALU_CYCLE_1)
	s_or_b32 exec_lo, exec_lo, s10
.LBB33_14:
	s_delay_alu instid0(SALU_CYCLE_1)
	s_or_b32 exec_lo, exec_lo, s9
.LBB33_15:
	s_delay_alu instid0(SALU_CYCLE_1)
	s_or_b32 exec_lo, exec_lo, s6
.LBB33_16:
	s_delay_alu instid0(SALU_CYCLE_1)
	s_or_b32 exec_lo, exec_lo, s3
.LBB33_17:
	s_delay_alu instid0(SALU_CYCLE_1) | instskip(SKIP_2) | instid1(VALU_DEP_1)
	s_or_b32 exec_lo, exec_lo, s2
	v_mul_f32_e32 v10, v4, v10
	s_mov_b32 s2, exec_lo
	v_cmpx_nle_f32_e64 0x40a00000, |v10|
	s_cbranch_execz .LBB33_29
; %bb.18:
	v_mov_b32_e32 v9, 6
	s_mov_b32 s3, exec_lo
	v_cmpx_nle_f32_e64 0x40600000, |v10|
	s_cbranch_execz .LBB33_28
; %bb.19:
	v_mov_b32_e32 v9, 5
	;; [unrolled: 5-line block ×5, first 2 shown]
	s_mov_b32 s11, exec_lo
	v_cmpx_nle_f32_e64 0x3f400000, |v10|
; %bb.23:
	v_cmp_le_f32_e64 s12, 0x3e800000, |v10|
	s_delay_alu instid0(VALU_DEP_1)
	v_cndmask_b32_e64 v9, 0, 1, s12
; %bb.24:
	s_or_b32 exec_lo, exec_lo, s11
.LBB33_25:
	s_delay_alu instid0(SALU_CYCLE_1)
	s_or_b32 exec_lo, exec_lo, s10
.LBB33_26:
	s_delay_alu instid0(SALU_CYCLE_1)
	s_or_b32 exec_lo, exec_lo, s9
.LBB33_27:
	s_delay_alu instid0(SALU_CYCLE_1)
	s_or_b32 exec_lo, exec_lo, s6
.LBB33_28:
	s_delay_alu instid0(SALU_CYCLE_1)
	s_or_b32 exec_lo, exec_lo, s3
.LBB33_29:
	s_delay_alu instid0(SALU_CYCLE_1) | instskip(SKIP_3) | instid1(VALU_DEP_2)
	s_or_b32 exec_lo, exec_lo, s2
	v_dual_mul_f32 v12, v4, v11 :: v_dual_mov_b32 v11, 7
	v_mov_b32_e32 v13, 7
	s_mov_b32 s2, exec_lo
	v_cmpx_nle_f32_e64 0x40a00000, |v12|
	s_cbranch_execz .LBB33_41
; %bb.30:
	v_mov_b32_e32 v13, 6
	s_mov_b32 s3, exec_lo
	v_cmpx_nle_f32_e64 0x40600000, |v12|
	s_cbranch_execz .LBB33_40
; %bb.31:
	;; [unrolled: 5-line block ×5, first 2 shown]
	v_mov_b32_e32 v13, 2
	s_mov_b32 s11, exec_lo
	v_cmpx_nle_f32_e64 0x3f400000, |v12|
; %bb.35:
	v_cmp_le_f32_e64 s12, 0x3e800000, |v12|
	s_delay_alu instid0(VALU_DEP_1)
	v_cndmask_b32_e64 v13, 0, 1, s12
; %bb.36:
	s_or_b32 exec_lo, exec_lo, s11
.LBB33_37:
	s_delay_alu instid0(SALU_CYCLE_1)
	s_or_b32 exec_lo, exec_lo, s10
.LBB33_38:
	s_delay_alu instid0(SALU_CYCLE_1)
	s_or_b32 exec_lo, exec_lo, s9
.LBB33_39:
	s_delay_alu instid0(SALU_CYCLE_1)
	s_or_b32 exec_lo, exec_lo, s6
.LBB33_40:
	s_delay_alu instid0(SALU_CYCLE_1)
	s_or_b32 exec_lo, exec_lo, s3
.LBB33_41:
	s_delay_alu instid0(SALU_CYCLE_1) | instskip(SKIP_2) | instid1(VALU_DEP_1)
	s_or_b32 exec_lo, exec_lo, s2
	v_mul_f32_e32 v14, v4, v14
	s_mov_b32 s2, exec_lo
	v_cmpx_nle_f32_e64 0x40a00000, |v14|
	s_cbranch_execz .LBB33_53
; %bb.42:
	v_mov_b32_e32 v11, 6
	s_mov_b32 s3, exec_lo
	v_cmpx_nle_f32_e64 0x40600000, |v14|
	s_cbranch_execz .LBB33_52
; %bb.43:
	v_mov_b32_e32 v11, 5
	;; [unrolled: 5-line block ×5, first 2 shown]
	s_mov_b32 s11, exec_lo
	v_cmpx_nle_f32_e64 0x3f400000, |v14|
; %bb.47:
	v_cmp_le_f32_e64 s12, 0x3e800000, |v14|
	s_delay_alu instid0(VALU_DEP_1)
	v_cndmask_b32_e64 v11, 0, 1, s12
; %bb.48:
	s_or_b32 exec_lo, exec_lo, s11
.LBB33_49:
	s_delay_alu instid0(SALU_CYCLE_1)
	s_or_b32 exec_lo, exec_lo, s10
.LBB33_50:
	s_delay_alu instid0(SALU_CYCLE_1)
	s_or_b32 exec_lo, exec_lo, s9
.LBB33_51:
	s_delay_alu instid0(SALU_CYCLE_1)
	s_or_b32 exec_lo, exec_lo, s6
.LBB33_52:
	s_delay_alu instid0(SALU_CYCLE_1)
	s_or_b32 exec_lo, exec_lo, s3
.LBB33_53:
	s_delay_alu instid0(SALU_CYCLE_1) | instskip(SKIP_3) | instid1(VALU_DEP_2)
	s_or_b32 exec_lo, exec_lo, s2
	v_dual_mul_f32 v17, v4, v15 :: v_dual_mov_b32 v16, 7
	v_mov_b32_e32 v15, 7
	s_mov_b32 s2, exec_lo
	v_cmpx_nle_f32_e64 0x40a00000, |v17|
	s_cbranch_execz .LBB33_65
; %bb.54:
	v_mov_b32_e32 v16, 6
	s_mov_b32 s3, exec_lo
	v_cmpx_nle_f32_e64 0x40600000, |v17|
	s_cbranch_execz .LBB33_64
; %bb.55:
	;; [unrolled: 5-line block ×5, first 2 shown]
	v_mov_b32_e32 v16, 2
	s_mov_b32 s11, exec_lo
	v_cmpx_nle_f32_e64 0x3f400000, |v17|
; %bb.59:
	v_cmp_le_f32_e64 s12, 0x3e800000, |v17|
	s_delay_alu instid0(VALU_DEP_1)
	v_cndmask_b32_e64 v16, 0, 1, s12
; %bb.60:
	s_or_b32 exec_lo, exec_lo, s11
.LBB33_61:
	s_delay_alu instid0(SALU_CYCLE_1)
	s_or_b32 exec_lo, exec_lo, s10
.LBB33_62:
	s_delay_alu instid0(SALU_CYCLE_1)
	s_or_b32 exec_lo, exec_lo, s9
.LBB33_63:
	s_delay_alu instid0(SALU_CYCLE_1)
	s_or_b32 exec_lo, exec_lo, s6
.LBB33_64:
	s_delay_alu instid0(SALU_CYCLE_1)
	s_or_b32 exec_lo, exec_lo, s3
.LBB33_65:
	s_delay_alu instid0(SALU_CYCLE_1) | instskip(SKIP_2) | instid1(VALU_DEP_1)
	s_or_b32 exec_lo, exec_lo, s2
	v_mul_f32_e32 v19, v4, v19
	s_mov_b32 s2, exec_lo
	v_cmpx_nle_f32_e64 0x40a00000, |v19|
	s_cbranch_execz .LBB33_77
; %bb.66:
	v_mov_b32_e32 v15, 6
	s_mov_b32 s3, exec_lo
	v_cmpx_nle_f32_e64 0x40600000, |v19|
	s_cbranch_execz .LBB33_76
; %bb.67:
	v_mov_b32_e32 v15, 5
	;; [unrolled: 5-line block ×5, first 2 shown]
	s_mov_b32 s11, exec_lo
	v_cmpx_nle_f32_e64 0x3f400000, |v19|
; %bb.71:
	v_cmp_le_f32_e64 s12, 0x3e800000, |v19|
	s_delay_alu instid0(VALU_DEP_1)
	v_cndmask_b32_e64 v15, 0, 1, s12
; %bb.72:
	s_or_b32 exec_lo, exec_lo, s11
.LBB33_73:
	s_delay_alu instid0(SALU_CYCLE_1)
	s_or_b32 exec_lo, exec_lo, s10
.LBB33_74:
	s_delay_alu instid0(SALU_CYCLE_1)
	s_or_b32 exec_lo, exec_lo, s9
.LBB33_75:
	s_delay_alu instid0(SALU_CYCLE_1)
	s_or_b32 exec_lo, exec_lo, s6
.LBB33_76:
	s_delay_alu instid0(SALU_CYCLE_1)
	s_or_b32 exec_lo, exec_lo, s3
.LBB33_77:
	s_delay_alu instid0(SALU_CYCLE_1) | instskip(SKIP_3) | instid1(VALU_DEP_2)
	s_or_b32 exec_lo, exec_lo, s2
	v_dual_mul_f32 v24, v4, v21 :: v_dual_mov_b32 v21, 7
	v_mov_b32_e32 v22, 7
	s_mov_b32 s2, exec_lo
	v_cmpx_nle_f32_e64 0x40a00000, |v24|
	s_cbranch_execz .LBB33_89
; %bb.78:
	v_mov_b32_e32 v22, 6
	s_mov_b32 s3, exec_lo
	v_cmpx_nle_f32_e64 0x40600000, |v24|
	s_cbranch_execz .LBB33_88
; %bb.79:
	;; [unrolled: 5-line block ×5, first 2 shown]
	v_mov_b32_e32 v22, 2
	s_mov_b32 s11, exec_lo
	v_cmpx_nle_f32_e64 0x3f400000, |v24|
; %bb.83:
	v_cmp_le_f32_e64 s12, 0x3e800000, |v24|
	s_delay_alu instid0(VALU_DEP_1)
	v_cndmask_b32_e64 v22, 0, 1, s12
; %bb.84:
	s_or_b32 exec_lo, exec_lo, s11
.LBB33_85:
	s_delay_alu instid0(SALU_CYCLE_1)
	s_or_b32 exec_lo, exec_lo, s10
.LBB33_86:
	s_delay_alu instid0(SALU_CYCLE_1)
	s_or_b32 exec_lo, exec_lo, s9
.LBB33_87:
	s_delay_alu instid0(SALU_CYCLE_1)
	s_or_b32 exec_lo, exec_lo, s6
.LBB33_88:
	s_delay_alu instid0(SALU_CYCLE_1)
	s_or_b32 exec_lo, exec_lo, s3
.LBB33_89:
	s_delay_alu instid0(SALU_CYCLE_1) | instskip(SKIP_2) | instid1(VALU_DEP_1)
	s_or_b32 exec_lo, exec_lo, s2
	v_mul_f32_e32 v25, v4, v25
	s_mov_b32 s2, exec_lo
	v_cmpx_nle_f32_e64 0x40a00000, |v25|
	s_cbranch_execz .LBB33_101
; %bb.90:
	v_mov_b32_e32 v21, 6
	s_mov_b32 s3, exec_lo
	v_cmpx_nle_f32_e64 0x40600000, |v25|
	s_cbranch_execz .LBB33_100
; %bb.91:
	v_mov_b32_e32 v21, 5
	;; [unrolled: 5-line block ×5, first 2 shown]
	s_mov_b32 s11, exec_lo
	v_cmpx_nle_f32_e64 0x3f400000, |v25|
; %bb.95:
	v_cmp_le_f32_e64 s12, 0x3e800000, |v25|
	s_delay_alu instid0(VALU_DEP_1)
	v_cndmask_b32_e64 v21, 0, 1, s12
; %bb.96:
	s_or_b32 exec_lo, exec_lo, s11
.LBB33_97:
	s_delay_alu instid0(SALU_CYCLE_1)
	s_or_b32 exec_lo, exec_lo, s10
.LBB33_98:
	s_delay_alu instid0(SALU_CYCLE_1)
	s_or_b32 exec_lo, exec_lo, s9
.LBB33_99:
	s_delay_alu instid0(SALU_CYCLE_1)
	s_or_b32 exec_lo, exec_lo, s6
.LBB33_100:
	s_delay_alu instid0(SALU_CYCLE_1)
	s_or_b32 exec_lo, exec_lo, s3
.LBB33_101:
	s_delay_alu instid0(SALU_CYCLE_1) | instskip(SKIP_3) | instid1(VALU_DEP_2)
	s_or_b32 exec_lo, exec_lo, s2
	v_dual_mul_f32 v29, v4, v27 :: v_dual_mov_b32 v30, 7
	v_mov_b32_e32 v27, 7
	s_mov_b32 s2, exec_lo
	v_cmpx_nle_f32_e64 0x40a00000, |v29|
	s_cbranch_execz .LBB33_113
; %bb.102:
	v_mov_b32_e32 v30, 6
	s_mov_b32 s3, exec_lo
	v_cmpx_nle_f32_e64 0x40600000, |v29|
	s_cbranch_execz .LBB33_112
; %bb.103:
	;; [unrolled: 5-line block ×5, first 2 shown]
	v_mov_b32_e32 v30, 2
	s_mov_b32 s11, exec_lo
	v_cmpx_nle_f32_e64 0x3f400000, |v29|
; %bb.107:
	v_cmp_le_f32_e64 s12, 0x3e800000, |v29|
	s_delay_alu instid0(VALU_DEP_1)
	v_cndmask_b32_e64 v30, 0, 1, s12
; %bb.108:
	s_or_b32 exec_lo, exec_lo, s11
.LBB33_109:
	s_delay_alu instid0(SALU_CYCLE_1)
	s_or_b32 exec_lo, exec_lo, s10
.LBB33_110:
	s_delay_alu instid0(SALU_CYCLE_1)
	s_or_b32 exec_lo, exec_lo, s9
.LBB33_111:
	s_delay_alu instid0(SALU_CYCLE_1)
	s_or_b32 exec_lo, exec_lo, s6
.LBB33_112:
	s_delay_alu instid0(SALU_CYCLE_1)
	s_or_b32 exec_lo, exec_lo, s3
.LBB33_113:
	s_delay_alu instid0(SALU_CYCLE_1) | instskip(SKIP_2) | instid1(VALU_DEP_1)
	s_or_b32 exec_lo, exec_lo, s2
	v_mul_f32_e32 v31, v4, v31
	s_mov_b32 s2, exec_lo
	v_cmpx_nle_f32_e64 0x40a00000, |v31|
	s_cbranch_execz .LBB33_125
; %bb.114:
	v_mov_b32_e32 v27, 6
	s_mov_b32 s3, exec_lo
	v_cmpx_nle_f32_e64 0x40600000, |v31|
	s_cbranch_execz .LBB33_124
; %bb.115:
	v_mov_b32_e32 v27, 5
	;; [unrolled: 5-line block ×5, first 2 shown]
	s_mov_b32 s11, exec_lo
	v_cmpx_nle_f32_e64 0x3f400000, |v31|
; %bb.119:
	v_cmp_le_f32_e64 s12, 0x3e800000, |v31|
	s_delay_alu instid0(VALU_DEP_1)
	v_cndmask_b32_e64 v27, 0, 1, s12
; %bb.120:
	s_or_b32 exec_lo, exec_lo, s11
.LBB33_121:
	s_delay_alu instid0(SALU_CYCLE_1)
	s_or_b32 exec_lo, exec_lo, s10
.LBB33_122:
	s_delay_alu instid0(SALU_CYCLE_1)
	s_or_b32 exec_lo, exec_lo, s9
.LBB33_123:
	s_delay_alu instid0(SALU_CYCLE_1)
	s_or_b32 exec_lo, exec_lo, s6
.LBB33_124:
	s_delay_alu instid0(SALU_CYCLE_1)
	s_or_b32 exec_lo, exec_lo, s3
.LBB33_125:
	s_delay_alu instid0(SALU_CYCLE_1) | instskip(SKIP_4) | instid1(VALU_DEP_3)
	s_or_b32 exec_lo, exec_lo, s2
	v_mul_f32_e32 v35, v4, v33
	v_mov_b32_e32 v33, 7
	v_mov_b32_e32 v37, 7
	s_mov_b32 s2, exec_lo
	v_cmpx_nle_f32_e64 0x40a00000, |v35|
	s_cbranch_execz .LBB33_137
; %bb.126:
	v_mov_b32_e32 v37, 6
	s_mov_b32 s3, exec_lo
	v_cmpx_nle_f32_e64 0x40600000, |v35|
	s_cbranch_execz .LBB33_136
; %bb.127:
	;; [unrolled: 5-line block ×5, first 2 shown]
	v_mov_b32_e32 v37, 2
	s_mov_b32 s11, exec_lo
	v_cmpx_nle_f32_e64 0x3f400000, |v35|
; %bb.131:
	v_cmp_le_f32_e64 s12, 0x3e800000, |v35|
	s_delay_alu instid0(VALU_DEP_1)
	v_cndmask_b32_e64 v37, 0, 1, s12
; %bb.132:
	s_or_b32 exec_lo, exec_lo, s11
.LBB33_133:
	s_delay_alu instid0(SALU_CYCLE_1)
	s_or_b32 exec_lo, exec_lo, s10
.LBB33_134:
	s_delay_alu instid0(SALU_CYCLE_1)
	s_or_b32 exec_lo, exec_lo, s9
.LBB33_135:
	s_delay_alu instid0(SALU_CYCLE_1)
	s_or_b32 exec_lo, exec_lo, s6
.LBB33_136:
	s_delay_alu instid0(SALU_CYCLE_1)
	s_or_b32 exec_lo, exec_lo, s3
.LBB33_137:
	s_delay_alu instid0(SALU_CYCLE_1) | instskip(SKIP_2) | instid1(VALU_DEP_1)
	s_or_b32 exec_lo, exec_lo, s2
	v_mul_f32_e32 v36, v4, v36
	s_mov_b32 s2, exec_lo
	v_cmpx_nle_f32_e64 0x40a00000, |v36|
	s_cbranch_execz .LBB33_149
; %bb.138:
	v_mov_b32_e32 v33, 6
	s_mov_b32 s3, exec_lo
	v_cmpx_nle_f32_e64 0x40600000, |v36|
	s_cbranch_execz .LBB33_148
; %bb.139:
	v_mov_b32_e32 v33, 5
	;; [unrolled: 5-line block ×5, first 2 shown]
	s_mov_b32 s11, exec_lo
	v_cmpx_nle_f32_e64 0x3f400000, |v36|
; %bb.143:
	v_cmp_le_f32_e64 s12, 0x3e800000, |v36|
	s_delay_alu instid0(VALU_DEP_1)
	v_cndmask_b32_e64 v33, 0, 1, s12
; %bb.144:
	s_or_b32 exec_lo, exec_lo, s11
.LBB33_145:
	s_delay_alu instid0(SALU_CYCLE_1)
	s_or_b32 exec_lo, exec_lo, s10
.LBB33_146:
	s_delay_alu instid0(SALU_CYCLE_1)
	s_or_b32 exec_lo, exec_lo, s9
.LBB33_147:
	s_delay_alu instid0(SALU_CYCLE_1)
	s_or_b32 exec_lo, exec_lo, s6
.LBB33_148:
	s_delay_alu instid0(SALU_CYCLE_1)
	s_or_b32 exec_lo, exec_lo, s3
.LBB33_149:
	s_delay_alu instid0(SALU_CYCLE_1) | instskip(SKIP_3) | instid1(VALU_DEP_2)
	s_or_b32 exec_lo, exec_lo, s2
	v_dual_mul_f32 v43, v4, v39 :: v_dual_mov_b32 v42, 7
	v_mov_b32_e32 v39, 7
	s_mov_b32 s2, exec_lo
	v_cmpx_nle_f32_e64 0x40a00000, |v43|
	s_cbranch_execz .LBB33_161
; %bb.150:
	v_mov_b32_e32 v42, 6
	s_mov_b32 s3, exec_lo
	v_cmpx_nle_f32_e64 0x40600000, |v43|
	s_cbranch_execz .LBB33_160
; %bb.151:
	;; [unrolled: 5-line block ×5, first 2 shown]
	v_mov_b32_e32 v42, 2
	s_mov_b32 s11, exec_lo
	v_cmpx_nle_f32_e64 0x3f400000, |v43|
; %bb.155:
	v_cmp_le_f32_e64 s12, 0x3e800000, |v43|
	s_delay_alu instid0(VALU_DEP_1)
	v_cndmask_b32_e64 v42, 0, 1, s12
; %bb.156:
	s_or_b32 exec_lo, exec_lo, s11
.LBB33_157:
	s_delay_alu instid0(SALU_CYCLE_1)
	s_or_b32 exec_lo, exec_lo, s10
.LBB33_158:
	s_delay_alu instid0(SALU_CYCLE_1)
	s_or_b32 exec_lo, exec_lo, s9
.LBB33_159:
	s_delay_alu instid0(SALU_CYCLE_1)
	s_or_b32 exec_lo, exec_lo, s6
.LBB33_160:
	s_delay_alu instid0(SALU_CYCLE_1)
	s_or_b32 exec_lo, exec_lo, s3
.LBB33_161:
	s_delay_alu instid0(SALU_CYCLE_1) | instskip(SKIP_2) | instid1(VALU_DEP_1)
	s_or_b32 exec_lo, exec_lo, s2
	v_mul_f32_e32 v41, v4, v41
	s_mov_b32 s2, exec_lo
	v_cmpx_nle_f32_e64 0x40a00000, |v41|
	s_cbranch_execz .LBB33_173
; %bb.162:
	v_mov_b32_e32 v39, 6
	s_mov_b32 s3, exec_lo
	v_cmpx_nle_f32_e64 0x40600000, |v41|
	s_cbranch_execz .LBB33_172
; %bb.163:
	v_mov_b32_e32 v39, 5
	;; [unrolled: 5-line block ×5, first 2 shown]
	s_mov_b32 s11, exec_lo
	v_cmpx_nle_f32_e64 0x3f400000, |v41|
; %bb.167:
	v_cmp_le_f32_e64 s12, 0x3e800000, |v41|
	s_delay_alu instid0(VALU_DEP_1)
	v_cndmask_b32_e64 v39, 0, 1, s12
; %bb.168:
	s_or_b32 exec_lo, exec_lo, s11
.LBB33_169:
	s_delay_alu instid0(SALU_CYCLE_1)
	s_or_b32 exec_lo, exec_lo, s10
.LBB33_170:
	s_delay_alu instid0(SALU_CYCLE_1)
	s_or_b32 exec_lo, exec_lo, s9
.LBB33_171:
	s_delay_alu instid0(SALU_CYCLE_1)
	s_or_b32 exec_lo, exec_lo, s6
.LBB33_172:
	s_delay_alu instid0(SALU_CYCLE_1)
	s_or_b32 exec_lo, exec_lo, s3
.LBB33_173:
	s_delay_alu instid0(SALU_CYCLE_1) | instskip(SKIP_3) | instid1(VALU_DEP_2)
	s_or_b32 exec_lo, exec_lo, s2
	v_dual_mul_f32 v49, v4, v45 :: v_dual_mov_b32 v48, 7
	v_mov_b32_e32 v45, 7
	s_mov_b32 s2, exec_lo
	v_cmpx_nle_f32_e64 0x40a00000, |v49|
	s_cbranch_execz .LBB33_185
; %bb.174:
	v_mov_b32_e32 v48, 6
	s_mov_b32 s3, exec_lo
	v_cmpx_nle_f32_e64 0x40600000, |v49|
	s_cbranch_execz .LBB33_184
; %bb.175:
	v_mov_b32_e32 v48, 5
	s_mov_b32 s6, exec_lo
	v_cmpx_nle_f32_e64 0x40200000, |v49|
	s_cbranch_execz .LBB33_183
; %bb.176:
	v_mov_b32_e32 v48, 4
	s_mov_b32 s9, exec_lo
	v_cmpx_nle_f32_e64 0x3fe00000, |v49|
	s_cbranch_execz .LBB33_182
; %bb.177:
	v_mov_b32_e32 v48, 3
	s_mov_b32 s10, exec_lo
	v_cmpx_nle_f32_e64 0x3fa00000, |v49|
	s_cbranch_execz .LBB33_181
; %bb.178:
	v_mov_b32_e32 v48, 2
	s_mov_b32 s11, exec_lo
	v_cmpx_nle_f32_e64 0x3f400000, |v49|
; %bb.179:
	v_cmp_le_f32_e64 s12, 0x3e800000, |v49|
	s_delay_alu instid0(VALU_DEP_1)
	v_cndmask_b32_e64 v48, 0, 1, s12
; %bb.180:
	s_or_b32 exec_lo, exec_lo, s11
.LBB33_181:
	s_delay_alu instid0(SALU_CYCLE_1)
	s_or_b32 exec_lo, exec_lo, s10
.LBB33_182:
	s_delay_alu instid0(SALU_CYCLE_1)
	s_or_b32 exec_lo, exec_lo, s9
.LBB33_183:
	s_delay_alu instid0(SALU_CYCLE_1)
	s_or_b32 exec_lo, exec_lo, s6
.LBB33_184:
	s_delay_alu instid0(SALU_CYCLE_1)
	s_or_b32 exec_lo, exec_lo, s3
.LBB33_185:
	s_delay_alu instid0(SALU_CYCLE_1) | instskip(SKIP_2) | instid1(VALU_DEP_1)
	s_or_b32 exec_lo, exec_lo, s2
	v_mul_f32_e32 v47, v4, v47
	s_mov_b32 s2, exec_lo
	v_cmpx_nle_f32_e64 0x40a00000, |v47|
	s_cbranch_execz .LBB33_197
; %bb.186:
	v_mov_b32_e32 v45, 6
	s_mov_b32 s3, exec_lo
	v_cmpx_nle_f32_e64 0x40600000, |v47|
	s_cbranch_execz .LBB33_196
; %bb.187:
	v_mov_b32_e32 v45, 5
	;; [unrolled: 5-line block ×5, first 2 shown]
	s_mov_b32 s11, exec_lo
	v_cmpx_nle_f32_e64 0x3f400000, |v47|
; %bb.191:
	v_cmp_le_f32_e64 s12, 0x3e800000, |v47|
	s_delay_alu instid0(VALU_DEP_1)
	v_cndmask_b32_e64 v45, 0, 1, s12
; %bb.192:
	s_or_b32 exec_lo, exec_lo, s11
.LBB33_193:
	s_delay_alu instid0(SALU_CYCLE_1)
	s_or_b32 exec_lo, exec_lo, s10
.LBB33_194:
	s_delay_alu instid0(SALU_CYCLE_1)
	s_or_b32 exec_lo, exec_lo, s9
.LBB33_195:
	s_delay_alu instid0(SALU_CYCLE_1)
	s_or_b32 exec_lo, exec_lo, s6
.LBB33_196:
	s_delay_alu instid0(SALU_CYCLE_1)
	s_or_b32 exec_lo, exec_lo, s3
.LBB33_197:
	s_delay_alu instid0(SALU_CYCLE_1) | instskip(SKIP_3) | instid1(VALU_DEP_2)
	s_or_b32 exec_lo, exec_lo, s2
	v_dual_mul_f32 v55, v4, v51 :: v_dual_mov_b32 v54, 7
	v_mov_b32_e32 v51, 7
	s_mov_b32 s2, exec_lo
	v_cmpx_nle_f32_e64 0x40a00000, |v55|
	s_cbranch_execz .LBB33_209
; %bb.198:
	v_mov_b32_e32 v54, 6
	s_mov_b32 s3, exec_lo
	v_cmpx_nle_f32_e64 0x40600000, |v55|
	s_cbranch_execz .LBB33_208
; %bb.199:
	v_mov_b32_e32 v54, 5
	s_mov_b32 s6, exec_lo
	v_cmpx_nle_f32_e64 0x40200000, |v55|
	s_cbranch_execz .LBB33_207
; %bb.200:
	v_mov_b32_e32 v54, 4
	s_mov_b32 s9, exec_lo
	v_cmpx_nle_f32_e64 0x3fe00000, |v55|
	s_cbranch_execz .LBB33_206
; %bb.201:
	v_mov_b32_e32 v54, 3
	s_mov_b32 s10, exec_lo
	v_cmpx_nle_f32_e64 0x3fa00000, |v55|
	s_cbranch_execz .LBB33_205
; %bb.202:
	v_mov_b32_e32 v54, 2
	s_mov_b32 s11, exec_lo
	v_cmpx_nle_f32_e64 0x3f400000, |v55|
; %bb.203:
	v_cmp_le_f32_e64 s12, 0x3e800000, |v55|
	s_delay_alu instid0(VALU_DEP_1)
	v_cndmask_b32_e64 v54, 0, 1, s12
; %bb.204:
	s_or_b32 exec_lo, exec_lo, s11
.LBB33_205:
	s_delay_alu instid0(SALU_CYCLE_1)
	s_or_b32 exec_lo, exec_lo, s10
.LBB33_206:
	s_delay_alu instid0(SALU_CYCLE_1)
	s_or_b32 exec_lo, exec_lo, s9
.LBB33_207:
	s_delay_alu instid0(SALU_CYCLE_1)
	s_or_b32 exec_lo, exec_lo, s6
.LBB33_208:
	s_delay_alu instid0(SALU_CYCLE_1)
	s_or_b32 exec_lo, exec_lo, s3
.LBB33_209:
	s_delay_alu instid0(SALU_CYCLE_1) | instskip(SKIP_2) | instid1(VALU_DEP_1)
	s_or_b32 exec_lo, exec_lo, s2
	v_mul_f32_e32 v53, v4, v53
	s_mov_b32 s2, exec_lo
	v_cmpx_nle_f32_e64 0x40a00000, |v53|
	s_cbranch_execz .LBB33_221
; %bb.210:
	v_mov_b32_e32 v51, 6
	s_mov_b32 s3, exec_lo
	v_cmpx_nle_f32_e64 0x40600000, |v53|
	s_cbranch_execz .LBB33_220
; %bb.211:
	v_mov_b32_e32 v51, 5
	;; [unrolled: 5-line block ×5, first 2 shown]
	s_mov_b32 s11, exec_lo
	v_cmpx_nle_f32_e64 0x3f400000, |v53|
; %bb.215:
	v_cmp_le_f32_e64 s12, 0x3e800000, |v53|
	s_delay_alu instid0(VALU_DEP_1)
	v_cndmask_b32_e64 v51, 0, 1, s12
; %bb.216:
	s_or_b32 exec_lo, exec_lo, s11
.LBB33_217:
	s_delay_alu instid0(SALU_CYCLE_1)
	s_or_b32 exec_lo, exec_lo, s10
.LBB33_218:
	s_delay_alu instid0(SALU_CYCLE_1)
	s_or_b32 exec_lo, exec_lo, s9
.LBB33_219:
	s_delay_alu instid0(SALU_CYCLE_1)
	s_or_b32 exec_lo, exec_lo, s6
.LBB33_220:
	s_delay_alu instid0(SALU_CYCLE_1)
	s_or_b32 exec_lo, exec_lo, s3
.LBB33_221:
	s_delay_alu instid0(SALU_CYCLE_1) | instskip(SKIP_3) | instid1(VALU_DEP_2)
	s_or_b32 exec_lo, exec_lo, s2
	v_dual_mul_f32 v56, v4, v52 :: v_dual_mov_b32 v57, 7
	v_mov_b32_e32 v52, 7
	s_mov_b32 s2, exec_lo
	v_cmpx_nle_f32_e64 0x40a00000, |v56|
	s_cbranch_execz .LBB33_233
; %bb.222:
	v_mov_b32_e32 v57, 6
	s_mov_b32 s3, exec_lo
	v_cmpx_nle_f32_e64 0x40600000, |v56|
	s_cbranch_execz .LBB33_232
; %bb.223:
	;; [unrolled: 5-line block ×5, first 2 shown]
	v_mov_b32_e32 v57, 2
	s_mov_b32 s11, exec_lo
	v_cmpx_nle_f32_e64 0x3f400000, |v56|
; %bb.227:
	v_cmp_le_f32_e64 s12, 0x3e800000, |v56|
	s_delay_alu instid0(VALU_DEP_1)
	v_cndmask_b32_e64 v57, 0, 1, s12
; %bb.228:
	s_or_b32 exec_lo, exec_lo, s11
.LBB33_229:
	s_delay_alu instid0(SALU_CYCLE_1)
	s_or_b32 exec_lo, exec_lo, s10
.LBB33_230:
	s_delay_alu instid0(SALU_CYCLE_1)
	s_or_b32 exec_lo, exec_lo, s9
.LBB33_231:
	s_delay_alu instid0(SALU_CYCLE_1)
	s_or_b32 exec_lo, exec_lo, s6
.LBB33_232:
	s_delay_alu instid0(SALU_CYCLE_1)
	s_or_b32 exec_lo, exec_lo, s3
.LBB33_233:
	s_delay_alu instid0(SALU_CYCLE_1) | instskip(SKIP_2) | instid1(VALU_DEP_1)
	s_or_b32 exec_lo, exec_lo, s2
	v_mul_f32_e32 v50, v4, v50
	s_mov_b32 s2, exec_lo
	v_cmpx_nle_f32_e64 0x40a00000, |v50|
	s_cbranch_execz .LBB33_245
; %bb.234:
	v_mov_b32_e32 v52, 6
	s_mov_b32 s3, exec_lo
	v_cmpx_nle_f32_e64 0x40600000, |v50|
	s_cbranch_execz .LBB33_244
; %bb.235:
	v_mov_b32_e32 v52, 5
	;; [unrolled: 5-line block ×5, first 2 shown]
	s_mov_b32 s11, exec_lo
	v_cmpx_nle_f32_e64 0x3f400000, |v50|
; %bb.239:
	v_cmp_le_f32_e64 s12, 0x3e800000, |v50|
	s_delay_alu instid0(VALU_DEP_1)
	v_cndmask_b32_e64 v52, 0, 1, s12
; %bb.240:
	s_or_b32 exec_lo, exec_lo, s11
.LBB33_241:
	s_delay_alu instid0(SALU_CYCLE_1)
	s_or_b32 exec_lo, exec_lo, s10
.LBB33_242:
	s_delay_alu instid0(SALU_CYCLE_1)
	s_or_b32 exec_lo, exec_lo, s9
.LBB33_243:
	s_delay_alu instid0(SALU_CYCLE_1)
	s_or_b32 exec_lo, exec_lo, s6
.LBB33_244:
	s_delay_alu instid0(SALU_CYCLE_1)
	s_or_b32 exec_lo, exec_lo, s3
.LBB33_245:
	s_delay_alu instid0(SALU_CYCLE_1) | instskip(SKIP_3) | instid1(VALU_DEP_2)
	s_or_b32 exec_lo, exec_lo, s2
	v_dual_mul_f32 v58, v4, v46 :: v_dual_mov_b32 v59, 7
	v_mov_b32_e32 v46, 7
	s_mov_b32 s2, exec_lo
	v_cmpx_nle_f32_e64 0x40a00000, |v58|
	s_cbranch_execz .LBB33_257
; %bb.246:
	v_mov_b32_e32 v59, 6
	s_mov_b32 s3, exec_lo
	v_cmpx_nle_f32_e64 0x40600000, |v58|
	s_cbranch_execz .LBB33_256
; %bb.247:
	;; [unrolled: 5-line block ×5, first 2 shown]
	v_mov_b32_e32 v59, 2
	s_mov_b32 s11, exec_lo
	v_cmpx_nle_f32_e64 0x3f400000, |v58|
; %bb.251:
	v_cmp_le_f32_e64 s12, 0x3e800000, |v58|
	s_delay_alu instid0(VALU_DEP_1)
	v_cndmask_b32_e64 v59, 0, 1, s12
; %bb.252:
	s_or_b32 exec_lo, exec_lo, s11
.LBB33_253:
	s_delay_alu instid0(SALU_CYCLE_1)
	s_or_b32 exec_lo, exec_lo, s10
.LBB33_254:
	s_delay_alu instid0(SALU_CYCLE_1)
	s_or_b32 exec_lo, exec_lo, s9
.LBB33_255:
	s_delay_alu instid0(SALU_CYCLE_1)
	s_or_b32 exec_lo, exec_lo, s6
.LBB33_256:
	s_delay_alu instid0(SALU_CYCLE_1)
	s_or_b32 exec_lo, exec_lo, s3
.LBB33_257:
	s_delay_alu instid0(SALU_CYCLE_1) | instskip(SKIP_2) | instid1(VALU_DEP_1)
	s_or_b32 exec_lo, exec_lo, s2
	v_mul_f32_e32 v44, v4, v44
	s_mov_b32 s2, exec_lo
	v_cmpx_nle_f32_e64 0x40a00000, |v44|
	s_cbranch_execz .LBB33_269
; %bb.258:
	v_mov_b32_e32 v46, 6
	s_mov_b32 s3, exec_lo
	v_cmpx_nle_f32_e64 0x40600000, |v44|
	s_cbranch_execz .LBB33_268
; %bb.259:
	v_mov_b32_e32 v46, 5
	s_mov_b32 s6, exec_lo
	v_cmpx_nle_f32_e64 0x40200000, |v44|
	s_cbranch_execz .LBB33_267
; %bb.260:
	v_mov_b32_e32 v46, 4
	s_mov_b32 s9, exec_lo
	v_cmpx_nle_f32_e64 0x3fe00000, |v44|
	s_cbranch_execz .LBB33_266
; %bb.261:
	v_mov_b32_e32 v46, 3
	s_mov_b32 s10, exec_lo
	v_cmpx_nle_f32_e64 0x3fa00000, |v44|
	s_cbranch_execz .LBB33_265
; %bb.262:
	v_mov_b32_e32 v46, 2
	s_mov_b32 s11, exec_lo
	v_cmpx_nle_f32_e64 0x3f400000, |v44|
; %bb.263:
	v_cmp_le_f32_e64 s12, 0x3e800000, |v44|
	s_delay_alu instid0(VALU_DEP_1)
	v_cndmask_b32_e64 v46, 0, 1, s12
; %bb.264:
	s_or_b32 exec_lo, exec_lo, s11
.LBB33_265:
	s_delay_alu instid0(SALU_CYCLE_1)
	s_or_b32 exec_lo, exec_lo, s10
.LBB33_266:
	s_delay_alu instid0(SALU_CYCLE_1)
	s_or_b32 exec_lo, exec_lo, s9
.LBB33_267:
	s_delay_alu instid0(SALU_CYCLE_1)
	s_or_b32 exec_lo, exec_lo, s6
.LBB33_268:
	s_delay_alu instid0(SALU_CYCLE_1)
	s_or_b32 exec_lo, exec_lo, s3
.LBB33_269:
	s_delay_alu instid0(SALU_CYCLE_1) | instskip(SKIP_3) | instid1(VALU_DEP_2)
	s_or_b32 exec_lo, exec_lo, s2
	v_dual_mul_f32 v61, v4, v40 :: v_dual_mov_b32 v40, 7
	v_mov_b32_e32 v60, 7
	s_mov_b32 s2, exec_lo
	v_cmpx_nle_f32_e64 0x40a00000, |v61|
	s_cbranch_execz .LBB33_281
; %bb.270:
	v_mov_b32_e32 v60, 6
	s_mov_b32 s3, exec_lo
	v_cmpx_nle_f32_e64 0x40600000, |v61|
	s_cbranch_execz .LBB33_280
; %bb.271:
	v_mov_b32_e32 v60, 5
	s_mov_b32 s6, exec_lo
	v_cmpx_nle_f32_e64 0x40200000, |v61|
	s_cbranch_execz .LBB33_279
; %bb.272:
	v_mov_b32_e32 v60, 4
	s_mov_b32 s9, exec_lo
	v_cmpx_nle_f32_e64 0x3fe00000, |v61|
	s_cbranch_execz .LBB33_278
; %bb.273:
	v_mov_b32_e32 v60, 3
	s_mov_b32 s10, exec_lo
	v_cmpx_nle_f32_e64 0x3fa00000, |v61|
	s_cbranch_execz .LBB33_277
; %bb.274:
	v_mov_b32_e32 v60, 2
	s_mov_b32 s11, exec_lo
	v_cmpx_nle_f32_e64 0x3f400000, |v61|
; %bb.275:
	v_cmp_le_f32_e64 s12, 0x3e800000, |v61|
	s_delay_alu instid0(VALU_DEP_1)
	v_cndmask_b32_e64 v60, 0, 1, s12
; %bb.276:
	s_or_b32 exec_lo, exec_lo, s11
.LBB33_277:
	s_delay_alu instid0(SALU_CYCLE_1)
	s_or_b32 exec_lo, exec_lo, s10
.LBB33_278:
	s_delay_alu instid0(SALU_CYCLE_1)
	s_or_b32 exec_lo, exec_lo, s9
.LBB33_279:
	s_delay_alu instid0(SALU_CYCLE_1)
	s_or_b32 exec_lo, exec_lo, s6
.LBB33_280:
	s_delay_alu instid0(SALU_CYCLE_1)
	s_or_b32 exec_lo, exec_lo, s3
.LBB33_281:
	s_delay_alu instid0(SALU_CYCLE_1) | instskip(SKIP_2) | instid1(VALU_DEP_1)
	s_or_b32 exec_lo, exec_lo, s2
	v_mul_f32_e32 v38, v4, v38
	s_mov_b32 s2, exec_lo
	v_cmpx_nle_f32_e64 0x40a00000, |v38|
	s_cbranch_execz .LBB33_293
; %bb.282:
	v_mov_b32_e32 v40, 6
	s_mov_b32 s3, exec_lo
	v_cmpx_nle_f32_e64 0x40600000, |v38|
	s_cbranch_execz .LBB33_292
; %bb.283:
	v_mov_b32_e32 v40, 5
	;; [unrolled: 5-line block ×5, first 2 shown]
	s_mov_b32 s11, exec_lo
	v_cmpx_nle_f32_e64 0x3f400000, |v38|
; %bb.287:
	v_cmp_le_f32_e64 s12, 0x3e800000, |v38|
	s_delay_alu instid0(VALU_DEP_1)
	v_cndmask_b32_e64 v40, 0, 1, s12
; %bb.288:
	s_or_b32 exec_lo, exec_lo, s11
.LBB33_289:
	s_delay_alu instid0(SALU_CYCLE_1)
	s_or_b32 exec_lo, exec_lo, s10
.LBB33_290:
	s_delay_alu instid0(SALU_CYCLE_1)
	s_or_b32 exec_lo, exec_lo, s9
.LBB33_291:
	s_delay_alu instid0(SALU_CYCLE_1)
	s_or_b32 exec_lo, exec_lo, s6
.LBB33_292:
	s_delay_alu instid0(SALU_CYCLE_1)
	s_or_b32 exec_lo, exec_lo, s3
.LBB33_293:
	s_delay_alu instid0(SALU_CYCLE_1) | instskip(SKIP_3) | instid1(VALU_DEP_2)
	s_or_b32 exec_lo, exec_lo, s2
	v_dual_mul_f32 v63, v4, v34 :: v_dual_mov_b32 v34, 7
	v_mov_b32_e32 v62, 7
	s_mov_b32 s2, exec_lo
	v_cmpx_nle_f32_e64 0x40a00000, |v63|
	s_cbranch_execz .LBB33_305
; %bb.294:
	v_mov_b32_e32 v62, 6
	s_mov_b32 s3, exec_lo
	v_cmpx_nle_f32_e64 0x40600000, |v63|
	s_cbranch_execz .LBB33_304
; %bb.295:
	;; [unrolled: 5-line block ×5, first 2 shown]
	v_mov_b32_e32 v62, 2
	s_mov_b32 s11, exec_lo
	v_cmpx_nle_f32_e64 0x3f400000, |v63|
; %bb.299:
	v_cmp_le_f32_e64 s12, 0x3e800000, |v63|
	s_delay_alu instid0(VALU_DEP_1)
	v_cndmask_b32_e64 v62, 0, 1, s12
; %bb.300:
	s_or_b32 exec_lo, exec_lo, s11
.LBB33_301:
	s_delay_alu instid0(SALU_CYCLE_1)
	s_or_b32 exec_lo, exec_lo, s10
.LBB33_302:
	s_delay_alu instid0(SALU_CYCLE_1)
	s_or_b32 exec_lo, exec_lo, s9
.LBB33_303:
	s_delay_alu instid0(SALU_CYCLE_1)
	s_or_b32 exec_lo, exec_lo, s6
.LBB33_304:
	s_delay_alu instid0(SALU_CYCLE_1)
	s_or_b32 exec_lo, exec_lo, s3
.LBB33_305:
	s_delay_alu instid0(SALU_CYCLE_1) | instskip(SKIP_2) | instid1(VALU_DEP_1)
	s_or_b32 exec_lo, exec_lo, s2
	v_mul_f32_e32 v32, v4, v32
	s_mov_b32 s2, exec_lo
	v_cmpx_nle_f32_e64 0x40a00000, |v32|
	s_cbranch_execz .LBB33_317
; %bb.306:
	v_mov_b32_e32 v34, 6
	s_mov_b32 s3, exec_lo
	v_cmpx_nle_f32_e64 0x40600000, |v32|
	s_cbranch_execz .LBB33_316
; %bb.307:
	v_mov_b32_e32 v34, 5
	;; [unrolled: 5-line block ×5, first 2 shown]
	s_mov_b32 s11, exec_lo
	v_cmpx_nle_f32_e64 0x3f400000, |v32|
; %bb.311:
	v_cmp_le_f32_e64 s12, 0x3e800000, |v32|
	s_delay_alu instid0(VALU_DEP_1)
	v_cndmask_b32_e64 v34, 0, 1, s12
; %bb.312:
	s_or_b32 exec_lo, exec_lo, s11
.LBB33_313:
	s_delay_alu instid0(SALU_CYCLE_1)
	s_or_b32 exec_lo, exec_lo, s10
.LBB33_314:
	s_delay_alu instid0(SALU_CYCLE_1)
	s_or_b32 exec_lo, exec_lo, s9
.LBB33_315:
	s_delay_alu instid0(SALU_CYCLE_1)
	s_or_b32 exec_lo, exec_lo, s6
.LBB33_316:
	s_delay_alu instid0(SALU_CYCLE_1)
	s_or_b32 exec_lo, exec_lo, s3
.LBB33_317:
	s_delay_alu instid0(SALU_CYCLE_1) | instskip(SKIP_3) | instid1(VALU_DEP_2)
	s_or_b32 exec_lo, exec_lo, s2
	v_dual_mul_f32 v65, v4, v28 :: v_dual_mov_b32 v28, 7
	v_mov_b32_e32 v64, 7
	s_mov_b32 s2, exec_lo
	v_cmpx_nle_f32_e64 0x40a00000, |v65|
	s_cbranch_execz .LBB33_329
; %bb.318:
	v_mov_b32_e32 v64, 6
	s_mov_b32 s3, exec_lo
	v_cmpx_nle_f32_e64 0x40600000, |v65|
	s_cbranch_execz .LBB33_328
; %bb.319:
	;; [unrolled: 5-line block ×5, first 2 shown]
	v_mov_b32_e32 v64, 2
	s_mov_b32 s11, exec_lo
	v_cmpx_nle_f32_e64 0x3f400000, |v65|
; %bb.323:
	v_cmp_le_f32_e64 s12, 0x3e800000, |v65|
	s_delay_alu instid0(VALU_DEP_1)
	v_cndmask_b32_e64 v64, 0, 1, s12
; %bb.324:
	s_or_b32 exec_lo, exec_lo, s11
.LBB33_325:
	s_delay_alu instid0(SALU_CYCLE_1)
	s_or_b32 exec_lo, exec_lo, s10
.LBB33_326:
	s_delay_alu instid0(SALU_CYCLE_1)
	s_or_b32 exec_lo, exec_lo, s9
.LBB33_327:
	s_delay_alu instid0(SALU_CYCLE_1)
	s_or_b32 exec_lo, exec_lo, s6
.LBB33_328:
	s_delay_alu instid0(SALU_CYCLE_1)
	s_or_b32 exec_lo, exec_lo, s3
.LBB33_329:
	s_delay_alu instid0(SALU_CYCLE_1) | instskip(SKIP_2) | instid1(VALU_DEP_1)
	s_or_b32 exec_lo, exec_lo, s2
	v_mul_f32_e32 v26, v4, v26
	s_mov_b32 s2, exec_lo
	v_cmpx_nle_f32_e64 0x40a00000, |v26|
	s_cbranch_execz .LBB33_341
; %bb.330:
	v_mov_b32_e32 v28, 6
	s_mov_b32 s3, exec_lo
	v_cmpx_nle_f32_e64 0x40600000, |v26|
	s_cbranch_execz .LBB33_340
; %bb.331:
	v_mov_b32_e32 v28, 5
	;; [unrolled: 5-line block ×5, first 2 shown]
	s_mov_b32 s11, exec_lo
	v_cmpx_nle_f32_e64 0x3f400000, |v26|
; %bb.335:
	v_cmp_le_f32_e64 s12, 0x3e800000, |v26|
	s_delay_alu instid0(VALU_DEP_1)
	v_cndmask_b32_e64 v28, 0, 1, s12
; %bb.336:
	s_or_b32 exec_lo, exec_lo, s11
.LBB33_337:
	s_delay_alu instid0(SALU_CYCLE_1)
	s_or_b32 exec_lo, exec_lo, s10
.LBB33_338:
	s_delay_alu instid0(SALU_CYCLE_1)
	s_or_b32 exec_lo, exec_lo, s9
.LBB33_339:
	s_delay_alu instid0(SALU_CYCLE_1)
	s_or_b32 exec_lo, exec_lo, s6
.LBB33_340:
	s_delay_alu instid0(SALU_CYCLE_1)
	s_or_b32 exec_lo, exec_lo, s3
.LBB33_341:
	s_delay_alu instid0(SALU_CYCLE_1) | instskip(SKIP_3) | instid1(VALU_DEP_2)
	s_or_b32 exec_lo, exec_lo, s2
	v_dual_mul_f32 v66, v4, v23 :: v_dual_mov_b32 v23, 7
	v_mov_b32_e32 v67, 7
	s_mov_b32 s2, exec_lo
	v_cmpx_nle_f32_e64 0x40a00000, |v66|
	s_cbranch_execz .LBB33_353
; %bb.342:
	v_mov_b32_e32 v67, 6
	s_mov_b32 s3, exec_lo
	v_cmpx_nle_f32_e64 0x40600000, |v66|
	s_cbranch_execz .LBB33_352
; %bb.343:
	;; [unrolled: 5-line block ×5, first 2 shown]
	v_mov_b32_e32 v67, 2
	s_mov_b32 s11, exec_lo
	v_cmpx_nle_f32_e64 0x3f400000, |v66|
; %bb.347:
	v_cmp_le_f32_e64 s12, 0x3e800000, |v66|
	s_delay_alu instid0(VALU_DEP_1)
	v_cndmask_b32_e64 v67, 0, 1, s12
; %bb.348:
	s_or_b32 exec_lo, exec_lo, s11
.LBB33_349:
	s_delay_alu instid0(SALU_CYCLE_1)
	s_or_b32 exec_lo, exec_lo, s10
.LBB33_350:
	s_delay_alu instid0(SALU_CYCLE_1)
	s_or_b32 exec_lo, exec_lo, s9
.LBB33_351:
	s_delay_alu instid0(SALU_CYCLE_1)
	s_or_b32 exec_lo, exec_lo, s6
.LBB33_352:
	s_delay_alu instid0(SALU_CYCLE_1)
	s_or_b32 exec_lo, exec_lo, s3
.LBB33_353:
	s_delay_alu instid0(SALU_CYCLE_1) | instskip(SKIP_2) | instid1(VALU_DEP_1)
	s_or_b32 exec_lo, exec_lo, s2
	v_mul_f32_e32 v20, v4, v20
	s_mov_b32 s2, exec_lo
	v_cmpx_nle_f32_e64 0x40a00000, |v20|
	s_cbranch_execz .LBB33_365
; %bb.354:
	v_mov_b32_e32 v23, 6
	s_mov_b32 s3, exec_lo
	v_cmpx_nle_f32_e64 0x40600000, |v20|
	s_cbranch_execz .LBB33_364
; %bb.355:
	v_mov_b32_e32 v23, 5
	;; [unrolled: 5-line block ×5, first 2 shown]
	s_mov_b32 s11, exec_lo
	v_cmpx_nle_f32_e64 0x3f400000, |v20|
; %bb.359:
	v_cmp_le_f32_e64 s12, 0x3e800000, |v20|
	s_delay_alu instid0(VALU_DEP_1)
	v_cndmask_b32_e64 v23, 0, 1, s12
; %bb.360:
	s_or_b32 exec_lo, exec_lo, s11
.LBB33_361:
	s_delay_alu instid0(SALU_CYCLE_1)
	s_or_b32 exec_lo, exec_lo, s10
.LBB33_362:
	s_delay_alu instid0(SALU_CYCLE_1)
	s_or_b32 exec_lo, exec_lo, s9
.LBB33_363:
	s_delay_alu instid0(SALU_CYCLE_1)
	s_or_b32 exec_lo, exec_lo, s6
.LBB33_364:
	s_delay_alu instid0(SALU_CYCLE_1)
	s_or_b32 exec_lo, exec_lo, s3
.LBB33_365:
	s_delay_alu instid0(SALU_CYCLE_1) | instskip(SKIP_3) | instid1(VALU_DEP_2)
	s_or_b32 exec_lo, exec_lo, s2
	v_dual_mul_f32 v69, v4, v18 :: v_dual_mov_b32 v18, 7
	v_mov_b32_e32 v70, 7
	s_mov_b32 s2, exec_lo
	v_cmpx_nle_f32_e64 0x40a00000, |v69|
	s_cbranch_execz .LBB33_377
; %bb.366:
	v_mov_b32_e32 v70, 6
	s_mov_b32 s3, exec_lo
	v_cmpx_nle_f32_e64 0x40600000, |v69|
	s_cbranch_execz .LBB33_376
; %bb.367:
	;; [unrolled: 5-line block ×5, first 2 shown]
	v_mov_b32_e32 v70, 2
	s_mov_b32 s11, exec_lo
	v_cmpx_nle_f32_e64 0x3f400000, |v69|
; %bb.371:
	v_cmp_le_f32_e64 s12, 0x3e800000, |v69|
	s_delay_alu instid0(VALU_DEP_1)
	v_cndmask_b32_e64 v70, 0, 1, s12
; %bb.372:
	s_or_b32 exec_lo, exec_lo, s11
.LBB33_373:
	s_delay_alu instid0(SALU_CYCLE_1)
	s_or_b32 exec_lo, exec_lo, s10
.LBB33_374:
	s_delay_alu instid0(SALU_CYCLE_1)
	s_or_b32 exec_lo, exec_lo, s9
.LBB33_375:
	s_delay_alu instid0(SALU_CYCLE_1)
	s_or_b32 exec_lo, exec_lo, s6
.LBB33_376:
	s_delay_alu instid0(SALU_CYCLE_1)
	s_or_b32 exec_lo, exec_lo, s3
.LBB33_377:
	s_delay_alu instid0(SALU_CYCLE_1) | instskip(SKIP_2) | instid1(VALU_DEP_1)
	s_or_b32 exec_lo, exec_lo, s2
	v_mul_f32_e32 v68, v4, v3
	s_mov_b32 s2, exec_lo
	v_cmpx_nle_f32_e64 0x40a00000, |v68|
	s_cbranch_execz .LBB33_389
; %bb.378:
	v_mov_b32_e32 v18, 6
	s_mov_b32 s3, exec_lo
	v_cmpx_nle_f32_e64 0x40600000, |v68|
	s_cbranch_execz .LBB33_388
; %bb.379:
	v_mov_b32_e32 v18, 5
	;; [unrolled: 5-line block ×5, first 2 shown]
	s_mov_b32 s11, exec_lo
	v_cmpx_nle_f32_e64 0x3f400000, |v68|
; %bb.383:
	v_cmp_le_f32_e64 s12, 0x3e800000, |v68|
	s_delay_alu instid0(VALU_DEP_1)
	v_cndmask_b32_e64 v18, 0, 1, s12
; %bb.384:
	s_or_b32 exec_lo, exec_lo, s11
.LBB33_385:
	s_delay_alu instid0(SALU_CYCLE_1)
	s_or_b32 exec_lo, exec_lo, s10
.LBB33_386:
	s_delay_alu instid0(SALU_CYCLE_1)
	s_or_b32 exec_lo, exec_lo, s9
.LBB33_387:
	s_delay_alu instid0(SALU_CYCLE_1)
	s_or_b32 exec_lo, exec_lo, s6
.LBB33_388:
	s_delay_alu instid0(SALU_CYCLE_1)
	s_or_b32 exec_lo, exec_lo, s3
.LBB33_389:
	s_delay_alu instid0(SALU_CYCLE_1)
	s_or_b32 exec_lo, exec_lo, s2
	s_load_b64 s[2:3], s[0:1], 0x8
	v_lshrrev_b32_e32 v3, 2, v5
	s_bitcmp1_b32 s7, 0
	v_and_b32_e32 v71, 3, v5
	s_cselect_b32 s6, -1, 0
	s_lshr_b32 s9, s4, 31
	v_lshlrev_b32_e32 v72, 10, v3
	s_xor_b32 s6, s6, -1
	s_add_i32 s4, s4, s9
	s_mov_b32 s7, -1
	s_and_b32 vcc_lo, exec_lo, s6
	s_ashr_i32 s4, s4, 1
	s_cbranch_vccz .LBB33_391
; %bb.390:
	v_dual_mov_b32 v4, 0 :: v_dual_lshlrev_b32 v3, 4, v0
	v_and_b32_e32 v75, -16, v0
	s_ashr_i32 s7, s4, 31
	v_mul_lo_u32 v1, v1, s4
	s_delay_alu instid0(VALU_DEP_3) | instskip(NEXT) | instid1(VALU_DEP_3)
	v_and_b32_e32 v3, 0xf0, v3
	v_mul_lo_u32 v76, v75, s7
	s_delay_alu instid0(VALU_DEP_2) | instskip(SKIP_1) | instid1(VALU_DEP_2)
	v_mad_u64_u32 v[73:74], null, v75, s4, v[3:4]
	v_lshlrev_b32_e32 v3, 8, v71
	v_add3_u32 v1, v1, v74, v76
	s_delay_alu instid0(VALU_DEP_3) | instskip(NEXT) | instid1(VALU_DEP_2)
	v_add_co_u32 v4, vcc_lo, v73, v72
	v_add_co_ci_u32_e32 v1, vcc_lo, 0, v1, vcc_lo
	s_delay_alu instid0(VALU_DEP_2) | instskip(NEXT) | instid1(VALU_DEP_2)
	v_add_co_u32 v3, vcc_lo, v4, v3
	v_add_co_ci_u32_e32 v4, vcc_lo, 0, v1, vcc_lo
	s_cbranch_execz .LBB33_392
	s_branch .LBB33_393
.LBB33_391:
                                        ; implicit-def: $vgpr3_vgpr4
	s_and_not1_b32 vcc_lo, exec_lo, s7
	s_cbranch_vccnz .LBB33_393
.LBB33_392:
	s_ashr_i32 s7, s8, 1
	v_sub_nc_u32_e32 v4, 0, v0
	s_abs_i32 s9, s7
	s_ashr_i32 s4, s4, 6
	v_cvt_f32_u32_e32 v1, s9
	s_sub_i32 s10, 0, s9
	v_max_i32_e32 v4, v0, v4
	s_delay_alu instid0(VALU_DEP_2) | instskip(SKIP_2) | instid1(VALU_DEP_1)
	v_rcp_iflag_f32_e32 v1, v1
	s_waitcnt_depctr 0xfff
	v_mul_f32_e32 v1, 0x4f7ffffe, v1
	v_cvt_u32_f32_e32 v1, v1
	s_delay_alu instid0(VALU_DEP_1) | instskip(NEXT) | instid1(VALU_DEP_1)
	v_mul_lo_u32 v3, s10, v1
	v_mul_hi_u32 v3, v1, v3
	s_delay_alu instid0(VALU_DEP_1) | instskip(NEXT) | instid1(VALU_DEP_1)
	v_add_nc_u32_e32 v1, v1, v3
	v_mul_hi_u32 v1, v4, v1
	s_delay_alu instid0(VALU_DEP_1) | instskip(NEXT) | instid1(VALU_DEP_1)
	v_mul_lo_u32 v3, v1, s9
	v_sub_nc_u32_e32 v3, v4, v3
	v_add_nc_u32_e32 v4, 1, v1
	s_delay_alu instid0(VALU_DEP_2) | instskip(SKIP_1) | instid1(VALU_DEP_3)
	v_subrev_nc_u32_e32 v73, s9, v3
	v_cmp_le_u32_e32 vcc_lo, s9, v3
	v_cndmask_b32_e32 v1, v1, v4, vcc_lo
	s_delay_alu instid0(VALU_DEP_3) | instskip(SKIP_1) | instid1(VALU_DEP_3)
	v_cndmask_b32_e32 v3, v3, v73, vcc_lo
	v_xor_b32_e32 v4, s7, v0
	v_add_nc_u32_e32 v73, 1, v1
	s_delay_alu instid0(VALU_DEP_3) | instskip(NEXT) | instid1(VALU_DEP_3)
	v_cmp_le_u32_e32 vcc_lo, s9, v3
	v_ashrrev_i32_e32 v4, 31, v4
	v_lshl_or_b32 v3, v71, 8, v72
	s_delay_alu instid0(VALU_DEP_4) | instskip(NEXT) | instid1(VALU_DEP_1)
	v_cndmask_b32_e32 v1, v1, v73, vcc_lo
	v_xor_b32_e32 v1, v1, v4
	s_delay_alu instid0(VALU_DEP_1) | instskip(SKIP_1) | instid1(VALU_DEP_2)
	v_sub_nc_u32_e32 v1, v1, v4
	v_mov_b32_e32 v4, 0
	v_mul_lo_u32 v73, v1, s7
	s_lshl_b32 s7, s4, 10
	s_lshl_b32 s4, s4, 11
	s_delay_alu instid0(VALU_DEP_2) | instskip(NEXT) | instid1(VALU_DEP_2)
	v_mad_i64_i32 v[71:72], null, v1, s7, v[3:4]
	v_sub_nc_u32_e32 v73, v0, v73
	s_delay_alu instid0(VALU_DEP_1) | instskip(NEXT) | instid1(VALU_DEP_1)
	v_ashrrev_i32_e32 v1, 4, v73
	v_mad_i64_i32 v[3:4], null, v1, s4, v[71:72]
	v_lshlrev_b32_e32 v1, 4, v73
	s_delay_alu instid0(VALU_DEP_1)
	v_and_or_b32 v3, 0xf0, v1, v3
.LBB33_393:
	v_cmp_gt_f32_e32 vcc_lo, 0, v69
	v_lshlrev_b16 v9, 4, v9
	v_lshlrev_b16 v18, 4, v18
	v_lshlrev_b16 v23, 4, v23
	s_load_b64 s[0:1], s[0:1], 0x10
	v_cndmask_b32_e64 v1, 0, 1, vcc_lo
	v_cmp_gt_f32_e32 vcc_lo, 0, v66
	s_delay_alu instid0(VALU_DEP_2) | instskip(SKIP_2) | instid1(VALU_DEP_3)
	v_lshlrev_b16 v1, 3, v1
	v_cndmask_b32_e64 v66, 0, 1, vcc_lo
	v_cmp_gt_f32_e32 vcc_lo, 0, v65
	v_or_b32_e32 v1, v1, v70
	s_delay_alu instid0(VALU_DEP_3) | instskip(SKIP_2) | instid1(VALU_DEP_3)
	v_lshlrev_b16 v66, 3, v66
	v_cndmask_b32_e64 v65, 0, 1, vcc_lo
	v_cmp_gt_f32_e32 vcc_lo, 0, v63
	v_or_b32_e32 v66, v66, v67
	s_delay_alu instid0(VALU_DEP_3) | instskip(SKIP_2) | instid1(VALU_DEP_3)
	;; [unrolled: 5-line block ×12, first 2 shown]
	v_lshlrev_b16 v24, 3, v24
	v_cndmask_b32_e64 v17, 0, 1, vcc_lo
	v_cmp_gt_f32_e32 vcc_lo, 0, v7
	v_or_b32_e32 v22, v24, v22
	s_delay_alu instid0(VALU_DEP_3) | instskip(SKIP_2) | instid1(VALU_DEP_2)
	v_lshlrev_b16 v17, 3, v17
	v_cndmask_b32_e64 v7, 0, 1, vcc_lo
	v_cmp_gt_f32_e32 vcc_lo, 0, v10
	v_lshlrev_b16 v7, 3, v7
	v_cndmask_b32_e64 v10, 0, 1, vcc_lo
	v_cmp_gt_f32_e32 vcc_lo, 0, v12
	s_delay_alu instid0(VALU_DEP_3) | instskip(NEXT) | instid1(VALU_DEP_3)
	v_or_b32_e32 v7, v7, v8
	v_lshlrev_b16 v10, 7, v10
	v_cndmask_b32_e64 v12, 0, 1, vcc_lo
	v_cmp_gt_f32_e32 vcc_lo, 0, v14
	v_lshlrev_b16 v14, 4, v21
	v_lshlrev_b16 v21, 4, v52
	v_or_b32_e32 v8, v10, v9
	v_lshlrev_b16 v12, 3, v12
	v_cndmask_b32_e64 v9, 0, 1, vcc_lo
	v_cmp_gt_f32_e32 vcc_lo, 0, v19
	v_or_b32_e32 v10, v17, v16
	v_or_b32_e32 v7, v8, v7
	v_lshlrev_b16 v8, 4, v11
	v_or_b32_e32 v12, v12, v13
	v_cndmask_b32_e64 v11, 0, 1, vcc_lo
	v_cmp_gt_f32_e32 vcc_lo, 0, v25
	v_lshlrev_b16 v9, 7, v9
	v_lshlrev_b16 v16, 4, v39
	;; [unrolled: 1-line block ×4, first 2 shown]
	v_cndmask_b32_e64 v13, 0, 1, vcc_lo
	v_cmp_gt_f32_e32 vcc_lo, 0, v31
	v_or_b32_e32 v8, v9, v8
	v_lshlrev_b16 v9, 4, v15
	s_delay_alu instid0(VALU_DEP_4) | instskip(SKIP_2) | instid1(VALU_DEP_4)
	v_lshlrev_b16 v13, 7, v13
	v_cndmask_b32_e64 v15, 0, 1, vcc_lo
	v_cmp_gt_f32_e32 vcc_lo, 0, v36
	v_or_b32_e32 v9, v11, v9
	v_or_b32_e32 v8, v8, v12
	;; [unrolled: 1-line block ×3, first 2 shown]
	v_lshlrev_b16 v12, 4, v27
	v_cndmask_b32_e64 v14, 0, 1, vcc_lo
	v_cmp_gt_f32_e32 vcc_lo, 0, v41
	v_lshlrev_b16 v13, 7, v15
	v_or_b32_e32 v9, v9, v10
	v_or_b32_e32 v10, v11, v22
	v_lshlrev_b16 v14, 7, v14
	v_cndmask_b32_e64 v15, 0, 1, vcc_lo
	v_or_b32_e32 v12, v13, v12
	v_lshlrev_b16 v13, 4, v33
	v_cmp_gt_f32_e32 vcc_lo, 0, v47
	v_lshlrev_b16 v22, 4, v34
	v_lshlrev_b16 v15, 7, v15
	v_or_b32_e32 v11, v12, v29
	v_or_b32_e32 v12, v14, v13
	v_lshlrev_b16 v14, 4, v45
	v_lshlrev_b16 v8, 8, v8
	v_or_b32_e32 v13, v15, v16
	v_cndmask_b32_e64 v15, 0, 1, vcc_lo
	v_cmp_gt_f32_e32 vcc_lo, 0, v53
	v_or_b32_e32 v12, v12, v35
	v_lshlrev_b16 v10, 8, v10
	v_or_b32_e32 v13, v13, v42
	v_lshlrev_b16 v15, 7, v15
	v_cndmask_b32_e64 v16, 0, 1, vcc_lo
	v_cmp_gt_f32_e32 vcc_lo, 0, v50
	v_lshlrev_b16 v12, 8, v12
	v_or_b32_e32 v7, v7, v8
	v_or_b32_e32 v14, v15, v14
	v_lshlrev_b16 v16, 7, v16
	v_cndmask_b32_e64 v17, 0, 1, vcc_lo
	v_cmp_gt_f32_e32 vcc_lo, 0, v44
	v_or_b32_e32 v11, v11, v12
	v_or_b32_e32 v14, v14, v48
	;; [unrolled: 1-line block ×3, first 2 shown]
	v_lshlrev_b16 v17, 7, v17
	v_lshlrev_b16 v19, 4, v46
	v_or_b32_e32 v8, v9, v10
	v_lshlrev_b16 v14, 8, v14
	v_or_b32_e32 v15, v15, v54
	v_or_b32_e32 v16, v17, v21
	v_cndmask_b32_e64 v17, 0, 1, vcc_lo
	v_cmp_gt_f32_e32 vcc_lo, 0, v26
	v_lshlrev_b16 v26, 4, v28
	v_lshlrev_b16 v21, 4, v40
	v_or_b32_e32 v16, v16, v56
	v_lshlrev_b16 v17, 7, v17
	v_cndmask_b32_e64 v24, 0, 1, vcc_lo
	v_cmp_gt_f32_e32 vcc_lo, 0, v32
	v_or_b32_e32 v12, v13, v14
	v_lshlrev_b16 v16, 8, v16
	v_or_b32_e32 v17, v17, v19
	v_lshlrev_b16 v24, 7, v24
	v_cndmask_b32_e64 v25, 0, 1, vcc_lo
	v_cmp_gt_f32_e32 vcc_lo, 0, v68
	v_or_b32_e32 v15, v15, v16
	v_or_b32_e32 v17, v17, v58
	;; [unrolled: 1-line block ×3, first 2 shown]
	v_lshlrev_b16 v25, 7, v25
	v_cndmask_b32_e64 v27, 0, 1, vcc_lo
	v_cmp_gt_f32_e32 vcc_lo, 0, v20
	v_and_b32_e32 v15, 0xffff, v15
	v_and_b32_e32 v11, 0xffff, v11
	v_or_b32_e32 v22, v25, v22
	v_lshlrev_b16 v27, 7, v27
	v_cndmask_b32_e64 v20, 0, 1, vcc_lo
	v_cmp_gt_f32_e32 vcc_lo, 0, v38
	v_lshlrev_b32_e32 v12, 16, v12
	v_or_b32_e32 v22, v22, v62
	v_or_b32_e32 v18, v27, v18
	v_lshlrev_b16 v20, 7, v20
	v_cndmask_b32_e64 v26, 0, 1, vcc_lo
	v_and_b32_e32 v7, 0xffff, v7
	v_lshlrev_b32_e32 v13, 16, v8
	v_or_b32_e32 v1, v18, v1
	v_or_b32_e32 v20, v20, v23
	v_lshlrev_b16 v18, 7, v26
	v_or_b32_e32 v23, v24, v64
	s_waitcnt lgkmcnt(0)
	v_add_co_u32 v3, vcc_lo, s2, v3
	v_or_b32_e32 v20, v20, v66
	v_or_b32_e32 v18, v18, v21
	v_lshlrev_b16 v23, 8, v23
	v_lshlrev_b16 v1, 8, v1
	v_or_b32_e32 v8, v11, v12
	v_or_b32_e32 v7, v7, v13
	;; [unrolled: 1-line block ×5, first 2 shown]
	v_add_co_ci_u32_e32 v4, vcc_lo, s3, v4, vcc_lo
	s_delay_alu instid0(VALU_DEP_4) | instskip(NEXT) | instid1(VALU_DEP_4)
	v_lshlrev_b16 v16, 8, v16
	v_and_b32_e32 v18, 0xffff, v19
	s_delay_alu instid0(VALU_DEP_4) | instskip(SKIP_3) | instid1(VALU_DEP_2)
	v_lshlrev_b32_e32 v1, 16, v1
	s_mov_b32 s2, 0
	s_and_b32 vcc_lo, exec_lo, s6
	v_or_b32_e32 v16, v17, v16
	v_or_b32_e32 v10, v18, v1
	s_delay_alu instid0(VALU_DEP_2) | instskip(NEXT) | instid1(VALU_DEP_1)
	v_lshlrev_b32_e32 v9, 16, v16
	v_or_b32_e32 v9, v15, v9
	global_store_b128 v[3:4], v[7:10], off
	s_cbranch_vccz .LBB33_395
; %bb.394:
	v_ashrrev_i32_e32 v1, 31, v0
	s_delay_alu instid0(VALU_DEP_1) | instskip(NEXT) | instid1(VALU_DEP_1)
	v_lshrrev_b32_e32 v1, 27, v1
	v_add_nc_u32_e32 v1, v0, v1
	s_delay_alu instid0(VALU_DEP_1) | instskip(NEXT) | instid1(VALU_DEP_1)
	v_and_b32_e32 v3, 0xffe0, v1
	v_sub_nc_u32_e32 v3, v0, v3
	s_delay_alu instid0(VALU_DEP_1) | instskip(NEXT) | instid1(VALU_DEP_1)
	v_bfe_i32 v4, v3, 0, 8
	v_lshrrev_b16 v4, 11, v4
	s_delay_alu instid0(VALU_DEP_1) | instskip(NEXT) | instid1(VALU_DEP_1)
	v_and_b32_e32 v4, 15, v4
	v_add_nc_u16 v3, v3, v4
	s_delay_alu instid0(VALU_DEP_1) | instskip(NEXT) | instid1(VALU_DEP_1)
	v_bfe_i32 v3, v3, 0, 8
	v_ashrrev_i16 v4, 4, v3
	v_ashrrev_i32_e32 v3, 5, v1
	s_delay_alu instid0(VALU_DEP_2)
	v_bfe_i32 v1, v4, 0, 16
	s_and_not1_b32 vcc_lo, exec_lo, s2
	s_cbranch_vccz .LBB33_396
	s_branch .LBB33_397
.LBB33_395:
                                        ; implicit-def: $vgpr3
                                        ; implicit-def: $vgpr1
.LBB33_396:
	s_lshr_b32 s2, s8, 31
	v_sub_nc_u32_e32 v4, 0, v0
	s_add_i32 s2, s8, s2
	s_delay_alu instid0(SALU_CYCLE_1) | instskip(NEXT) | instid1(VALU_DEP_1)
	s_ashr_i32 s2, s2, 1
	v_max_i32_e32 v4, v0, v4
	s_abs_i32 s3, s2
	s_delay_alu instid0(SALU_CYCLE_1) | instskip(SKIP_1) | instid1(VALU_DEP_1)
	v_cvt_f32_u32_e32 v1, s3
	s_sub_i32 s4, 0, s3
	v_rcp_iflag_f32_e32 v1, v1
	s_waitcnt_depctr 0xfff
	v_mul_f32_e32 v1, 0x4f7ffffe, v1
	s_delay_alu instid0(VALU_DEP_1) | instskip(NEXT) | instid1(VALU_DEP_1)
	v_cvt_u32_f32_e32 v1, v1
	v_mul_lo_u32 v3, s4, v1
	s_delay_alu instid0(VALU_DEP_1) | instskip(NEXT) | instid1(VALU_DEP_1)
	v_mul_hi_u32 v3, v1, v3
	v_add_nc_u32_e32 v1, v1, v3
	s_delay_alu instid0(VALU_DEP_1) | instskip(NEXT) | instid1(VALU_DEP_1)
	v_mul_hi_u32 v1, v4, v1
	v_mul_lo_u32 v3, v1, s3
	s_delay_alu instid0(VALU_DEP_1) | instskip(NEXT) | instid1(VALU_DEP_1)
	v_sub_nc_u32_e32 v3, v4, v3
	v_subrev_nc_u32_e32 v7, s3, v3
	v_cmp_le_u32_e32 vcc_lo, s3, v3
	s_delay_alu instid0(VALU_DEP_2) | instskip(NEXT) | instid1(VALU_DEP_1)
	v_dual_cndmask_b32 v3, v3, v7 :: v_dual_add_nc_u32 v4, 1, v1
	v_cndmask_b32_e32 v1, v1, v4, vcc_lo
	v_xor_b32_e32 v4, s2, v0
	s_delay_alu instid0(VALU_DEP_3) | instskip(NEXT) | instid1(VALU_DEP_3)
	v_cmp_le_u32_e32 vcc_lo, s3, v3
	v_add_nc_u32_e32 v7, 1, v1
	s_delay_alu instid0(VALU_DEP_3) | instskip(NEXT) | instid1(VALU_DEP_2)
	v_ashrrev_i32_e32 v4, 31, v4
	v_cndmask_b32_e32 v1, v1, v7, vcc_lo
	s_delay_alu instid0(VALU_DEP_1) | instskip(NEXT) | instid1(VALU_DEP_1)
	v_xor_b32_e32 v1, v1, v4
	v_sub_nc_u32_e32 v1, v1, v4
	s_delay_alu instid0(VALU_DEP_1) | instskip(NEXT) | instid1(VALU_DEP_1)
	v_mul_lo_u32 v3, v1, s2
	v_sub_nc_u32_e32 v0, v0, v3
	s_delay_alu instid0(VALU_DEP_1) | instskip(NEXT) | instid1(VALU_DEP_1)
	v_ashrrev_i32_e32 v3, 31, v0
	v_lshrrev_b32_e32 v3, 28, v3
	s_delay_alu instid0(VALU_DEP_1) | instskip(NEXT) | instid1(VALU_DEP_1)
	v_add_nc_u32_e32 v3, v0, v3
	v_ashrrev_i32_e32 v3, 4, v3
.LBB33_397:
	v_ashrrev_i32_e32 v4, 31, v0
	v_lshlrev_b32_e32 v7, 6, v5
	v_lshrrev_b32_e32 v5, 1, v5
	v_and_b32_e32 v2, 0x7fffff00, v2
	s_lshl_b32 s2, s5, 5
	v_lshrrev_b32_e32 v4, 28, v4
	v_and_b32_e32 v7, 0xc0, v7
	v_and_b32_e32 v5, 2, v5
	s_and_b32 s2, s2, 0x7fffff00
	s_delay_alu instid0(SALU_CYCLE_1) | instskip(SKIP_1) | instid1(VALU_DEP_3)
	v_mul_lo_u32 v3, v3, s2
	v_add_nc_u32_e32 v4, v0, v4
	v_or3_b32 v2, v7, v2, v5
	s_delay_alu instid0(VALU_DEP_2) | instskip(NEXT) | instid1(VALU_DEP_2)
	v_and_b32_e32 v4, 0x3ffffff0, v4
	v_add_nc_u32_e32 v1, v2, v1
	v_lshrrev_b32_e32 v2, 23, v6
	s_delay_alu instid0(VALU_DEP_3) | instskip(NEXT) | instid1(VALU_DEP_1)
	v_sub_nc_u32_e32 v0, v0, v4
	v_lshlrev_b32_e32 v0, 2, v0
	s_delay_alu instid0(VALU_DEP_1) | instskip(NEXT) | instid1(VALU_DEP_1)
	v_add3_u32 v0, v1, v0, v3
	v_ashrrev_i32_e32 v1, 31, v0
	v_add_co_u32 v0, vcc_lo, s0, v0
	s_delay_alu instid0(VALU_DEP_2)
	v_add_co_ci_u32_e32 v1, vcc_lo, s1, v1, vcc_lo
	global_store_b8 v[0:1], v2, off
.LBB33_398:
	s_nop 0
	s_sendmsg sendmsg(MSG_DEALLOC_VGPRS)
	s_endpgm
	.section	.rodata,"a",@progbits
	.p2align	6, 0x0
	.amdhsa_kernel _ZN5aiter18quant_mxfp4_kernelI12hip_bfloat16LNS_16MxScaleRoundModeE2ELb0ELb1ELb1EEEvPKT_PhPfliiib
		.amdhsa_group_segment_fixed_size 0
		.amdhsa_private_segment_fixed_size 0
		.amdhsa_kernarg_size 304
		.amdhsa_user_sgpr_count 15
		.amdhsa_user_sgpr_dispatch_ptr 0
		.amdhsa_user_sgpr_queue_ptr 0
		.amdhsa_user_sgpr_kernarg_segment_ptr 1
		.amdhsa_user_sgpr_dispatch_id 0
		.amdhsa_user_sgpr_private_segment_size 0
		.amdhsa_wavefront_size32 1
		.amdhsa_uses_dynamic_stack 0
		.amdhsa_enable_private_segment 0
		.amdhsa_system_sgpr_workgroup_id_x 1
		.amdhsa_system_sgpr_workgroup_id_y 0
		.amdhsa_system_sgpr_workgroup_id_z 0
		.amdhsa_system_sgpr_workgroup_info 0
		.amdhsa_system_vgpr_workitem_id 0
		.amdhsa_next_free_vgpr 77
		.amdhsa_next_free_sgpr 16
		.amdhsa_reserve_vcc 1
		.amdhsa_float_round_mode_32 0
		.amdhsa_float_round_mode_16_64 0
		.amdhsa_float_denorm_mode_32 3
		.amdhsa_float_denorm_mode_16_64 3
		.amdhsa_dx10_clamp 1
		.amdhsa_ieee_mode 1
		.amdhsa_fp16_overflow 0
		.amdhsa_workgroup_processor_mode 1
		.amdhsa_memory_ordered 1
		.amdhsa_forward_progress 0
		.amdhsa_shared_vgpr_count 0
		.amdhsa_exception_fp_ieee_invalid_op 0
		.amdhsa_exception_fp_denorm_src 0
		.amdhsa_exception_fp_ieee_div_zero 0
		.amdhsa_exception_fp_ieee_overflow 0
		.amdhsa_exception_fp_ieee_underflow 0
		.amdhsa_exception_fp_ieee_inexact 0
		.amdhsa_exception_int_div_zero 0
	.end_amdhsa_kernel
	.section	.text._ZN5aiter18quant_mxfp4_kernelI12hip_bfloat16LNS_16MxScaleRoundModeE2ELb0ELb1ELb1EEEvPKT_PhPfliiib,"axG",@progbits,_ZN5aiter18quant_mxfp4_kernelI12hip_bfloat16LNS_16MxScaleRoundModeE2ELb0ELb1ELb1EEEvPKT_PhPfliiib,comdat
.Lfunc_end33:
	.size	_ZN5aiter18quant_mxfp4_kernelI12hip_bfloat16LNS_16MxScaleRoundModeE2ELb0ELb1ELb1EEEvPKT_PhPfliiib, .Lfunc_end33-_ZN5aiter18quant_mxfp4_kernelI12hip_bfloat16LNS_16MxScaleRoundModeE2ELb0ELb1ELb1EEEvPKT_PhPfliiib
                                        ; -- End function
	.section	.AMDGPU.csdata,"",@progbits
; Kernel info:
; codeLenInByte = 10832
; NumSgprs: 18
; NumVgprs: 77
; ScratchSize: 0
; MemoryBound: 0
; FloatMode: 240
; IeeeMode: 1
; LDSByteSize: 0 bytes/workgroup (compile time only)
; SGPRBlocks: 2
; VGPRBlocks: 9
; NumSGPRsForWavesPerEU: 18
; NumVGPRsForWavesPerEU: 77
; Occupancy: 16
; WaveLimiterHint : 0
; COMPUTE_PGM_RSRC2:SCRATCH_EN: 0
; COMPUTE_PGM_RSRC2:USER_SGPR: 15
; COMPUTE_PGM_RSRC2:TRAP_HANDLER: 0
; COMPUTE_PGM_RSRC2:TGID_X_EN: 1
; COMPUTE_PGM_RSRC2:TGID_Y_EN: 0
; COMPUTE_PGM_RSRC2:TGID_Z_EN: 0
; COMPUTE_PGM_RSRC2:TIDIG_COMP_CNT: 0
	.section	.text._ZN5aiter18quant_mxfp4_kernelI12hip_bfloat16LNS_16MxScaleRoundModeE2ELb0ELb1ELb0EEEvPKT_PhPfliiib,"axG",@progbits,_ZN5aiter18quant_mxfp4_kernelI12hip_bfloat16LNS_16MxScaleRoundModeE2ELb0ELb1ELb0EEEvPKT_PhPfliiib,comdat
	.protected	_ZN5aiter18quant_mxfp4_kernelI12hip_bfloat16LNS_16MxScaleRoundModeE2ELb0ELb1ELb0EEEvPKT_PhPfliiib ; -- Begin function _ZN5aiter18quant_mxfp4_kernelI12hip_bfloat16LNS_16MxScaleRoundModeE2ELb0ELb1ELb0EEEvPKT_PhPfliiib
	.globl	_ZN5aiter18quant_mxfp4_kernelI12hip_bfloat16LNS_16MxScaleRoundModeE2ELb0ELb1ELb0EEEvPKT_PhPfliiib
	.p2align	8
	.type	_ZN5aiter18quant_mxfp4_kernelI12hip_bfloat16LNS_16MxScaleRoundModeE2ELb0ELb1ELb0EEEvPKT_PhPfliiib,@function
_ZN5aiter18quant_mxfp4_kernelI12hip_bfloat16LNS_16MxScaleRoundModeE2ELb0ELb1ELb0EEEvPKT_PhPfliiib: ; @_ZN5aiter18quant_mxfp4_kernelI12hip_bfloat16LNS_16MxScaleRoundModeE2ELb0ELb1ELb0EEEvPKT_PhPfliiib
; %bb.0:
	s_clause 0x1
	s_load_b32 s2, s[0:1], 0x3c
	s_load_b128 s[4:7], s[0:1], 0x20
	v_mov_b32_e32 v1, 0
	s_delay_alu instid0(VALU_DEP_1)
	v_mov_b32_e32 v4, v1
	s_waitcnt lgkmcnt(0)
	s_and_b32 s2, s2, 0xffff
	s_mov_b32 s3, s6
	v_mad_u64_u32 v[2:3], null, s2, s15, v[0:1]
	s_ashr_i32 s2, s6, 31
	s_mov_b32 s6, exec_lo
                                        ; implicit-def: $vgpr0_vgpr1
	s_delay_alu instid0(VALU_DEP_1) | instskip(NEXT) | instid1(VALU_DEP_1)
	v_or_b32_e32 v5, s2, v3
	v_cmpx_ne_u64_e32 0, v[4:5]
	s_xor_b32 s6, exec_lo, s6
	s_cbranch_execz .LBB34_2
; %bb.1:
	s_add_u32 s10, s3, s2
	s_mov_b32 s8, s2
	s_mov_b32 s9, s2
	s_addc_u32 s11, s2, s2
	s_delay_alu instid0(SALU_CYCLE_1) | instskip(NEXT) | instid1(SALU_CYCLE_1)
	s_xor_b64 s[10:11], s[10:11], s[8:9]
	v_cvt_f32_u32_e32 v0, s10
	v_cvt_f32_u32_e32 v1, s11
	s_sub_u32 s2, 0, s10
	s_subb_u32 s12, 0, s11
	s_delay_alu instid0(VALU_DEP_1) | instskip(NEXT) | instid1(VALU_DEP_1)
	v_fmamk_f32 v0, v1, 0x4f800000, v0
	v_rcp_f32_e32 v0, v0
	s_waitcnt_depctr 0xfff
	v_mul_f32_e32 v0, 0x5f7ffffc, v0
	s_delay_alu instid0(VALU_DEP_1) | instskip(NEXT) | instid1(VALU_DEP_1)
	v_mul_f32_e32 v1, 0x2f800000, v0
	v_trunc_f32_e32 v1, v1
	s_delay_alu instid0(VALU_DEP_1) | instskip(SKIP_1) | instid1(VALU_DEP_2)
	v_fmamk_f32 v0, v1, 0xcf800000, v0
	v_cvt_u32_f32_e32 v1, v1
	v_cvt_u32_f32_e32 v0, v0
	s_delay_alu instid0(VALU_DEP_2) | instskip(NEXT) | instid1(VALU_DEP_2)
	v_mul_lo_u32 v4, s2, v1
	v_mul_hi_u32 v5, s2, v0
	v_mul_lo_u32 v6, s12, v0
	s_delay_alu instid0(VALU_DEP_2) | instskip(SKIP_1) | instid1(VALU_DEP_2)
	v_add_nc_u32_e32 v4, v5, v4
	v_mul_lo_u32 v5, s2, v0
	v_add_nc_u32_e32 v4, v4, v6
	s_delay_alu instid0(VALU_DEP_2) | instskip(NEXT) | instid1(VALU_DEP_2)
	v_mul_hi_u32 v6, v0, v5
	v_mul_lo_u32 v7, v0, v4
	v_mul_hi_u32 v8, v0, v4
	v_mul_hi_u32 v9, v1, v5
	v_mul_lo_u32 v5, v1, v5
	v_mul_hi_u32 v10, v1, v4
	v_mul_lo_u32 v4, v1, v4
	v_add_co_u32 v6, vcc_lo, v6, v7
	v_add_co_ci_u32_e32 v7, vcc_lo, 0, v8, vcc_lo
	s_delay_alu instid0(VALU_DEP_2) | instskip(NEXT) | instid1(VALU_DEP_2)
	v_add_co_u32 v5, vcc_lo, v6, v5
	v_add_co_ci_u32_e32 v5, vcc_lo, v7, v9, vcc_lo
	v_add_co_ci_u32_e32 v6, vcc_lo, 0, v10, vcc_lo
	v_ashrrev_i32_e32 v9, 31, v3
	s_delay_alu instid0(VALU_DEP_3) | instskip(NEXT) | instid1(VALU_DEP_3)
	v_add_co_u32 v4, vcc_lo, v5, v4
	v_add_co_ci_u32_e32 v5, vcc_lo, 0, v6, vcc_lo
	s_delay_alu instid0(VALU_DEP_2) | instskip(NEXT) | instid1(VALU_DEP_2)
	v_add_co_u32 v0, vcc_lo, v0, v4
	v_add_co_ci_u32_e32 v1, vcc_lo, v1, v5, vcc_lo
	s_delay_alu instid0(VALU_DEP_2) | instskip(SKIP_1) | instid1(VALU_DEP_3)
	v_mul_hi_u32 v4, s2, v0
	v_mul_lo_u32 v6, s12, v0
	v_mul_lo_u32 v5, s2, v1
	s_delay_alu instid0(VALU_DEP_1) | instskip(SKIP_1) | instid1(VALU_DEP_2)
	v_add_nc_u32_e32 v4, v4, v5
	v_mul_lo_u32 v5, s2, v0
	v_add_nc_u32_e32 v4, v4, v6
	s_delay_alu instid0(VALU_DEP_2) | instskip(NEXT) | instid1(VALU_DEP_2)
	v_mul_hi_u32 v6, v0, v5
	v_mul_lo_u32 v7, v0, v4
	v_mul_hi_u32 v8, v0, v4
	v_mul_hi_u32 v10, v1, v5
	v_mul_lo_u32 v5, v1, v5
	v_mul_hi_u32 v11, v1, v4
	v_mul_lo_u32 v4, v1, v4
	v_add_co_u32 v6, vcc_lo, v6, v7
	v_add_co_ci_u32_e32 v7, vcc_lo, 0, v8, vcc_lo
	s_delay_alu instid0(VALU_DEP_2) | instskip(NEXT) | instid1(VALU_DEP_2)
	v_add_co_u32 v5, vcc_lo, v6, v5
	v_add_co_ci_u32_e32 v5, vcc_lo, v7, v10, vcc_lo
	v_add_co_ci_u32_e32 v6, vcc_lo, 0, v11, vcc_lo
	v_add_co_u32 v7, vcc_lo, v2, v9
	v_add_co_ci_u32_e32 v3, vcc_lo, v3, v9, vcc_lo
	s_delay_alu instid0(VALU_DEP_4) | instskip(NEXT) | instid1(VALU_DEP_4)
	v_add_co_u32 v4, vcc_lo, v5, v4
	v_add_co_ci_u32_e32 v5, vcc_lo, 0, v6, vcc_lo
	s_delay_alu instid0(VALU_DEP_4) | instskip(NEXT) | instid1(VALU_DEP_3)
	v_xor_b32_e32 v7, v7, v9
	v_add_co_u32 v6, vcc_lo, v0, v4
	s_delay_alu instid0(VALU_DEP_3) | instskip(SKIP_1) | instid1(VALU_DEP_3)
	v_add_co_ci_u32_e32 v8, vcc_lo, v1, v5, vcc_lo
	v_xor_b32_e32 v10, v3, v9
	v_mul_hi_u32 v11, v7, v6
	s_delay_alu instid0(VALU_DEP_3) | instskip(NEXT) | instid1(VALU_DEP_3)
	v_mad_u64_u32 v[0:1], null, v7, v8, 0
	v_mad_u64_u32 v[3:4], null, v10, v6, 0
	;; [unrolled: 1-line block ×3, first 2 shown]
	s_delay_alu instid0(VALU_DEP_3) | instskip(NEXT) | instid1(VALU_DEP_4)
	v_add_co_u32 v0, vcc_lo, v11, v0
	v_add_co_ci_u32_e32 v1, vcc_lo, 0, v1, vcc_lo
	s_delay_alu instid0(VALU_DEP_2) | instskip(NEXT) | instid1(VALU_DEP_2)
	v_add_co_u32 v0, vcc_lo, v0, v3
	v_add_co_ci_u32_e32 v0, vcc_lo, v1, v4, vcc_lo
	v_add_co_ci_u32_e32 v1, vcc_lo, 0, v6, vcc_lo
	s_delay_alu instid0(VALU_DEP_2) | instskip(NEXT) | instid1(VALU_DEP_2)
	v_add_co_u32 v3, vcc_lo, v0, v5
	v_add_co_ci_u32_e32 v4, vcc_lo, 0, v1, vcc_lo
	s_delay_alu instid0(VALU_DEP_2) | instskip(SKIP_1) | instid1(VALU_DEP_3)
	v_mul_lo_u32 v5, s11, v3
	v_mad_u64_u32 v[0:1], null, s10, v3, 0
	v_mul_lo_u32 v6, s10, v4
	s_delay_alu instid0(VALU_DEP_2) | instskip(NEXT) | instid1(VALU_DEP_2)
	v_sub_co_u32 v0, vcc_lo, v7, v0
	v_add3_u32 v1, v1, v6, v5
	s_delay_alu instid0(VALU_DEP_1) | instskip(NEXT) | instid1(VALU_DEP_1)
	v_sub_nc_u32_e32 v5, v10, v1
	v_subrev_co_ci_u32_e64 v5, s2, s11, v5, vcc_lo
	v_add_co_u32 v6, s2, v3, 2
	s_delay_alu instid0(VALU_DEP_1) | instskip(SKIP_3) | instid1(VALU_DEP_3)
	v_add_co_ci_u32_e64 v7, s2, 0, v4, s2
	v_sub_co_u32 v8, s2, v0, s10
	v_sub_co_ci_u32_e32 v1, vcc_lo, v10, v1, vcc_lo
	v_subrev_co_ci_u32_e64 v5, s2, 0, v5, s2
	v_cmp_le_u32_e32 vcc_lo, s10, v8
	s_delay_alu instid0(VALU_DEP_3) | instskip(SKIP_1) | instid1(VALU_DEP_4)
	v_cmp_eq_u32_e64 s2, s11, v1
	v_cndmask_b32_e64 v8, 0, -1, vcc_lo
	v_cmp_le_u32_e32 vcc_lo, s11, v5
	v_cndmask_b32_e64 v10, 0, -1, vcc_lo
	v_cmp_le_u32_e32 vcc_lo, s10, v0
	;; [unrolled: 2-line block ×3, first 2 shown]
	v_cndmask_b32_e64 v11, 0, -1, vcc_lo
	v_cmp_eq_u32_e32 vcc_lo, s11, v5
	s_delay_alu instid0(VALU_DEP_2) | instskip(SKIP_3) | instid1(VALU_DEP_3)
	v_cndmask_b32_e64 v0, v11, v0, s2
	v_cndmask_b32_e32 v5, v10, v8, vcc_lo
	v_add_co_u32 v8, vcc_lo, v3, 1
	v_add_co_ci_u32_e32 v10, vcc_lo, 0, v4, vcc_lo
	v_cmp_ne_u32_e32 vcc_lo, 0, v5
	s_delay_alu instid0(VALU_DEP_2) | instskip(NEXT) | instid1(VALU_DEP_4)
	v_cndmask_b32_e32 v1, v10, v7, vcc_lo
	v_cndmask_b32_e32 v5, v8, v6, vcc_lo
	v_cmp_ne_u32_e32 vcc_lo, 0, v0
	v_xor_b32_e32 v0, s8, v9
	s_delay_alu instid0(VALU_DEP_3) | instskip(SKIP_2) | instid1(VALU_DEP_3)
	v_cndmask_b32_e32 v3, v3, v5, vcc_lo
	v_cndmask_b32_e32 v1, v4, v1, vcc_lo
	v_xor_b32_e32 v4, s9, v9
	v_xor_b32_e32 v3, v3, v0
	s_delay_alu instid0(VALU_DEP_2) | instskip(NEXT) | instid1(VALU_DEP_2)
	v_xor_b32_e32 v1, v1, v4
	v_sub_co_u32 v0, vcc_lo, v3, v0
	s_delay_alu instid0(VALU_DEP_2)
	v_sub_co_ci_u32_e32 v1, vcc_lo, v1, v4, vcc_lo
.LBB34_2:
	s_and_not1_saveexec_b32 s2, s6
	s_cbranch_execz .LBB34_4
; %bb.3:
	v_cvt_f32_u32_e32 v0, s3
	s_sub_i32 s6, 0, s3
	s_delay_alu instid0(VALU_DEP_1) | instskip(SKIP_2) | instid1(VALU_DEP_1)
	v_rcp_iflag_f32_e32 v0, v0
	s_waitcnt_depctr 0xfff
	v_mul_f32_e32 v0, 0x4f7ffffe, v0
	v_cvt_u32_f32_e32 v0, v0
	s_delay_alu instid0(VALU_DEP_1) | instskip(NEXT) | instid1(VALU_DEP_1)
	v_mul_lo_u32 v1, s6, v0
	v_mul_hi_u32 v1, v0, v1
	s_delay_alu instid0(VALU_DEP_1) | instskip(NEXT) | instid1(VALU_DEP_1)
	v_add_nc_u32_e32 v0, v0, v1
	v_mul_hi_u32 v0, v2, v0
	s_delay_alu instid0(VALU_DEP_1) | instskip(SKIP_1) | instid1(VALU_DEP_2)
	v_mul_lo_u32 v1, v0, s3
	v_add_nc_u32_e32 v3, 1, v0
	v_sub_nc_u32_e32 v1, v2, v1
	s_delay_alu instid0(VALU_DEP_1) | instskip(SKIP_1) | instid1(VALU_DEP_2)
	v_subrev_nc_u32_e32 v4, s3, v1
	v_cmp_le_u32_e32 vcc_lo, s3, v1
	v_dual_cndmask_b32 v1, v1, v4 :: v_dual_cndmask_b32 v0, v0, v3
	s_delay_alu instid0(VALU_DEP_1) | instskip(NEXT) | instid1(VALU_DEP_2)
	v_cmp_le_u32_e32 vcc_lo, s3, v1
	v_add_nc_u32_e32 v3, 1, v0
	s_delay_alu instid0(VALU_DEP_1)
	v_dual_mov_b32 v1, 0 :: v_dual_cndmask_b32 v0, v0, v3
.LBB34_4:
	s_or_b32 exec_lo, exec_lo, s2
	s_load_b64 s[8:9], s[0:1], 0x18
	s_delay_alu instid0(VALU_DEP_1) | instskip(NEXT) | instid1(VALU_DEP_1)
	v_mad_u64_u32 v[3:4], null, v0, s3, 0
	v_sub_co_u32 v4, null, v2, v3
	s_delay_alu instid0(VALU_DEP_1) | instskip(SKIP_2) | instid1(VALU_DEP_2)
	v_cmp_gt_i32_e64 s2, s5, v4
	s_waitcnt lgkmcnt(0)
	v_cmp_gt_i64_e32 vcc_lo, s[8:9], v[0:1]
	s_and_b32 s2, vcc_lo, s2
	s_delay_alu instid0(SALU_CYCLE_1)
	s_and_saveexec_b32 s3, s2
	s_cbranch_execz .LBB34_394
; %bb.5:
	s_ashr_i32 s6, s4, 31
	s_load_b64 s[2:3], s[0:1], 0x0
	v_mul_lo_u32 v2, v1, s4
	v_mad_u64_u32 v[5:6], null, v0, s4, 0
	v_mul_lo_u32 v3, v0, s6
	s_delay_alu instid0(VALU_DEP_1) | instskip(SKIP_1) | instid1(VALU_DEP_2)
	v_add3_u32 v6, v6, v3, v2
	v_dual_mov_b32 v3, 0 :: v_dual_lshlrev_b32 v2, 5, v4
	v_lshlrev_b64 v[5:6], 1, v[5:6]
	s_delay_alu instid0(VALU_DEP_2) | instskip(SKIP_1) | instid1(VALU_DEP_2)
	v_lshlrev_b64 v[7:8], 1, v[2:3]
	s_waitcnt lgkmcnt(0)
	v_add_co_u32 v3, vcc_lo, s2, v5
	s_delay_alu instid0(VALU_DEP_3) | instskip(SKIP_1) | instid1(VALU_DEP_2)
	v_add_co_ci_u32_e32 v6, vcc_lo, s3, v6, vcc_lo
	s_mov_b32 s2, 0xc2fe0000
	v_add_co_u32 v5, vcc_lo, v3, v7
	s_delay_alu instid0(VALU_DEP_2)
	v_add_co_ci_u32_e32 v6, vcc_lo, v6, v8, vcc_lo
	s_clause 0x3
	global_load_b128 v[10:13], v[5:6], off
	global_load_b128 v[35:38], v[5:6], off offset:16
	global_load_b128 v[53:56], v[5:6], off offset:32
	global_load_b128 v[57:60], v[5:6], off offset:48
	s_waitcnt vmcnt(3)
	v_lshlrev_b32_e32 v5, 16, v10
	v_and_b32_e32 v8, 0xffff0000, v10
	v_lshlrev_b32_e32 v10, 16, v11
	v_and_b32_e32 v15, 0xffff0000, v11
	;; [unrolled: 2-line block ×3, first 2 shown]
	v_max3_f32 v3, |v5|, 0, |v8|
	v_lshlrev_b32_e32 v23, 16, v13
	v_and_b32_e32 v27, 0xffff0000, v13
	s_waitcnt vmcnt(2)
	v_lshlrev_b32_e32 v29, 16, v35
	v_and_b32_e32 v33, 0xffff0000, v35
	v_max3_f32 v3, v3, |v10|, |v15|
	v_lshlrev_b32_e32 v35, 16, v36
	v_and_b32_e32 v39, 0xffff0000, v36
	v_lshlrev_b32_e32 v41, 16, v37
	v_and_b32_e32 v42, 0xffff0000, v37
	v_max3_f32 v3, v3, |v17|, |v21|
	v_lshlrev_b32_e32 v46, 16, v38
	v_and_b32_e32 v48, 0xffff0000, v38
	s_waitcnt vmcnt(1)
	v_lshlrev_b32_e32 v52, 16, v53
	v_and_b32_e32 v53, 0xffff0000, v53
	v_max3_f32 v3, v3, |v23|, |v27|
	v_lshlrev_b32_e32 v49, 16, v54
	v_and_b32_e32 v47, 0xffff0000, v54
	v_lshlrev_b32_e32 v43, 16, v55
	v_and_b32_e32 v40, 0xffff0000, v55
	v_max3_f32 v3, v3, |v29|, |v33|
	;; [unrolled: 11-line block ×3, first 2 shown]
	v_lshlrev_b32_e32 v14, 16, v60
	v_and_b32_e32 v9, 0xffff0000, v60
	s_delay_alu instid0(VALU_DEP_3) | instskip(NEXT) | instid1(VALU_DEP_1)
	v_max3_f32 v3, v3, |v46|, |v48|
	v_max3_f32 v3, v3, |v52|, |v53|
	s_delay_alu instid0(VALU_DEP_1) | instskip(NEXT) | instid1(VALU_DEP_1)
	v_max3_f32 v3, v3, |v49|, |v47|
	v_max3_f32 v3, v3, |v43|, |v40|
	s_delay_alu instid0(VALU_DEP_1) | instskip(NEXT) | instid1(VALU_DEP_1)
	;; [unrolled: 3-line block ×4, first 2 shown]
	v_max3_f32 v3, v3, |v14|, |v9|
	v_add_nc_u32_e32 v3, 0x200000, v3
	s_delay_alu instid0(VALU_DEP_1) | instskip(NEXT) | instid1(VALU_DEP_1)
	v_and_b32_e32 v3, 0x7f800000, v3
	v_cmp_gt_f32_e32 vcc_lo, 0x800000, v3
	v_cndmask_b32_e64 v6, 1.0, 0x4f800000, vcc_lo
	s_delay_alu instid0(VALU_DEP_1) | instskip(SKIP_1) | instid1(VALU_DEP_2)
	v_mul_f32_e32 v3, v3, v6
	v_cndmask_b32_e64 v6, 0, 0x42000000, vcc_lo
	v_log_f32_e32 v3, v3
	s_waitcnt_depctr 0xfff
	v_sub_f32_e32 v3, v3, v6
	s_delay_alu instid0(VALU_DEP_1) | instskip(NEXT) | instid1(VALU_DEP_1)
	v_floor_f32_e32 v3, v3
	v_add_f32_e32 v3, -2.0, v3
	s_delay_alu instid0(VALU_DEP_1) | instskip(SKIP_1) | instid1(VALU_DEP_1)
	v_maxmin_f32 v3, v3, s2, 0x42fe0000
	s_mov_b32 s2, exec_lo
	v_cmp_gt_f32_e32 vcc_lo, 0xc2fc0000, v3
	v_cndmask_b32_e64 v6, 0, 0x42800000, vcc_lo
	s_delay_alu instid0(VALU_DEP_1) | instskip(SKIP_1) | instid1(VALU_DEP_2)
	v_add_f32_e32 v3, v3, v6
	v_cndmask_b32_e64 v6, 1.0, 0x1f800000, vcc_lo
	v_exp_f32_e32 v3, v3
	s_waitcnt_depctr 0xfff
	v_mul_f32_e32 v3, v3, v6
	s_delay_alu instid0(VALU_DEP_1) | instskip(SKIP_1) | instid1(VALU_DEP_2)
	v_div_scale_f32 v6, null, v3, v3, 1.0
	v_div_scale_f32 v12, vcc_lo, 1.0, v3, 1.0
	v_rcp_f32_e32 v7, v6
	s_waitcnt_depctr 0xfff
	v_fma_f32 v11, -v6, v7, 1.0
	s_delay_alu instid0(VALU_DEP_1) | instskip(NEXT) | instid1(VALU_DEP_1)
	v_fmac_f32_e32 v7, v11, v7
	v_mul_f32_e32 v11, v12, v7
	s_delay_alu instid0(VALU_DEP_1) | instskip(NEXT) | instid1(VALU_DEP_1)
	v_fma_f32 v13, -v6, v11, v12
	v_fmac_f32_e32 v11, v13, v7
	s_delay_alu instid0(VALU_DEP_1) | instskip(NEXT) | instid1(VALU_DEP_1)
	v_fma_f32 v6, -v6, v11, v12
	v_div_fmas_f32 v6, v6, v7, v11
	v_cmp_neq_f32_e32 vcc_lo, 0, v3
	v_mov_b32_e32 v7, 7
	s_delay_alu instid0(VALU_DEP_3) | instskip(NEXT) | instid1(VALU_DEP_1)
	v_div_fixup_f32 v6, v6, v3, 1.0
	v_cndmask_b32_e32 v11, 0, v6, vcc_lo
	s_delay_alu instid0(VALU_DEP_1) | instskip(NEXT) | instid1(VALU_DEP_1)
	v_dual_mul_f32 v6, v11, v5 :: v_dual_mov_b32 v5, 7
	v_cmpx_nle_f32_e64 0x40a00000, |v6|
	s_cbranch_execz .LBB34_17
; %bb.6:
	v_mov_b32_e32 v5, 6
	s_mov_b32 s3, exec_lo
	v_cmpx_nle_f32_e64 0x40600000, |v6|
	s_cbranch_execz .LBB34_16
; %bb.7:
	v_mov_b32_e32 v5, 5
	s_mov_b32 s6, exec_lo
	v_cmpx_nle_f32_e64 0x40200000, |v6|
	s_cbranch_execz .LBB34_15
; %bb.8:
	v_mov_b32_e32 v5, 4
	s_mov_b32 s9, exec_lo
	v_cmpx_nle_f32_e64 0x3fe00000, |v6|
	s_cbranch_execz .LBB34_14
; %bb.9:
	v_mov_b32_e32 v5, 3
	s_mov_b32 s10, exec_lo
	v_cmpx_nle_f32_e64 0x3fa00000, |v6|
	s_cbranch_execz .LBB34_13
; %bb.10:
	v_mov_b32_e32 v5, 2
	s_mov_b32 s11, exec_lo
	v_cmpx_nle_f32_e64 0x3f400000, |v6|
; %bb.11:
	v_cmp_le_f32_e64 s12, 0x3e800000, |v6|
	s_delay_alu instid0(VALU_DEP_1)
	v_cndmask_b32_e64 v5, 0, 1, s12
; %bb.12:
	s_or_b32 exec_lo, exec_lo, s11
.LBB34_13:
	s_delay_alu instid0(SALU_CYCLE_1)
	s_or_b32 exec_lo, exec_lo, s10
.LBB34_14:
	s_delay_alu instid0(SALU_CYCLE_1)
	s_or_b32 exec_lo, exec_lo, s9
.LBB34_15:
	s_delay_alu instid0(SALU_CYCLE_1)
	s_or_b32 exec_lo, exec_lo, s6
.LBB34_16:
	s_delay_alu instid0(SALU_CYCLE_1)
	s_or_b32 exec_lo, exec_lo, s3
.LBB34_17:
	s_delay_alu instid0(SALU_CYCLE_1) | instskip(SKIP_2) | instid1(VALU_DEP_1)
	s_or_b32 exec_lo, exec_lo, s2
	v_mul_f32_e32 v8, v11, v8
	s_mov_b32 s2, exec_lo
	v_cmpx_nle_f32_e64 0x40a00000, |v8|
	s_cbranch_execz .LBB34_29
; %bb.18:
	v_mov_b32_e32 v7, 6
	s_mov_b32 s3, exec_lo
	v_cmpx_nle_f32_e64 0x40600000, |v8|
	s_cbranch_execz .LBB34_28
; %bb.19:
	v_mov_b32_e32 v7, 5
	;; [unrolled: 5-line block ×5, first 2 shown]
	s_mov_b32 s11, exec_lo
	v_cmpx_nle_f32_e64 0x3f400000, |v8|
; %bb.23:
	v_cmp_le_f32_e64 s12, 0x3e800000, |v8|
	s_delay_alu instid0(VALU_DEP_1)
	v_cndmask_b32_e64 v7, 0, 1, s12
; %bb.24:
	s_or_b32 exec_lo, exec_lo, s11
.LBB34_25:
	s_delay_alu instid0(SALU_CYCLE_1)
	s_or_b32 exec_lo, exec_lo, s10
.LBB34_26:
	s_delay_alu instid0(SALU_CYCLE_1)
	s_or_b32 exec_lo, exec_lo, s9
.LBB34_27:
	s_delay_alu instid0(SALU_CYCLE_1)
	s_or_b32 exec_lo, exec_lo, s6
.LBB34_28:
	s_delay_alu instid0(SALU_CYCLE_1)
	s_or_b32 exec_lo, exec_lo, s3
.LBB34_29:
	s_delay_alu instid0(SALU_CYCLE_1) | instskip(SKIP_3) | instid1(VALU_DEP_2)
	s_or_b32 exec_lo, exec_lo, s2
	v_dual_mul_f32 v12, v11, v10 :: v_dual_mov_b32 v13, 7
	v_mov_b32_e32 v10, 7
	s_mov_b32 s2, exec_lo
	v_cmpx_nle_f32_e64 0x40a00000, |v12|
	s_cbranch_execz .LBB34_41
; %bb.30:
	v_mov_b32_e32 v13, 6
	s_mov_b32 s3, exec_lo
	v_cmpx_nle_f32_e64 0x40600000, |v12|
	s_cbranch_execz .LBB34_40
; %bb.31:
	;; [unrolled: 5-line block ×5, first 2 shown]
	v_mov_b32_e32 v13, 2
	s_mov_b32 s11, exec_lo
	v_cmpx_nle_f32_e64 0x3f400000, |v12|
; %bb.35:
	v_cmp_le_f32_e64 s12, 0x3e800000, |v12|
	s_delay_alu instid0(VALU_DEP_1)
	v_cndmask_b32_e64 v13, 0, 1, s12
; %bb.36:
	s_or_b32 exec_lo, exec_lo, s11
.LBB34_37:
	s_delay_alu instid0(SALU_CYCLE_1)
	s_or_b32 exec_lo, exec_lo, s10
.LBB34_38:
	s_delay_alu instid0(SALU_CYCLE_1)
	s_or_b32 exec_lo, exec_lo, s9
.LBB34_39:
	s_delay_alu instid0(SALU_CYCLE_1)
	s_or_b32 exec_lo, exec_lo, s6
.LBB34_40:
	s_delay_alu instid0(SALU_CYCLE_1)
	s_or_b32 exec_lo, exec_lo, s3
.LBB34_41:
	s_delay_alu instid0(SALU_CYCLE_1) | instskip(SKIP_2) | instid1(VALU_DEP_1)
	s_or_b32 exec_lo, exec_lo, s2
	v_mul_f32_e32 v15, v11, v15
	s_mov_b32 s2, exec_lo
	v_cmpx_nle_f32_e64 0x40a00000, |v15|
	s_cbranch_execz .LBB34_53
; %bb.42:
	v_mov_b32_e32 v10, 6
	s_mov_b32 s3, exec_lo
	v_cmpx_nle_f32_e64 0x40600000, |v15|
	s_cbranch_execz .LBB34_52
; %bb.43:
	v_mov_b32_e32 v10, 5
	;; [unrolled: 5-line block ×5, first 2 shown]
	s_mov_b32 s11, exec_lo
	v_cmpx_nle_f32_e64 0x3f400000, |v15|
; %bb.47:
	v_cmp_le_f32_e64 s12, 0x3e800000, |v15|
	s_delay_alu instid0(VALU_DEP_1)
	v_cndmask_b32_e64 v10, 0, 1, s12
; %bb.48:
	s_or_b32 exec_lo, exec_lo, s11
.LBB34_49:
	s_delay_alu instid0(SALU_CYCLE_1)
	s_or_b32 exec_lo, exec_lo, s10
.LBB34_50:
	s_delay_alu instid0(SALU_CYCLE_1)
	s_or_b32 exec_lo, exec_lo, s9
.LBB34_51:
	s_delay_alu instid0(SALU_CYCLE_1)
	s_or_b32 exec_lo, exec_lo, s6
.LBB34_52:
	s_delay_alu instid0(SALU_CYCLE_1)
	s_or_b32 exec_lo, exec_lo, s3
.LBB34_53:
	s_delay_alu instid0(SALU_CYCLE_1) | instskip(SKIP_3) | instid1(VALU_DEP_2)
	s_or_b32 exec_lo, exec_lo, s2
	v_dual_mul_f32 v19, v11, v17 :: v_dual_mov_b32 v18, 7
	v_mov_b32_e32 v17, 7
	s_mov_b32 s2, exec_lo
	v_cmpx_nle_f32_e64 0x40a00000, |v19|
	s_cbranch_execz .LBB34_65
; %bb.54:
	v_mov_b32_e32 v17, 6
	s_mov_b32 s3, exec_lo
	v_cmpx_nle_f32_e64 0x40600000, |v19|
	s_cbranch_execz .LBB34_64
; %bb.55:
	;; [unrolled: 5-line block ×5, first 2 shown]
	v_mov_b32_e32 v17, 2
	s_mov_b32 s11, exec_lo
	v_cmpx_nle_f32_e64 0x3f400000, |v19|
; %bb.59:
	v_cmp_le_f32_e64 s12, 0x3e800000, |v19|
	s_delay_alu instid0(VALU_DEP_1)
	v_cndmask_b32_e64 v17, 0, 1, s12
; %bb.60:
	s_or_b32 exec_lo, exec_lo, s11
.LBB34_61:
	s_delay_alu instid0(SALU_CYCLE_1)
	s_or_b32 exec_lo, exec_lo, s10
.LBB34_62:
	s_delay_alu instid0(SALU_CYCLE_1)
	s_or_b32 exec_lo, exec_lo, s9
.LBB34_63:
	s_delay_alu instid0(SALU_CYCLE_1)
	s_or_b32 exec_lo, exec_lo, s6
.LBB34_64:
	s_delay_alu instid0(SALU_CYCLE_1)
	s_or_b32 exec_lo, exec_lo, s3
.LBB34_65:
	s_delay_alu instid0(SALU_CYCLE_1) | instskip(SKIP_2) | instid1(VALU_DEP_1)
	s_or_b32 exec_lo, exec_lo, s2
	v_mul_f32_e32 v21, v11, v21
	s_mov_b32 s2, exec_lo
	v_cmpx_nle_f32_e64 0x40a00000, |v21|
	s_cbranch_execz .LBB34_77
; %bb.66:
	v_mov_b32_e32 v18, 6
	s_mov_b32 s3, exec_lo
	v_cmpx_nle_f32_e64 0x40600000, |v21|
	s_cbranch_execz .LBB34_76
; %bb.67:
	v_mov_b32_e32 v18, 5
	;; [unrolled: 5-line block ×5, first 2 shown]
	s_mov_b32 s11, exec_lo
	v_cmpx_nle_f32_e64 0x3f400000, |v21|
; %bb.71:
	v_cmp_le_f32_e64 s12, 0x3e800000, |v21|
	s_delay_alu instid0(VALU_DEP_1)
	v_cndmask_b32_e64 v18, 0, 1, s12
; %bb.72:
	s_or_b32 exec_lo, exec_lo, s11
.LBB34_73:
	s_delay_alu instid0(SALU_CYCLE_1)
	s_or_b32 exec_lo, exec_lo, s10
.LBB34_74:
	s_delay_alu instid0(SALU_CYCLE_1)
	s_or_b32 exec_lo, exec_lo, s9
.LBB34_75:
	s_delay_alu instid0(SALU_CYCLE_1)
	s_or_b32 exec_lo, exec_lo, s6
.LBB34_76:
	s_delay_alu instid0(SALU_CYCLE_1)
	s_or_b32 exec_lo, exec_lo, s3
.LBB34_77:
	s_delay_alu instid0(SALU_CYCLE_1) | instskip(SKIP_3) | instid1(VALU_DEP_2)
	s_or_b32 exec_lo, exec_lo, s2
	v_dual_mul_f32 v25, v11, v23 :: v_dual_mov_b32 v24, 7
	v_mov_b32_e32 v23, 7
	s_mov_b32 s2, exec_lo
	v_cmpx_nle_f32_e64 0x40a00000, |v25|
	s_cbranch_execz .LBB34_89
; %bb.78:
	v_mov_b32_e32 v24, 6
	s_mov_b32 s3, exec_lo
	v_cmpx_nle_f32_e64 0x40600000, |v25|
	s_cbranch_execz .LBB34_88
; %bb.79:
	;; [unrolled: 5-line block ×5, first 2 shown]
	v_mov_b32_e32 v24, 2
	s_mov_b32 s11, exec_lo
	v_cmpx_nle_f32_e64 0x3f400000, |v25|
; %bb.83:
	v_cmp_le_f32_e64 s12, 0x3e800000, |v25|
	s_delay_alu instid0(VALU_DEP_1)
	v_cndmask_b32_e64 v24, 0, 1, s12
; %bb.84:
	s_or_b32 exec_lo, exec_lo, s11
.LBB34_85:
	s_delay_alu instid0(SALU_CYCLE_1)
	s_or_b32 exec_lo, exec_lo, s10
.LBB34_86:
	s_delay_alu instid0(SALU_CYCLE_1)
	s_or_b32 exec_lo, exec_lo, s9
.LBB34_87:
	s_delay_alu instid0(SALU_CYCLE_1)
	s_or_b32 exec_lo, exec_lo, s6
.LBB34_88:
	s_delay_alu instid0(SALU_CYCLE_1)
	s_or_b32 exec_lo, exec_lo, s3
.LBB34_89:
	s_delay_alu instid0(SALU_CYCLE_1) | instskip(SKIP_2) | instid1(VALU_DEP_1)
	s_or_b32 exec_lo, exec_lo, s2
	v_mul_f32_e32 v27, v11, v27
	s_mov_b32 s2, exec_lo
	v_cmpx_nle_f32_e64 0x40a00000, |v27|
	s_cbranch_execz .LBB34_101
; %bb.90:
	v_mov_b32_e32 v23, 6
	s_mov_b32 s3, exec_lo
	v_cmpx_nle_f32_e64 0x40600000, |v27|
	s_cbranch_execz .LBB34_100
; %bb.91:
	v_mov_b32_e32 v23, 5
	;; [unrolled: 5-line block ×5, first 2 shown]
	s_mov_b32 s11, exec_lo
	v_cmpx_nle_f32_e64 0x3f400000, |v27|
; %bb.95:
	v_cmp_le_f32_e64 s12, 0x3e800000, |v27|
	s_delay_alu instid0(VALU_DEP_1)
	v_cndmask_b32_e64 v23, 0, 1, s12
; %bb.96:
	s_or_b32 exec_lo, exec_lo, s11
.LBB34_97:
	s_delay_alu instid0(SALU_CYCLE_1)
	s_or_b32 exec_lo, exec_lo, s10
.LBB34_98:
	s_delay_alu instid0(SALU_CYCLE_1)
	s_or_b32 exec_lo, exec_lo, s9
.LBB34_99:
	s_delay_alu instid0(SALU_CYCLE_1)
	s_or_b32 exec_lo, exec_lo, s6
.LBB34_100:
	s_delay_alu instid0(SALU_CYCLE_1)
	s_or_b32 exec_lo, exec_lo, s3
.LBB34_101:
	s_delay_alu instid0(SALU_CYCLE_1) | instskip(SKIP_3) | instid1(VALU_DEP_2)
	s_or_b32 exec_lo, exec_lo, s2
	v_dual_mul_f32 v31, v11, v29 :: v_dual_mov_b32 v30, 7
	v_mov_b32_e32 v29, 7
	s_mov_b32 s2, exec_lo
	v_cmpx_nle_f32_e64 0x40a00000, |v31|
	s_cbranch_execz .LBB34_113
; %bb.102:
	v_mov_b32_e32 v30, 6
	s_mov_b32 s3, exec_lo
	v_cmpx_nle_f32_e64 0x40600000, |v31|
	s_cbranch_execz .LBB34_112
; %bb.103:
	;; [unrolled: 5-line block ×5, first 2 shown]
	v_mov_b32_e32 v30, 2
	s_mov_b32 s11, exec_lo
	v_cmpx_nle_f32_e64 0x3f400000, |v31|
; %bb.107:
	v_cmp_le_f32_e64 s12, 0x3e800000, |v31|
	s_delay_alu instid0(VALU_DEP_1)
	v_cndmask_b32_e64 v30, 0, 1, s12
; %bb.108:
	s_or_b32 exec_lo, exec_lo, s11
.LBB34_109:
	s_delay_alu instid0(SALU_CYCLE_1)
	s_or_b32 exec_lo, exec_lo, s10
.LBB34_110:
	s_delay_alu instid0(SALU_CYCLE_1)
	s_or_b32 exec_lo, exec_lo, s9
.LBB34_111:
	s_delay_alu instid0(SALU_CYCLE_1)
	s_or_b32 exec_lo, exec_lo, s6
.LBB34_112:
	s_delay_alu instid0(SALU_CYCLE_1)
	s_or_b32 exec_lo, exec_lo, s3
.LBB34_113:
	s_delay_alu instid0(SALU_CYCLE_1) | instskip(SKIP_2) | instid1(VALU_DEP_1)
	s_or_b32 exec_lo, exec_lo, s2
	v_mul_f32_e32 v33, v11, v33
	s_mov_b32 s2, exec_lo
	v_cmpx_nle_f32_e64 0x40a00000, |v33|
	s_cbranch_execz .LBB34_125
; %bb.114:
	v_mov_b32_e32 v29, 6
	s_mov_b32 s3, exec_lo
	v_cmpx_nle_f32_e64 0x40600000, |v33|
	s_cbranch_execz .LBB34_124
; %bb.115:
	v_mov_b32_e32 v29, 5
	;; [unrolled: 5-line block ×5, first 2 shown]
	s_mov_b32 s11, exec_lo
	v_cmpx_nle_f32_e64 0x3f400000, |v33|
; %bb.119:
	v_cmp_le_f32_e64 s12, 0x3e800000, |v33|
	s_delay_alu instid0(VALU_DEP_1)
	v_cndmask_b32_e64 v29, 0, 1, s12
; %bb.120:
	s_or_b32 exec_lo, exec_lo, s11
.LBB34_121:
	s_delay_alu instid0(SALU_CYCLE_1)
	s_or_b32 exec_lo, exec_lo, s10
.LBB34_122:
	s_delay_alu instid0(SALU_CYCLE_1)
	s_or_b32 exec_lo, exec_lo, s9
.LBB34_123:
	s_delay_alu instid0(SALU_CYCLE_1)
	s_or_b32 exec_lo, exec_lo, s6
.LBB34_124:
	s_delay_alu instid0(SALU_CYCLE_1)
	s_or_b32 exec_lo, exec_lo, s3
.LBB34_125:
	s_delay_alu instid0(SALU_CYCLE_1) | instskip(SKIP_3) | instid1(VALU_DEP_2)
	s_or_b32 exec_lo, exec_lo, s2
	v_dual_mul_f32 v37, v11, v35 :: v_dual_mov_b32 v36, 7
	v_mov_b32_e32 v35, 7
	s_mov_b32 s2, exec_lo
	v_cmpx_nle_f32_e64 0x40a00000, |v37|
	s_cbranch_execz .LBB34_137
; %bb.126:
	v_mov_b32_e32 v36, 6
	s_mov_b32 s3, exec_lo
	v_cmpx_nle_f32_e64 0x40600000, |v37|
	s_cbranch_execz .LBB34_136
; %bb.127:
	;; [unrolled: 5-line block ×5, first 2 shown]
	v_mov_b32_e32 v36, 2
	s_mov_b32 s11, exec_lo
	v_cmpx_nle_f32_e64 0x3f400000, |v37|
; %bb.131:
	v_cmp_le_f32_e64 s12, 0x3e800000, |v37|
	s_delay_alu instid0(VALU_DEP_1)
	v_cndmask_b32_e64 v36, 0, 1, s12
; %bb.132:
	s_or_b32 exec_lo, exec_lo, s11
.LBB34_133:
	s_delay_alu instid0(SALU_CYCLE_1)
	s_or_b32 exec_lo, exec_lo, s10
.LBB34_134:
	s_delay_alu instid0(SALU_CYCLE_1)
	s_or_b32 exec_lo, exec_lo, s9
.LBB34_135:
	s_delay_alu instid0(SALU_CYCLE_1)
	s_or_b32 exec_lo, exec_lo, s6
.LBB34_136:
	s_delay_alu instid0(SALU_CYCLE_1)
	s_or_b32 exec_lo, exec_lo, s3
.LBB34_137:
	s_delay_alu instid0(SALU_CYCLE_1) | instskip(SKIP_2) | instid1(VALU_DEP_1)
	s_or_b32 exec_lo, exec_lo, s2
	v_mul_f32_e32 v39, v11, v39
	s_mov_b32 s2, exec_lo
	v_cmpx_nle_f32_e64 0x40a00000, |v39|
	s_cbranch_execz .LBB34_149
; %bb.138:
	v_mov_b32_e32 v35, 6
	s_mov_b32 s3, exec_lo
	v_cmpx_nle_f32_e64 0x40600000, |v39|
	s_cbranch_execz .LBB34_148
; %bb.139:
	v_mov_b32_e32 v35, 5
	;; [unrolled: 5-line block ×5, first 2 shown]
	s_mov_b32 s11, exec_lo
	v_cmpx_nle_f32_e64 0x3f400000, |v39|
; %bb.143:
	v_cmp_le_f32_e64 s12, 0x3e800000, |v39|
	s_delay_alu instid0(VALU_DEP_1)
	v_cndmask_b32_e64 v35, 0, 1, s12
; %bb.144:
	s_or_b32 exec_lo, exec_lo, s11
.LBB34_145:
	s_delay_alu instid0(SALU_CYCLE_1)
	s_or_b32 exec_lo, exec_lo, s10
.LBB34_146:
	s_delay_alu instid0(SALU_CYCLE_1)
	s_or_b32 exec_lo, exec_lo, s9
.LBB34_147:
	s_delay_alu instid0(SALU_CYCLE_1)
	s_or_b32 exec_lo, exec_lo, s6
.LBB34_148:
	s_delay_alu instid0(SALU_CYCLE_1)
	s_or_b32 exec_lo, exec_lo, s3
.LBB34_149:
	s_delay_alu instid0(SALU_CYCLE_1) | instskip(SKIP_3) | instid1(VALU_DEP_2)
	s_or_b32 exec_lo, exec_lo, s2
	v_dual_mul_f32 v44, v11, v41 :: v_dual_mov_b32 v41, 7
	v_mov_b32_e32 v45, 7
	s_mov_b32 s2, exec_lo
	v_cmpx_nle_f32_e64 0x40a00000, |v44|
	s_cbranch_execz .LBB34_161
; %bb.150:
	v_mov_b32_e32 v45, 6
	s_mov_b32 s3, exec_lo
	v_cmpx_nle_f32_e64 0x40600000, |v44|
	s_cbranch_execz .LBB34_160
; %bb.151:
	;; [unrolled: 5-line block ×5, first 2 shown]
	v_mov_b32_e32 v45, 2
	s_mov_b32 s11, exec_lo
	v_cmpx_nle_f32_e64 0x3f400000, |v44|
; %bb.155:
	v_cmp_le_f32_e64 s12, 0x3e800000, |v44|
	s_delay_alu instid0(VALU_DEP_1)
	v_cndmask_b32_e64 v45, 0, 1, s12
; %bb.156:
	s_or_b32 exec_lo, exec_lo, s11
.LBB34_157:
	s_delay_alu instid0(SALU_CYCLE_1)
	s_or_b32 exec_lo, exec_lo, s10
.LBB34_158:
	s_delay_alu instid0(SALU_CYCLE_1)
	s_or_b32 exec_lo, exec_lo, s9
.LBB34_159:
	s_delay_alu instid0(SALU_CYCLE_1)
	s_or_b32 exec_lo, exec_lo, s6
.LBB34_160:
	s_delay_alu instid0(SALU_CYCLE_1)
	s_or_b32 exec_lo, exec_lo, s3
.LBB34_161:
	s_delay_alu instid0(SALU_CYCLE_1) | instskip(SKIP_2) | instid1(VALU_DEP_1)
	s_or_b32 exec_lo, exec_lo, s2
	v_mul_f32_e32 v42, v11, v42
	s_mov_b32 s2, exec_lo
	v_cmpx_nle_f32_e64 0x40a00000, |v42|
	s_cbranch_execz .LBB34_173
; %bb.162:
	v_mov_b32_e32 v41, 6
	s_mov_b32 s3, exec_lo
	v_cmpx_nle_f32_e64 0x40600000, |v42|
	s_cbranch_execz .LBB34_172
; %bb.163:
	v_mov_b32_e32 v41, 5
	;; [unrolled: 5-line block ×5, first 2 shown]
	s_mov_b32 s11, exec_lo
	v_cmpx_nle_f32_e64 0x3f400000, |v42|
; %bb.167:
	v_cmp_le_f32_e64 s12, 0x3e800000, |v42|
	s_delay_alu instid0(VALU_DEP_1)
	v_cndmask_b32_e64 v41, 0, 1, s12
; %bb.168:
	s_or_b32 exec_lo, exec_lo, s11
.LBB34_169:
	s_delay_alu instid0(SALU_CYCLE_1)
	s_or_b32 exec_lo, exec_lo, s10
.LBB34_170:
	s_delay_alu instid0(SALU_CYCLE_1)
	s_or_b32 exec_lo, exec_lo, s9
.LBB34_171:
	s_delay_alu instid0(SALU_CYCLE_1)
	s_or_b32 exec_lo, exec_lo, s6
.LBB34_172:
	s_delay_alu instid0(SALU_CYCLE_1)
	s_or_b32 exec_lo, exec_lo, s3
.LBB34_173:
	s_delay_alu instid0(SALU_CYCLE_1) | instskip(SKIP_3) | instid1(VALU_DEP_2)
	s_or_b32 exec_lo, exec_lo, s2
	v_dual_mul_f32 v51, v11, v46 :: v_dual_mov_b32 v46, 7
	v_mov_b32_e32 v50, 7
	s_mov_b32 s2, exec_lo
	v_cmpx_nle_f32_e64 0x40a00000, |v51|
	s_cbranch_execz .LBB34_185
; %bb.174:
	v_mov_b32_e32 v50, 6
	s_mov_b32 s3, exec_lo
	v_cmpx_nle_f32_e64 0x40600000, |v51|
	s_cbranch_execz .LBB34_184
; %bb.175:
	v_mov_b32_e32 v50, 5
	s_mov_b32 s6, exec_lo
	v_cmpx_nle_f32_e64 0x40200000, |v51|
	s_cbranch_execz .LBB34_183
; %bb.176:
	v_mov_b32_e32 v50, 4
	s_mov_b32 s9, exec_lo
	v_cmpx_nle_f32_e64 0x3fe00000, |v51|
	s_cbranch_execz .LBB34_182
; %bb.177:
	v_mov_b32_e32 v50, 3
	s_mov_b32 s10, exec_lo
	v_cmpx_nle_f32_e64 0x3fa00000, |v51|
	s_cbranch_execz .LBB34_181
; %bb.178:
	v_mov_b32_e32 v50, 2
	s_mov_b32 s11, exec_lo
	v_cmpx_nle_f32_e64 0x3f400000, |v51|
; %bb.179:
	v_cmp_le_f32_e64 s12, 0x3e800000, |v51|
	s_delay_alu instid0(VALU_DEP_1)
	v_cndmask_b32_e64 v50, 0, 1, s12
; %bb.180:
	s_or_b32 exec_lo, exec_lo, s11
.LBB34_181:
	s_delay_alu instid0(SALU_CYCLE_1)
	s_or_b32 exec_lo, exec_lo, s10
.LBB34_182:
	s_delay_alu instid0(SALU_CYCLE_1)
	s_or_b32 exec_lo, exec_lo, s9
.LBB34_183:
	s_delay_alu instid0(SALU_CYCLE_1)
	s_or_b32 exec_lo, exec_lo, s6
.LBB34_184:
	s_delay_alu instid0(SALU_CYCLE_1)
	s_or_b32 exec_lo, exec_lo, s3
.LBB34_185:
	s_delay_alu instid0(SALU_CYCLE_1) | instskip(SKIP_2) | instid1(VALU_DEP_1)
	s_or_b32 exec_lo, exec_lo, s2
	v_mul_f32_e32 v48, v11, v48
	s_mov_b32 s2, exec_lo
	v_cmpx_nle_f32_e64 0x40a00000, |v48|
	s_cbranch_execz .LBB34_197
; %bb.186:
	v_mov_b32_e32 v46, 6
	s_mov_b32 s3, exec_lo
	v_cmpx_nle_f32_e64 0x40600000, |v48|
	s_cbranch_execz .LBB34_196
; %bb.187:
	v_mov_b32_e32 v46, 5
	;; [unrolled: 5-line block ×5, first 2 shown]
	s_mov_b32 s11, exec_lo
	v_cmpx_nle_f32_e64 0x3f400000, |v48|
; %bb.191:
	v_cmp_le_f32_e64 s12, 0x3e800000, |v48|
	s_delay_alu instid0(VALU_DEP_1)
	v_cndmask_b32_e64 v46, 0, 1, s12
; %bb.192:
	s_or_b32 exec_lo, exec_lo, s11
.LBB34_193:
	s_delay_alu instid0(SALU_CYCLE_1)
	s_or_b32 exec_lo, exec_lo, s10
.LBB34_194:
	s_delay_alu instid0(SALU_CYCLE_1)
	s_or_b32 exec_lo, exec_lo, s9
.LBB34_195:
	s_delay_alu instid0(SALU_CYCLE_1)
	s_or_b32 exec_lo, exec_lo, s6
.LBB34_196:
	s_delay_alu instid0(SALU_CYCLE_1)
	s_or_b32 exec_lo, exec_lo, s3
.LBB34_197:
	s_delay_alu instid0(SALU_CYCLE_1) | instskip(SKIP_3) | instid1(VALU_DEP_2)
	s_or_b32 exec_lo, exec_lo, s2
	v_dual_mul_f32 v55, v11, v52 :: v_dual_mov_b32 v52, 7
	v_mov_b32_e32 v54, 7
	s_mov_b32 s2, exec_lo
	v_cmpx_nle_f32_e64 0x40a00000, |v55|
	s_cbranch_execz .LBB34_209
; %bb.198:
	v_mov_b32_e32 v54, 6
	s_mov_b32 s3, exec_lo
	v_cmpx_nle_f32_e64 0x40600000, |v55|
	s_cbranch_execz .LBB34_208
; %bb.199:
	;; [unrolled: 5-line block ×5, first 2 shown]
	v_mov_b32_e32 v54, 2
	s_mov_b32 s11, exec_lo
	v_cmpx_nle_f32_e64 0x3f400000, |v55|
; %bb.203:
	v_cmp_le_f32_e64 s12, 0x3e800000, |v55|
	s_delay_alu instid0(VALU_DEP_1)
	v_cndmask_b32_e64 v54, 0, 1, s12
; %bb.204:
	s_or_b32 exec_lo, exec_lo, s11
.LBB34_205:
	s_delay_alu instid0(SALU_CYCLE_1)
	s_or_b32 exec_lo, exec_lo, s10
.LBB34_206:
	s_delay_alu instid0(SALU_CYCLE_1)
	s_or_b32 exec_lo, exec_lo, s9
.LBB34_207:
	s_delay_alu instid0(SALU_CYCLE_1)
	s_or_b32 exec_lo, exec_lo, s6
.LBB34_208:
	s_delay_alu instid0(SALU_CYCLE_1)
	s_or_b32 exec_lo, exec_lo, s3
.LBB34_209:
	s_delay_alu instid0(SALU_CYCLE_1) | instskip(SKIP_2) | instid1(VALU_DEP_1)
	s_or_b32 exec_lo, exec_lo, s2
	v_mul_f32_e32 v53, v11, v53
	s_mov_b32 s2, exec_lo
	v_cmpx_nle_f32_e64 0x40a00000, |v53|
	s_cbranch_execz .LBB34_221
; %bb.210:
	v_mov_b32_e32 v52, 6
	s_mov_b32 s3, exec_lo
	v_cmpx_nle_f32_e64 0x40600000, |v53|
	s_cbranch_execz .LBB34_220
; %bb.211:
	v_mov_b32_e32 v52, 5
	s_mov_b32 s6, exec_lo
	v_cmpx_nle_f32_e64 0x40200000, |v53|
	s_cbranch_execz .LBB34_219
; %bb.212:
	v_mov_b32_e32 v52, 4
	s_mov_b32 s9, exec_lo
	v_cmpx_nle_f32_e64 0x3fe00000, |v53|
	s_cbranch_execz .LBB34_218
; %bb.213:
	v_mov_b32_e32 v52, 3
	s_mov_b32 s10, exec_lo
	v_cmpx_nle_f32_e64 0x3fa00000, |v53|
	s_cbranch_execz .LBB34_217
; %bb.214:
	v_mov_b32_e32 v52, 2
	s_mov_b32 s11, exec_lo
	v_cmpx_nle_f32_e64 0x3f400000, |v53|
; %bb.215:
	v_cmp_le_f32_e64 s12, 0x3e800000, |v53|
	s_delay_alu instid0(VALU_DEP_1)
	v_cndmask_b32_e64 v52, 0, 1, s12
; %bb.216:
	s_or_b32 exec_lo, exec_lo, s11
.LBB34_217:
	s_delay_alu instid0(SALU_CYCLE_1)
	s_or_b32 exec_lo, exec_lo, s10
.LBB34_218:
	s_delay_alu instid0(SALU_CYCLE_1)
	s_or_b32 exec_lo, exec_lo, s9
.LBB34_219:
	s_delay_alu instid0(SALU_CYCLE_1)
	s_or_b32 exec_lo, exec_lo, s6
.LBB34_220:
	s_delay_alu instid0(SALU_CYCLE_1)
	s_or_b32 exec_lo, exec_lo, s3
.LBB34_221:
	s_delay_alu instid0(SALU_CYCLE_1) | instskip(SKIP_3) | instid1(VALU_DEP_2)
	s_or_b32 exec_lo, exec_lo, s2
	v_dual_mul_f32 v57, v11, v49 :: v_dual_mov_b32 v56, 7
	v_mov_b32_e32 v49, 7
	s_mov_b32 s2, exec_lo
	v_cmpx_nle_f32_e64 0x40a00000, |v57|
	s_cbranch_execz .LBB34_233
; %bb.222:
	v_mov_b32_e32 v56, 6
	s_mov_b32 s3, exec_lo
	v_cmpx_nle_f32_e64 0x40600000, |v57|
	s_cbranch_execz .LBB34_232
; %bb.223:
	;; [unrolled: 5-line block ×5, first 2 shown]
	v_mov_b32_e32 v56, 2
	s_mov_b32 s11, exec_lo
	v_cmpx_nle_f32_e64 0x3f400000, |v57|
; %bb.227:
	v_cmp_le_f32_e64 s12, 0x3e800000, |v57|
	s_delay_alu instid0(VALU_DEP_1)
	v_cndmask_b32_e64 v56, 0, 1, s12
; %bb.228:
	s_or_b32 exec_lo, exec_lo, s11
.LBB34_229:
	s_delay_alu instid0(SALU_CYCLE_1)
	s_or_b32 exec_lo, exec_lo, s10
.LBB34_230:
	s_delay_alu instid0(SALU_CYCLE_1)
	s_or_b32 exec_lo, exec_lo, s9
.LBB34_231:
	s_delay_alu instid0(SALU_CYCLE_1)
	s_or_b32 exec_lo, exec_lo, s6
.LBB34_232:
	s_delay_alu instid0(SALU_CYCLE_1)
	s_or_b32 exec_lo, exec_lo, s3
.LBB34_233:
	s_delay_alu instid0(SALU_CYCLE_1) | instskip(SKIP_2) | instid1(VALU_DEP_1)
	s_or_b32 exec_lo, exec_lo, s2
	v_mul_f32_e32 v47, v11, v47
	s_mov_b32 s2, exec_lo
	v_cmpx_nle_f32_e64 0x40a00000, |v47|
	s_cbranch_execz .LBB34_245
; %bb.234:
	v_mov_b32_e32 v49, 6
	s_mov_b32 s3, exec_lo
	v_cmpx_nle_f32_e64 0x40600000, |v47|
	s_cbranch_execz .LBB34_244
; %bb.235:
	v_mov_b32_e32 v49, 5
	;; [unrolled: 5-line block ×5, first 2 shown]
	s_mov_b32 s11, exec_lo
	v_cmpx_nle_f32_e64 0x3f400000, |v47|
; %bb.239:
	v_cmp_le_f32_e64 s12, 0x3e800000, |v47|
	s_delay_alu instid0(VALU_DEP_1)
	v_cndmask_b32_e64 v49, 0, 1, s12
; %bb.240:
	s_or_b32 exec_lo, exec_lo, s11
.LBB34_241:
	s_delay_alu instid0(SALU_CYCLE_1)
	s_or_b32 exec_lo, exec_lo, s10
.LBB34_242:
	s_delay_alu instid0(SALU_CYCLE_1)
	s_or_b32 exec_lo, exec_lo, s9
.LBB34_243:
	s_delay_alu instid0(SALU_CYCLE_1)
	s_or_b32 exec_lo, exec_lo, s6
.LBB34_244:
	s_delay_alu instid0(SALU_CYCLE_1)
	s_or_b32 exec_lo, exec_lo, s3
.LBB34_245:
	s_delay_alu instid0(SALU_CYCLE_1) | instskip(SKIP_3) | instid1(VALU_DEP_2)
	s_or_b32 exec_lo, exec_lo, s2
	v_dual_mul_f32 v59, v11, v43 :: v_dual_mov_b32 v58, 7
	v_mov_b32_e32 v43, 7
	s_mov_b32 s2, exec_lo
	v_cmpx_nle_f32_e64 0x40a00000, |v59|
	s_cbranch_execz .LBB34_257
; %bb.246:
	v_mov_b32_e32 v58, 6
	s_mov_b32 s3, exec_lo
	v_cmpx_nle_f32_e64 0x40600000, |v59|
	s_cbranch_execz .LBB34_256
; %bb.247:
	;; [unrolled: 5-line block ×5, first 2 shown]
	v_mov_b32_e32 v58, 2
	s_mov_b32 s11, exec_lo
	v_cmpx_nle_f32_e64 0x3f400000, |v59|
; %bb.251:
	v_cmp_le_f32_e64 s12, 0x3e800000, |v59|
	s_delay_alu instid0(VALU_DEP_1)
	v_cndmask_b32_e64 v58, 0, 1, s12
; %bb.252:
	s_or_b32 exec_lo, exec_lo, s11
.LBB34_253:
	s_delay_alu instid0(SALU_CYCLE_1)
	s_or_b32 exec_lo, exec_lo, s10
.LBB34_254:
	s_delay_alu instid0(SALU_CYCLE_1)
	s_or_b32 exec_lo, exec_lo, s9
.LBB34_255:
	s_delay_alu instid0(SALU_CYCLE_1)
	s_or_b32 exec_lo, exec_lo, s6
.LBB34_256:
	s_delay_alu instid0(SALU_CYCLE_1)
	s_or_b32 exec_lo, exec_lo, s3
.LBB34_257:
	s_delay_alu instid0(SALU_CYCLE_1) | instskip(SKIP_2) | instid1(VALU_DEP_1)
	s_or_b32 exec_lo, exec_lo, s2
	v_mul_f32_e32 v40, v11, v40
	s_mov_b32 s2, exec_lo
	v_cmpx_nle_f32_e64 0x40a00000, |v40|
	s_cbranch_execz .LBB34_269
; %bb.258:
	v_mov_b32_e32 v43, 6
	s_mov_b32 s3, exec_lo
	v_cmpx_nle_f32_e64 0x40600000, |v40|
	s_cbranch_execz .LBB34_268
; %bb.259:
	v_mov_b32_e32 v43, 5
	s_mov_b32 s6, exec_lo
	v_cmpx_nle_f32_e64 0x40200000, |v40|
	s_cbranch_execz .LBB34_267
; %bb.260:
	v_mov_b32_e32 v43, 4
	s_mov_b32 s9, exec_lo
	v_cmpx_nle_f32_e64 0x3fe00000, |v40|
	s_cbranch_execz .LBB34_266
; %bb.261:
	v_mov_b32_e32 v43, 3
	s_mov_b32 s10, exec_lo
	v_cmpx_nle_f32_e64 0x3fa00000, |v40|
	s_cbranch_execz .LBB34_265
; %bb.262:
	v_mov_b32_e32 v43, 2
	s_mov_b32 s11, exec_lo
	v_cmpx_nle_f32_e64 0x3f400000, |v40|
; %bb.263:
	v_cmp_le_f32_e64 s12, 0x3e800000, |v40|
	s_delay_alu instid0(VALU_DEP_1)
	v_cndmask_b32_e64 v43, 0, 1, s12
; %bb.264:
	s_or_b32 exec_lo, exec_lo, s11
.LBB34_265:
	s_delay_alu instid0(SALU_CYCLE_1)
	s_or_b32 exec_lo, exec_lo, s10
.LBB34_266:
	s_delay_alu instid0(SALU_CYCLE_1)
	s_or_b32 exec_lo, exec_lo, s9
.LBB34_267:
	s_delay_alu instid0(SALU_CYCLE_1)
	s_or_b32 exec_lo, exec_lo, s6
.LBB34_268:
	s_delay_alu instid0(SALU_CYCLE_1)
	s_or_b32 exec_lo, exec_lo, s3
.LBB34_269:
	s_delay_alu instid0(SALU_CYCLE_1) | instskip(SKIP_3) | instid1(VALU_DEP_2)
	s_or_b32 exec_lo, exec_lo, s2
	v_dual_mul_f32 v60, v11, v38 :: v_dual_mov_b32 v61, 7
	v_mov_b32_e32 v38, 7
	s_mov_b32 s2, exec_lo
	v_cmpx_nle_f32_e64 0x40a00000, |v60|
	s_cbranch_execz .LBB34_281
; %bb.270:
	v_mov_b32_e32 v61, 6
	s_mov_b32 s3, exec_lo
	v_cmpx_nle_f32_e64 0x40600000, |v60|
	s_cbranch_execz .LBB34_280
; %bb.271:
	;; [unrolled: 5-line block ×5, first 2 shown]
	v_mov_b32_e32 v61, 2
	s_mov_b32 s11, exec_lo
	v_cmpx_nle_f32_e64 0x3f400000, |v60|
; %bb.275:
	v_cmp_le_f32_e64 s12, 0x3e800000, |v60|
	s_delay_alu instid0(VALU_DEP_1)
	v_cndmask_b32_e64 v61, 0, 1, s12
; %bb.276:
	s_or_b32 exec_lo, exec_lo, s11
.LBB34_277:
	s_delay_alu instid0(SALU_CYCLE_1)
	s_or_b32 exec_lo, exec_lo, s10
.LBB34_278:
	s_delay_alu instid0(SALU_CYCLE_1)
	s_or_b32 exec_lo, exec_lo, s9
.LBB34_279:
	s_delay_alu instid0(SALU_CYCLE_1)
	s_or_b32 exec_lo, exec_lo, s6
.LBB34_280:
	s_delay_alu instid0(SALU_CYCLE_1)
	s_or_b32 exec_lo, exec_lo, s3
.LBB34_281:
	s_delay_alu instid0(SALU_CYCLE_1) | instskip(SKIP_2) | instid1(VALU_DEP_1)
	s_or_b32 exec_lo, exec_lo, s2
	v_mul_f32_e32 v34, v11, v34
	s_mov_b32 s2, exec_lo
	v_cmpx_nle_f32_e64 0x40a00000, |v34|
	s_cbranch_execz .LBB34_293
; %bb.282:
	v_mov_b32_e32 v38, 6
	s_mov_b32 s3, exec_lo
	v_cmpx_nle_f32_e64 0x40600000, |v34|
	s_cbranch_execz .LBB34_292
; %bb.283:
	v_mov_b32_e32 v38, 5
	;; [unrolled: 5-line block ×5, first 2 shown]
	s_mov_b32 s11, exec_lo
	v_cmpx_nle_f32_e64 0x3f400000, |v34|
; %bb.287:
	v_cmp_le_f32_e64 s12, 0x3e800000, |v34|
	s_delay_alu instid0(VALU_DEP_1)
	v_cndmask_b32_e64 v38, 0, 1, s12
; %bb.288:
	s_or_b32 exec_lo, exec_lo, s11
.LBB34_289:
	s_delay_alu instid0(SALU_CYCLE_1)
	s_or_b32 exec_lo, exec_lo, s10
.LBB34_290:
	s_delay_alu instid0(SALU_CYCLE_1)
	s_or_b32 exec_lo, exec_lo, s9
.LBB34_291:
	s_delay_alu instid0(SALU_CYCLE_1)
	s_or_b32 exec_lo, exec_lo, s6
.LBB34_292:
	s_delay_alu instid0(SALU_CYCLE_1)
	s_or_b32 exec_lo, exec_lo, s3
.LBB34_293:
	s_delay_alu instid0(SALU_CYCLE_1) | instskip(SKIP_3) | instid1(VALU_DEP_2)
	s_or_b32 exec_lo, exec_lo, s2
	v_dual_mul_f32 v63, v11, v32 :: v_dual_mov_b32 v32, 7
	v_mov_b32_e32 v62, 7
	s_mov_b32 s2, exec_lo
	v_cmpx_nle_f32_e64 0x40a00000, |v63|
	s_cbranch_execz .LBB34_305
; %bb.294:
	v_mov_b32_e32 v62, 6
	s_mov_b32 s3, exec_lo
	v_cmpx_nle_f32_e64 0x40600000, |v63|
	s_cbranch_execz .LBB34_304
; %bb.295:
	;; [unrolled: 5-line block ×5, first 2 shown]
	v_mov_b32_e32 v62, 2
	s_mov_b32 s11, exec_lo
	v_cmpx_nle_f32_e64 0x3f400000, |v63|
; %bb.299:
	v_cmp_le_f32_e64 s12, 0x3e800000, |v63|
	s_delay_alu instid0(VALU_DEP_1)
	v_cndmask_b32_e64 v62, 0, 1, s12
; %bb.300:
	s_or_b32 exec_lo, exec_lo, s11
.LBB34_301:
	s_delay_alu instid0(SALU_CYCLE_1)
	s_or_b32 exec_lo, exec_lo, s10
.LBB34_302:
	s_delay_alu instid0(SALU_CYCLE_1)
	s_or_b32 exec_lo, exec_lo, s9
.LBB34_303:
	s_delay_alu instid0(SALU_CYCLE_1)
	s_or_b32 exec_lo, exec_lo, s6
.LBB34_304:
	s_delay_alu instid0(SALU_CYCLE_1)
	s_or_b32 exec_lo, exec_lo, s3
.LBB34_305:
	s_delay_alu instid0(SALU_CYCLE_1) | instskip(SKIP_2) | instid1(VALU_DEP_1)
	s_or_b32 exec_lo, exec_lo, s2
	v_mul_f32_e32 v28, v11, v28
	s_mov_b32 s2, exec_lo
	v_cmpx_nle_f32_e64 0x40a00000, |v28|
	s_cbranch_execz .LBB34_317
; %bb.306:
	v_mov_b32_e32 v32, 6
	s_mov_b32 s3, exec_lo
	v_cmpx_nle_f32_e64 0x40600000, |v28|
	s_cbranch_execz .LBB34_316
; %bb.307:
	v_mov_b32_e32 v32, 5
	;; [unrolled: 5-line block ×5, first 2 shown]
	s_mov_b32 s11, exec_lo
	v_cmpx_nle_f32_e64 0x3f400000, |v28|
; %bb.311:
	v_cmp_le_f32_e64 s12, 0x3e800000, |v28|
	s_delay_alu instid0(VALU_DEP_1)
	v_cndmask_b32_e64 v32, 0, 1, s12
; %bb.312:
	s_or_b32 exec_lo, exec_lo, s11
.LBB34_313:
	s_delay_alu instid0(SALU_CYCLE_1)
	s_or_b32 exec_lo, exec_lo, s10
.LBB34_314:
	s_delay_alu instid0(SALU_CYCLE_1)
	s_or_b32 exec_lo, exec_lo, s9
.LBB34_315:
	s_delay_alu instid0(SALU_CYCLE_1)
	s_or_b32 exec_lo, exec_lo, s6
.LBB34_316:
	s_delay_alu instid0(SALU_CYCLE_1)
	s_or_b32 exec_lo, exec_lo, s3
.LBB34_317:
	s_delay_alu instid0(SALU_CYCLE_1) | instskip(SKIP_3) | instid1(VALU_DEP_2)
	s_or_b32 exec_lo, exec_lo, s2
	v_dual_mul_f32 v65, v11, v26 :: v_dual_mov_b32 v26, 7
	v_mov_b32_e32 v64, 7
	s_mov_b32 s2, exec_lo
	v_cmpx_nle_f32_e64 0x40a00000, |v65|
	s_cbranch_execz .LBB34_329
; %bb.318:
	v_mov_b32_e32 v64, 6
	s_mov_b32 s3, exec_lo
	v_cmpx_nle_f32_e64 0x40600000, |v65|
	s_cbranch_execz .LBB34_328
; %bb.319:
	v_mov_b32_e32 v64, 5
	s_mov_b32 s6, exec_lo
	v_cmpx_nle_f32_e64 0x40200000, |v65|
	s_cbranch_execz .LBB34_327
; %bb.320:
	v_mov_b32_e32 v64, 4
	s_mov_b32 s9, exec_lo
	v_cmpx_nle_f32_e64 0x3fe00000, |v65|
	s_cbranch_execz .LBB34_326
; %bb.321:
	v_mov_b32_e32 v64, 3
	s_mov_b32 s10, exec_lo
	v_cmpx_nle_f32_e64 0x3fa00000, |v65|
	s_cbranch_execz .LBB34_325
; %bb.322:
	v_mov_b32_e32 v64, 2
	s_mov_b32 s11, exec_lo
	v_cmpx_nle_f32_e64 0x3f400000, |v65|
; %bb.323:
	v_cmp_le_f32_e64 s12, 0x3e800000, |v65|
	s_delay_alu instid0(VALU_DEP_1)
	v_cndmask_b32_e64 v64, 0, 1, s12
; %bb.324:
	s_or_b32 exec_lo, exec_lo, s11
.LBB34_325:
	s_delay_alu instid0(SALU_CYCLE_1)
	s_or_b32 exec_lo, exec_lo, s10
.LBB34_326:
	s_delay_alu instid0(SALU_CYCLE_1)
	s_or_b32 exec_lo, exec_lo, s9
.LBB34_327:
	s_delay_alu instid0(SALU_CYCLE_1)
	s_or_b32 exec_lo, exec_lo, s6
.LBB34_328:
	s_delay_alu instid0(SALU_CYCLE_1)
	s_or_b32 exec_lo, exec_lo, s3
.LBB34_329:
	s_delay_alu instid0(SALU_CYCLE_1) | instskip(SKIP_2) | instid1(VALU_DEP_1)
	s_or_b32 exec_lo, exec_lo, s2
	v_mul_f32_e32 v22, v11, v22
	s_mov_b32 s2, exec_lo
	v_cmpx_nle_f32_e64 0x40a00000, |v22|
	s_cbranch_execz .LBB34_341
; %bb.330:
	v_mov_b32_e32 v26, 6
	s_mov_b32 s3, exec_lo
	v_cmpx_nle_f32_e64 0x40600000, |v22|
	s_cbranch_execz .LBB34_340
; %bb.331:
	v_mov_b32_e32 v26, 5
	s_mov_b32 s6, exec_lo
	v_cmpx_nle_f32_e64 0x40200000, |v22|
	s_cbranch_execz .LBB34_339
; %bb.332:
	v_mov_b32_e32 v26, 4
	s_mov_b32 s9, exec_lo
	v_cmpx_nle_f32_e64 0x3fe00000, |v22|
	s_cbranch_execz .LBB34_338
; %bb.333:
	v_mov_b32_e32 v26, 3
	s_mov_b32 s10, exec_lo
	v_cmpx_nle_f32_e64 0x3fa00000, |v22|
	s_cbranch_execz .LBB34_337
; %bb.334:
	v_mov_b32_e32 v26, 2
	s_mov_b32 s11, exec_lo
	v_cmpx_nle_f32_e64 0x3f400000, |v22|
; %bb.335:
	v_cmp_le_f32_e64 s12, 0x3e800000, |v22|
	s_delay_alu instid0(VALU_DEP_1)
	v_cndmask_b32_e64 v26, 0, 1, s12
; %bb.336:
	s_or_b32 exec_lo, exec_lo, s11
.LBB34_337:
	s_delay_alu instid0(SALU_CYCLE_1)
	s_or_b32 exec_lo, exec_lo, s10
.LBB34_338:
	s_delay_alu instid0(SALU_CYCLE_1)
	s_or_b32 exec_lo, exec_lo, s9
.LBB34_339:
	s_delay_alu instid0(SALU_CYCLE_1)
	s_or_b32 exec_lo, exec_lo, s6
.LBB34_340:
	s_delay_alu instid0(SALU_CYCLE_1)
	s_or_b32 exec_lo, exec_lo, s3
.LBB34_341:
	s_delay_alu instid0(SALU_CYCLE_1) | instskip(SKIP_3) | instid1(VALU_DEP_2)
	s_or_b32 exec_lo, exec_lo, s2
	v_dual_mul_f32 v67, v11, v20 :: v_dual_mov_b32 v20, 7
	v_mov_b32_e32 v66, 7
	s_mov_b32 s2, exec_lo
	v_cmpx_nle_f32_e64 0x40a00000, |v67|
	s_cbranch_execz .LBB34_353
; %bb.342:
	v_mov_b32_e32 v66, 6
	s_mov_b32 s3, exec_lo
	v_cmpx_nle_f32_e64 0x40600000, |v67|
	s_cbranch_execz .LBB34_352
; %bb.343:
	;; [unrolled: 5-line block ×5, first 2 shown]
	v_mov_b32_e32 v66, 2
	s_mov_b32 s11, exec_lo
	v_cmpx_nle_f32_e64 0x3f400000, |v67|
; %bb.347:
	v_cmp_le_f32_e64 s12, 0x3e800000, |v67|
	s_delay_alu instid0(VALU_DEP_1)
	v_cndmask_b32_e64 v66, 0, 1, s12
; %bb.348:
	s_or_b32 exec_lo, exec_lo, s11
.LBB34_349:
	s_delay_alu instid0(SALU_CYCLE_1)
	s_or_b32 exec_lo, exec_lo, s10
.LBB34_350:
	s_delay_alu instid0(SALU_CYCLE_1)
	s_or_b32 exec_lo, exec_lo, s9
.LBB34_351:
	s_delay_alu instid0(SALU_CYCLE_1)
	s_or_b32 exec_lo, exec_lo, s6
.LBB34_352:
	s_delay_alu instid0(SALU_CYCLE_1)
	s_or_b32 exec_lo, exec_lo, s3
.LBB34_353:
	s_delay_alu instid0(SALU_CYCLE_1) | instskip(SKIP_2) | instid1(VALU_DEP_1)
	s_or_b32 exec_lo, exec_lo, s2
	v_mul_f32_e32 v16, v11, v16
	s_mov_b32 s2, exec_lo
	v_cmpx_nle_f32_e64 0x40a00000, |v16|
	s_cbranch_execz .LBB34_365
; %bb.354:
	v_mov_b32_e32 v20, 6
	s_mov_b32 s3, exec_lo
	v_cmpx_nle_f32_e64 0x40600000, |v16|
	s_cbranch_execz .LBB34_364
; %bb.355:
	v_mov_b32_e32 v20, 5
	;; [unrolled: 5-line block ×5, first 2 shown]
	s_mov_b32 s11, exec_lo
	v_cmpx_nle_f32_e64 0x3f400000, |v16|
; %bb.359:
	v_cmp_le_f32_e64 s12, 0x3e800000, |v16|
	s_delay_alu instid0(VALU_DEP_1)
	v_cndmask_b32_e64 v20, 0, 1, s12
; %bb.360:
	s_or_b32 exec_lo, exec_lo, s11
.LBB34_361:
	s_delay_alu instid0(SALU_CYCLE_1)
	s_or_b32 exec_lo, exec_lo, s10
.LBB34_362:
	s_delay_alu instid0(SALU_CYCLE_1)
	s_or_b32 exec_lo, exec_lo, s9
.LBB34_363:
	s_delay_alu instid0(SALU_CYCLE_1)
	s_or_b32 exec_lo, exec_lo, s6
.LBB34_364:
	s_delay_alu instid0(SALU_CYCLE_1)
	s_or_b32 exec_lo, exec_lo, s3
.LBB34_365:
	s_delay_alu instid0(SALU_CYCLE_1) | instskip(SKIP_3) | instid1(VALU_DEP_2)
	s_or_b32 exec_lo, exec_lo, s2
	v_dual_mul_f32 v69, v11, v14 :: v_dual_mov_b32 v14, 7
	v_mov_b32_e32 v68, 7
	s_mov_b32 s2, exec_lo
	v_cmpx_nle_f32_e64 0x40a00000, |v69|
	s_cbranch_execz .LBB34_377
; %bb.366:
	v_mov_b32_e32 v68, 6
	s_mov_b32 s3, exec_lo
	v_cmpx_nle_f32_e64 0x40600000, |v69|
	s_cbranch_execz .LBB34_376
; %bb.367:
	;; [unrolled: 5-line block ×5, first 2 shown]
	v_mov_b32_e32 v68, 2
	s_mov_b32 s11, exec_lo
	v_cmpx_nle_f32_e64 0x3f400000, |v69|
; %bb.371:
	v_cmp_le_f32_e64 s12, 0x3e800000, |v69|
	s_delay_alu instid0(VALU_DEP_1)
	v_cndmask_b32_e64 v68, 0, 1, s12
; %bb.372:
	s_or_b32 exec_lo, exec_lo, s11
.LBB34_373:
	s_delay_alu instid0(SALU_CYCLE_1)
	s_or_b32 exec_lo, exec_lo, s10
.LBB34_374:
	s_delay_alu instid0(SALU_CYCLE_1)
	s_or_b32 exec_lo, exec_lo, s9
.LBB34_375:
	s_delay_alu instid0(SALU_CYCLE_1)
	s_or_b32 exec_lo, exec_lo, s6
.LBB34_376:
	s_delay_alu instid0(SALU_CYCLE_1)
	s_or_b32 exec_lo, exec_lo, s3
.LBB34_377:
	s_delay_alu instid0(SALU_CYCLE_1) | instskip(SKIP_3) | instid1(VALU_DEP_1)
	s_or_b32 exec_lo, exec_lo, s2
	s_load_b64 s[2:3], s[0:1], 0x8
	v_mul_f32_e32 v9, v11, v9
	s_mov_b32 s6, exec_lo
	v_cmpx_nle_f32_e64 0x40a00000, |v9|
	s_cbranch_execz .LBB34_389
; %bb.378:
	v_mov_b32_e32 v14, 6
	s_mov_b32 s9, exec_lo
	v_cmpx_nle_f32_e64 0x40600000, |v9|
	s_cbranch_execz .LBB34_388
; %bb.379:
	v_mov_b32_e32 v14, 5
	;; [unrolled: 5-line block ×5, first 2 shown]
	s_mov_b32 s13, exec_lo
	v_cmpx_nle_f32_e64 0x3f400000, |v9|
; %bb.383:
	v_cmp_le_f32_e64 s14, 0x3e800000, |v9|
	s_delay_alu instid0(VALU_DEP_1)
	v_cndmask_b32_e64 v14, 0, 1, s14
; %bb.384:
	s_or_b32 exec_lo, exec_lo, s13
.LBB34_385:
	s_delay_alu instid0(SALU_CYCLE_1)
	s_or_b32 exec_lo, exec_lo, s12
.LBB34_386:
	s_delay_alu instid0(SALU_CYCLE_1)
	s_or_b32 exec_lo, exec_lo, s11
.LBB34_387:
	s_delay_alu instid0(SALU_CYCLE_1)
	s_or_b32 exec_lo, exec_lo, s10
.LBB34_388:
	s_delay_alu instid0(SALU_CYCLE_1)
	s_or_b32 exec_lo, exec_lo, s9
.LBB34_389:
	s_delay_alu instid0(SALU_CYCLE_1)
	s_or_b32 exec_lo, exec_lo, s6
	v_cmp_gt_f32_e32 vcc_lo, 0, v69
	v_lshlrev_b16 v7, 4, v7
	v_lshlrev_b16 v10, 4, v10
	v_lshlrev_b16 v14, 4, v14
	v_lshlrev_b16 v20, 4, v20
	v_cndmask_b32_e64 v11, 0, 1, vcc_lo
	v_cmp_gt_f32_e32 vcc_lo, 0, v67
	s_lshr_b32 s6, s4, 31
	s_load_b64 s[0:1], s[0:1], 0x10
	s_add_i32 s4, s4, s6
	v_lshlrev_b16 v11, 3, v11
	v_cndmask_b32_e64 v67, 0, 1, vcc_lo
	v_cmp_gt_f32_e32 vcc_lo, 0, v65
	s_ashr_i32 s4, s4, 1
	s_delay_alu instid0(SALU_CYCLE_1) | instskip(NEXT) | instid1(VALU_DEP_2)
	s_ashr_i32 s6, s4, 31
	v_lshlrev_b16 v67, 3, v67
	v_cndmask_b32_e64 v65, 0, 1, vcc_lo
	v_cmp_gt_f32_e32 vcc_lo, 0, v63
	v_or_b32_e32 v11, v11, v68
	v_mul_lo_u32 v1, v1, s4
	v_or_b32_e32 v66, v67, v66
	v_lshlrev_b16 v65, 3, v65
	v_cndmask_b32_e64 v63, 0, 1, vcc_lo
	v_cmp_gt_f32_e32 vcc_lo, 0, v60
	s_delay_alu instid0(VALU_DEP_3) | instskip(NEXT) | instid1(VALU_DEP_3)
	v_or_b32_e32 v64, v65, v64
	v_lshlrev_b16 v63, 3, v63
	v_cndmask_b32_e64 v60, 0, 1, vcc_lo
	v_cmp_gt_f32_e32 vcc_lo, 0, v59
	s_delay_alu instid0(VALU_DEP_3) | instskip(NEXT) | instid1(VALU_DEP_3)
	;; [unrolled: 5-line block ×11, first 2 shown]
	v_or_b32_e32 v12, v12, v13
	v_lshlrev_b16 v25, 3, v25
	v_cndmask_b32_e64 v19, 0, 1, vcc_lo
	v_cmp_gt_f32_e32 vcc_lo, 0, v6
	s_delay_alu instid0(VALU_DEP_2) | instskip(SKIP_2) | instid1(VALU_DEP_2)
	v_lshlrev_b16 v19, 3, v19
	v_cndmask_b32_e64 v6, 0, 1, vcc_lo
	v_cmp_gt_f32_e32 vcc_lo, 0, v8
	v_lshlrev_b16 v6, 3, v6
	v_cndmask_b32_e64 v8, 0, 1, vcc_lo
	v_cmp_gt_f32_e32 vcc_lo, 0, v15
	s_delay_alu instid0(VALU_DEP_3) | instskip(NEXT) | instid1(VALU_DEP_3)
	v_or_b32_e32 v5, v6, v5
	v_lshlrev_b16 v8, 7, v8
	v_cndmask_b32_e64 v13, 0, 1, vcc_lo
	v_cmp_gt_f32_e32 vcc_lo, 0, v21
	s_delay_alu instid0(VALU_DEP_3) | instskip(NEXT) | instid1(VALU_DEP_3)
	v_or_b32_e32 v6, v8, v7
	v_lshlrev_b16 v13, 7, v13
	v_cndmask_b32_e64 v15, 0, 1, vcc_lo
	v_lshlrev_b16 v8, 4, v18
	v_cmp_gt_f32_e32 vcc_lo, 0, v27
	v_or_b32_e32 v5, v6, v5
	v_or_b32_e32 v7, v13, v10
	v_lshlrev_b16 v10, 7, v15
	v_or_b32_e32 v15, v19, v17
	v_lshlrev_b16 v18, 4, v29
	v_lshlrev_b16 v19, 4, v35
	v_or_b32_e32 v6, v7, v12
	v_or_b32_e32 v7, v10, v8
	v_cndmask_b32_e64 v10, 0, 1, vcc_lo
	v_cmp_gt_f32_e32 vcc_lo, 0, v33
	v_lshlrev_b16 v8, 4, v23
	v_or_b32_e32 v13, v25, v24
	v_or_b32_e32 v7, v7, v15
	v_lshlrev_b16 v10, 7, v10
	v_cndmask_b32_e64 v12, 0, 1, vcc_lo
	v_cmp_gt_f32_e32 vcc_lo, 0, v39
	v_lshlrev_b16 v23, 4, v49
	v_lshlrev_b16 v24, 4, v43
	v_or_b32_e32 v8, v10, v8
	v_lshlrev_b16 v12, 7, v12
	v_cndmask_b32_e64 v17, 0, 1, vcc_lo
	v_cmp_gt_f32_e32 vcc_lo, 0, v42
	v_lshlrev_b16 v25, 4, v46
	v_or_b32_e32 v13, v8, v13
	v_or_b32_e32 v10, v12, v18
	v_lshlrev_b16 v17, 7, v17
	v_cndmask_b32_e64 v21, 0, 1, vcc_lo
	v_cmp_gt_f32_e32 vcc_lo, 0, v48
	v_lshlrev_b16 v6, 8, v6
	v_or_b32_e32 v10, v10, v30
	v_or_b32_e32 v12, v17, v19
	v_lshlrev_b16 v17, 4, v41
	v_lshlrev_b16 v18, 7, v21
	v_cndmask_b32_e64 v15, 0, 1, vcc_lo
	v_cmp_gt_f32_e32 vcc_lo, 0, v53
	v_or_b32_e32 v12, v12, v36
	v_lshlrev_b16 v13, 8, v13
	v_or_b32_e32 v8, v18, v17
	v_lshlrev_b16 v17, 4, v52
	v_cndmask_b32_e64 v18, 0, 1, vcc_lo
	v_cmp_gt_f32_e32 vcc_lo, 0, v47
	v_lshlrev_b16 v15, 7, v15
	v_or_b32_e32 v5, v5, v6
	v_or_b32_e32 v6, v7, v13
	v_lshlrev_b16 v18, 7, v18
	v_cndmask_b32_e64 v19, 0, 1, vcc_lo
	v_cmp_gt_f32_e32 vcc_lo, 0, v40
	v_mul_lo_u32 v13, v0, s6
	v_and_b32_e32 v5, 0xffff, v5
	v_or_b32_e32 v17, v18, v17
	v_lshlrev_b16 v19, 7, v19
	v_cndmask_b32_e64 v21, 0, 1, vcc_lo
	v_cmp_gt_f32_e32 vcc_lo, 0, v22
	s_delay_alu instid0(VALU_DEP_3) | instskip(NEXT) | instid1(VALU_DEP_3)
	v_or_b32_e32 v18, v19, v23
	v_lshlrev_b16 v21, 7, v21
	v_cndmask_b32_e64 v22, 0, 1, vcc_lo
	v_cmp_gt_f32_e32 vcc_lo, 0, v28
	v_lshlrev_b16 v23, 4, v32
	s_delay_alu instid0(VALU_DEP_4)
	v_or_b32_e32 v19, v21, v24
	v_or_b32_e32 v21, v8, v44
	v_cndmask_b32_e64 v24, 0, 1, vcc_lo
	v_cmp_gt_f32_e32 vcc_lo, 0, v9
	v_or_b32_e32 v8, v15, v25
	v_lshlrev_b16 v25, 4, v26
	v_lshlrev_b16 v22, 7, v22
	;; [unrolled: 1-line block ×3, first 2 shown]
	v_cndmask_b32_e64 v9, 0, 1, vcc_lo
	v_cmp_gt_f32_e32 vcc_lo, 0, v16
	v_or_b32_e32 v15, v17, v54
	v_or_b32_e32 v22, v22, v25
	;; [unrolled: 1-line block ×3, first 2 shown]
	v_lshlrev_b16 v9, 7, v9
	v_cndmask_b32_e64 v16, 0, 1, vcc_lo
	v_cmp_gt_f32_e32 vcc_lo, 0, v34
	v_or_b32_e32 v18, v19, v58
	v_lshlrev_b16 v19, 4, v38
	v_or_b32_e32 v9, v9, v14
	v_lshlrev_b16 v16, 7, v16
	v_cndmask_b32_e64 v14, 0, 1, vcc_lo
	v_or_b32_e32 v23, v24, v23
	s_delay_alu instid0(VALU_DEP_4) | instskip(NEXT) | instid1(VALU_DEP_4)
	v_or_b32_e32 v9, v9, v11
	v_or_b32_e32 v16, v16, v20
	;; [unrolled: 1-line block ×3, first 2 shown]
	v_lshlrev_b16 v11, 7, v14
	v_or_b32_e32 v14, v23, v62
	v_lshlrev_b16 v9, 8, v9
	v_or_b32_e32 v16, v16, v66
	;; [unrolled: 2-line block ×3, first 2 shown]
	s_delay_alu instid0(VALU_DEP_3) | instskip(NEXT) | instid1(VALU_DEP_3)
	v_or_b32_e32 v9, v16, v9
	v_or_b32_e32 v14, v14, v20
	s_delay_alu instid0(VALU_DEP_3) | instskip(SKIP_1) | instid1(VALU_DEP_4)
	v_or_b32_e32 v11, v11, v60
	v_lshlrev_b16 v16, 8, v17
	v_lshlrev_b32_e32 v9, 16, v9
	s_delay_alu instid0(VALU_DEP_4) | instskip(NEXT) | instid1(VALU_DEP_4)
	v_and_b32_e32 v14, 0xffff, v14
	v_lshlrev_b16 v11, 8, v11
	s_delay_alu instid0(VALU_DEP_4) | instskip(SKIP_1) | instid1(VALU_DEP_4)
	v_or_b32_e32 v15, v15, v16
	v_or_b32_e32 v16, v8, v50
	;; [unrolled: 1-line block ×3, first 2 shown]
	s_delay_alu instid0(VALU_DEP_4) | instskip(SKIP_1) | instid1(VALU_DEP_4)
	v_or_b32_e32 v9, v18, v11
	v_lshlrev_b16 v11, 8, v12
	v_lshlrev_b16 v12, 8, v16
	v_and_b32_e32 v14, 0xffff, v15
	v_lshlrev_b32_e32 v16, 16, v6
	v_lshlrev_b32_e32 v15, 16, v9
	v_or_b32_e32 v11, v10, v11
	s_waitcnt lgkmcnt(0)
	v_mad_u64_u32 v[9:10], null, v0, s4, s[2:3]
	v_or_b32_e32 v12, v21, v12
	v_or_b32_e32 v7, v14, v15
	v_lshlrev_b32_e32 v14, 4, v4
	v_and_b32_e32 v11, 0xffff, v11
	v_or_b32_e32 v5, v5, v16
	v_lshlrev_b32_e32 v12, 16, v12
	v_add3_u32 v1, v1, v10, v13
	v_add_co_u32 v9, vcc_lo, v9, v14
	s_and_b32 s2, s7, 1
	s_delay_alu instid0(VALU_DEP_3) | instskip(NEXT) | instid1(VALU_DEP_3)
	v_or_b32_e32 v6, v11, v12
	v_add_co_ci_u32_e32 v10, vcc_lo, 0, v1, vcc_lo
	s_cmp_eq_u32 s2, 0
	s_mov_b32 s2, 0
	global_store_b128 v[9:10], v[5:8], off
	s_cbranch_scc0 .LBB34_391
; %bb.390:
	v_ashrrev_i32_e32 v1, 31, v0
	s_delay_alu instid0(VALU_DEP_1) | instskip(NEXT) | instid1(VALU_DEP_1)
	v_lshrrev_b32_e32 v1, 27, v1
	v_add_nc_u32_e32 v1, v0, v1
	s_delay_alu instid0(VALU_DEP_1) | instskip(NEXT) | instid1(VALU_DEP_1)
	v_and_b32_e32 v5, 0xffe0, v1
	v_sub_nc_u32_e32 v5, v0, v5
	s_delay_alu instid0(VALU_DEP_1) | instskip(NEXT) | instid1(VALU_DEP_1)
	v_bfe_i32 v6, v5, 0, 8
	v_lshrrev_b16 v6, 11, v6
	s_delay_alu instid0(VALU_DEP_1) | instskip(NEXT) | instid1(VALU_DEP_1)
	v_and_b32_e32 v6, 15, v6
	v_add_nc_u16 v5, v5, v6
	s_delay_alu instid0(VALU_DEP_1) | instskip(NEXT) | instid1(VALU_DEP_1)
	v_bfe_i32 v5, v5, 0, 8
	v_ashrrev_i16 v6, 4, v5
	v_ashrrev_i32_e32 v5, 5, v1
	s_delay_alu instid0(VALU_DEP_2)
	v_bfe_i32 v1, v6, 0, 16
	s_and_not1_b32 vcc_lo, exec_lo, s2
	s_cbranch_vccz .LBB34_392
	s_branch .LBB34_393
.LBB34_391:
                                        ; implicit-def: $vgpr5
                                        ; implicit-def: $vgpr1
.LBB34_392:
	s_lshr_b32 s2, s8, 31
	v_sub_nc_u32_e32 v6, 0, v0
	s_add_i32 s2, s8, s2
	s_delay_alu instid0(SALU_CYCLE_1) | instskip(NEXT) | instid1(VALU_DEP_1)
	s_ashr_i32 s2, s2, 1
	v_max_i32_e32 v6, v0, v6
	s_abs_i32 s3, s2
	s_delay_alu instid0(SALU_CYCLE_1) | instskip(SKIP_1) | instid1(VALU_DEP_1)
	v_cvt_f32_u32_e32 v1, s3
	s_sub_i32 s4, 0, s3
	v_rcp_iflag_f32_e32 v1, v1
	s_waitcnt_depctr 0xfff
	v_mul_f32_e32 v1, 0x4f7ffffe, v1
	s_delay_alu instid0(VALU_DEP_1) | instskip(NEXT) | instid1(VALU_DEP_1)
	v_cvt_u32_f32_e32 v1, v1
	v_mul_lo_u32 v5, s4, v1
	s_delay_alu instid0(VALU_DEP_1) | instskip(NEXT) | instid1(VALU_DEP_1)
	v_mul_hi_u32 v5, v1, v5
	v_add_nc_u32_e32 v1, v1, v5
	s_delay_alu instid0(VALU_DEP_1) | instskip(NEXT) | instid1(VALU_DEP_1)
	v_mul_hi_u32 v1, v6, v1
	v_mul_lo_u32 v5, v1, s3
	s_delay_alu instid0(VALU_DEP_1) | instskip(NEXT) | instid1(VALU_DEP_1)
	v_sub_nc_u32_e32 v5, v6, v5
	v_subrev_nc_u32_e32 v7, s3, v5
	v_cmp_le_u32_e32 vcc_lo, s3, v5
	s_delay_alu instid0(VALU_DEP_2) | instskip(NEXT) | instid1(VALU_DEP_1)
	v_dual_cndmask_b32 v5, v5, v7 :: v_dual_add_nc_u32 v6, 1, v1
	v_cndmask_b32_e32 v1, v1, v6, vcc_lo
	v_xor_b32_e32 v6, s2, v0
	s_delay_alu instid0(VALU_DEP_3) | instskip(NEXT) | instid1(VALU_DEP_3)
	v_cmp_le_u32_e32 vcc_lo, s3, v5
	v_add_nc_u32_e32 v7, 1, v1
	s_delay_alu instid0(VALU_DEP_3) | instskip(NEXT) | instid1(VALU_DEP_2)
	v_ashrrev_i32_e32 v6, 31, v6
	v_cndmask_b32_e32 v1, v1, v7, vcc_lo
	s_delay_alu instid0(VALU_DEP_1) | instskip(NEXT) | instid1(VALU_DEP_1)
	v_xor_b32_e32 v1, v1, v6
	v_sub_nc_u32_e32 v1, v1, v6
	s_delay_alu instid0(VALU_DEP_1) | instskip(NEXT) | instid1(VALU_DEP_1)
	v_mul_lo_u32 v5, v1, s2
	v_sub_nc_u32_e32 v0, v0, v5
	s_delay_alu instid0(VALU_DEP_1) | instskip(NEXT) | instid1(VALU_DEP_1)
	v_ashrrev_i32_e32 v5, 31, v0
	v_lshrrev_b32_e32 v5, 28, v5
	s_delay_alu instid0(VALU_DEP_1) | instskip(NEXT) | instid1(VALU_DEP_1)
	v_add_nc_u32_e32 v5, v0, v5
	v_ashrrev_i32_e32 v5, 4, v5
.LBB34_393:
	v_ashrrev_i32_e32 v6, 31, v0
	v_lshlrev_b32_e32 v7, 6, v4
	v_lshrrev_b32_e32 v4, 1, v4
	v_and_b32_e32 v2, 0x7fffff00, v2
	s_lshl_b32 s2, s5, 5
	v_lshrrev_b32_e32 v6, 28, v6
	v_and_b32_e32 v7, 0xc0, v7
	v_and_b32_e32 v4, 2, v4
	s_and_b32 s2, s2, 0x7fffff00
	s_delay_alu instid0(VALU_DEP_3) | instskip(NEXT) | instid1(VALU_DEP_2)
	v_add_nc_u32_e32 v6, v0, v6
	v_or3_b32 v2, v7, v2, v4
	v_mul_lo_u32 v4, v5, s2
	s_delay_alu instid0(VALU_DEP_3) | instskip(NEXT) | instid1(VALU_DEP_3)
	v_and_b32_e32 v6, 0x3ffffff0, v6
	v_add_nc_u32_e32 v1, v2, v1
	v_lshrrev_b32_e32 v2, 23, v3
	s_delay_alu instid0(VALU_DEP_3) | instskip(NEXT) | instid1(VALU_DEP_1)
	v_sub_nc_u32_e32 v0, v0, v6
	v_lshlrev_b32_e32 v0, 2, v0
	s_delay_alu instid0(VALU_DEP_1) | instskip(NEXT) | instid1(VALU_DEP_1)
	v_add3_u32 v0, v1, v0, v4
	v_ashrrev_i32_e32 v1, 31, v0
	v_add_co_u32 v0, vcc_lo, s0, v0
	s_delay_alu instid0(VALU_DEP_2)
	v_add_co_ci_u32_e32 v1, vcc_lo, s1, v1, vcc_lo
	global_store_b8 v[0:1], v2, off
.LBB34_394:
	s_nop 0
	s_sendmsg sendmsg(MSG_DEALLOC_VGPRS)
	s_endpgm
	.section	.rodata,"a",@progbits
	.p2align	6, 0x0
	.amdhsa_kernel _ZN5aiter18quant_mxfp4_kernelI12hip_bfloat16LNS_16MxScaleRoundModeE2ELb0ELb1ELb0EEEvPKT_PhPfliiib
		.amdhsa_group_segment_fixed_size 0
		.amdhsa_private_segment_fixed_size 0
		.amdhsa_kernarg_size 304
		.amdhsa_user_sgpr_count 15
		.amdhsa_user_sgpr_dispatch_ptr 0
		.amdhsa_user_sgpr_queue_ptr 0
		.amdhsa_user_sgpr_kernarg_segment_ptr 1
		.amdhsa_user_sgpr_dispatch_id 0
		.amdhsa_user_sgpr_private_segment_size 0
		.amdhsa_wavefront_size32 1
		.amdhsa_uses_dynamic_stack 0
		.amdhsa_enable_private_segment 0
		.amdhsa_system_sgpr_workgroup_id_x 1
		.amdhsa_system_sgpr_workgroup_id_y 0
		.amdhsa_system_sgpr_workgroup_id_z 0
		.amdhsa_system_sgpr_workgroup_info 0
		.amdhsa_system_vgpr_workitem_id 0
		.amdhsa_next_free_vgpr 70
		.amdhsa_next_free_sgpr 16
		.amdhsa_reserve_vcc 1
		.amdhsa_float_round_mode_32 0
		.amdhsa_float_round_mode_16_64 0
		.amdhsa_float_denorm_mode_32 3
		.amdhsa_float_denorm_mode_16_64 3
		.amdhsa_dx10_clamp 1
		.amdhsa_ieee_mode 1
		.amdhsa_fp16_overflow 0
		.amdhsa_workgroup_processor_mode 1
		.amdhsa_memory_ordered 1
		.amdhsa_forward_progress 0
		.amdhsa_shared_vgpr_count 0
		.amdhsa_exception_fp_ieee_invalid_op 0
		.amdhsa_exception_fp_denorm_src 0
		.amdhsa_exception_fp_ieee_div_zero 0
		.amdhsa_exception_fp_ieee_overflow 0
		.amdhsa_exception_fp_ieee_underflow 0
		.amdhsa_exception_fp_ieee_inexact 0
		.amdhsa_exception_int_div_zero 0
	.end_amdhsa_kernel
	.section	.text._ZN5aiter18quant_mxfp4_kernelI12hip_bfloat16LNS_16MxScaleRoundModeE2ELb0ELb1ELb0EEEvPKT_PhPfliiib,"axG",@progbits,_ZN5aiter18quant_mxfp4_kernelI12hip_bfloat16LNS_16MxScaleRoundModeE2ELb0ELb1ELb0EEEvPKT_PhPfliiib,comdat
.Lfunc_end34:
	.size	_ZN5aiter18quant_mxfp4_kernelI12hip_bfloat16LNS_16MxScaleRoundModeE2ELb0ELb1ELb0EEEvPKT_PhPfliiib, .Lfunc_end34-_ZN5aiter18quant_mxfp4_kernelI12hip_bfloat16LNS_16MxScaleRoundModeE2ELb0ELb1ELb0EEEvPKT_PhPfliiib
                                        ; -- End function
	.section	.AMDGPU.csdata,"",@progbits
; Kernel info:
; codeLenInByte = 10492
; NumSgprs: 18
; NumVgprs: 70
; ScratchSize: 0
; MemoryBound: 0
; FloatMode: 240
; IeeeMode: 1
; LDSByteSize: 0 bytes/workgroup (compile time only)
; SGPRBlocks: 2
; VGPRBlocks: 8
; NumSGPRsForWavesPerEU: 18
; NumVGPRsForWavesPerEU: 70
; Occupancy: 16
; WaveLimiterHint : 0
; COMPUTE_PGM_RSRC2:SCRATCH_EN: 0
; COMPUTE_PGM_RSRC2:USER_SGPR: 15
; COMPUTE_PGM_RSRC2:TRAP_HANDLER: 0
; COMPUTE_PGM_RSRC2:TGID_X_EN: 1
; COMPUTE_PGM_RSRC2:TGID_Y_EN: 0
; COMPUTE_PGM_RSRC2:TGID_Z_EN: 0
; COMPUTE_PGM_RSRC2:TIDIG_COMP_CNT: 0
	.section	.text._ZN5aiter18quant_mxfp4_kernelI12hip_bfloat16LNS_16MxScaleRoundModeE2ELb0ELb0ELb0EEEvPKT_PhPfliiib,"axG",@progbits,_ZN5aiter18quant_mxfp4_kernelI12hip_bfloat16LNS_16MxScaleRoundModeE2ELb0ELb0ELb0EEEvPKT_PhPfliiib,comdat
	.protected	_ZN5aiter18quant_mxfp4_kernelI12hip_bfloat16LNS_16MxScaleRoundModeE2ELb0ELb0ELb0EEEvPKT_PhPfliiib ; -- Begin function _ZN5aiter18quant_mxfp4_kernelI12hip_bfloat16LNS_16MxScaleRoundModeE2ELb0ELb0ELb0EEEvPKT_PhPfliiib
	.globl	_ZN5aiter18quant_mxfp4_kernelI12hip_bfloat16LNS_16MxScaleRoundModeE2ELb0ELb0ELb0EEEvPKT_PhPfliiib
	.p2align	8
	.type	_ZN5aiter18quant_mxfp4_kernelI12hip_bfloat16LNS_16MxScaleRoundModeE2ELb0ELb0ELb0EEEvPKT_PhPfliiib,@function
_ZN5aiter18quant_mxfp4_kernelI12hip_bfloat16LNS_16MxScaleRoundModeE2ELb0ELb0ELb0EEEvPKT_PhPfliiib: ; @_ZN5aiter18quant_mxfp4_kernelI12hip_bfloat16LNS_16MxScaleRoundModeE2ELb0ELb0ELb0EEEvPKT_PhPfliiib
; %bb.0:
	s_clause 0x1
	s_load_b32 s2, s[0:1], 0x3c
	s_load_b128 s[4:7], s[0:1], 0x20
	v_mov_b32_e32 v1, 0
	s_mov_b32 s3, exec_lo
	s_delay_alu instid0(VALU_DEP_1) | instskip(SKIP_2) | instid1(SALU_CYCLE_1)
	v_mov_b32_e32 v4, v1
	s_waitcnt lgkmcnt(0)
	s_and_b32 s2, s2, 0xffff
	v_mad_u64_u32 v[2:3], null, s2, s15, v[0:1]
	s_ashr_i32 s2, s6, 31
                                        ; implicit-def: $vgpr0_vgpr1
	s_delay_alu instid0(VALU_DEP_1) | instid1(SALU_CYCLE_1)
	v_or_b32_e32 v5, s2, v3
	s_delay_alu instid0(VALU_DEP_1)
	v_cmpx_ne_u64_e32 0, v[4:5]
	s_xor_b32 s3, exec_lo, s3
	s_cbranch_execz .LBB35_2
; %bb.1:
	s_add_u32 s10, s6, s2
	s_mov_b32 s8, s2
	s_mov_b32 s9, s2
	s_addc_u32 s11, s2, s2
	s_delay_alu instid0(SALU_CYCLE_1) | instskip(NEXT) | instid1(SALU_CYCLE_1)
	s_xor_b64 s[10:11], s[10:11], s[8:9]
	v_cvt_f32_u32_e32 v0, s10
	v_cvt_f32_u32_e32 v1, s11
	s_sub_u32 s2, 0, s10
	s_subb_u32 s7, 0, s11
	s_delay_alu instid0(VALU_DEP_1) | instskip(NEXT) | instid1(VALU_DEP_1)
	v_fmamk_f32 v0, v1, 0x4f800000, v0
	v_rcp_f32_e32 v0, v0
	s_waitcnt_depctr 0xfff
	v_mul_f32_e32 v0, 0x5f7ffffc, v0
	s_delay_alu instid0(VALU_DEP_1) | instskip(NEXT) | instid1(VALU_DEP_1)
	v_mul_f32_e32 v1, 0x2f800000, v0
	v_trunc_f32_e32 v1, v1
	s_delay_alu instid0(VALU_DEP_1) | instskip(SKIP_1) | instid1(VALU_DEP_2)
	v_fmamk_f32 v0, v1, 0xcf800000, v0
	v_cvt_u32_f32_e32 v1, v1
	v_cvt_u32_f32_e32 v0, v0
	s_delay_alu instid0(VALU_DEP_2) | instskip(NEXT) | instid1(VALU_DEP_2)
	v_mul_lo_u32 v4, s2, v1
	v_mul_hi_u32 v5, s2, v0
	v_mul_lo_u32 v6, s7, v0
	s_delay_alu instid0(VALU_DEP_2) | instskip(SKIP_1) | instid1(VALU_DEP_2)
	v_add_nc_u32_e32 v4, v5, v4
	v_mul_lo_u32 v5, s2, v0
	v_add_nc_u32_e32 v4, v4, v6
	s_delay_alu instid0(VALU_DEP_2) | instskip(NEXT) | instid1(VALU_DEP_2)
	v_mul_hi_u32 v6, v0, v5
	v_mul_lo_u32 v7, v0, v4
	v_mul_hi_u32 v8, v0, v4
	v_mul_hi_u32 v9, v1, v5
	v_mul_lo_u32 v5, v1, v5
	v_mul_hi_u32 v10, v1, v4
	v_mul_lo_u32 v4, v1, v4
	v_add_co_u32 v6, vcc_lo, v6, v7
	v_add_co_ci_u32_e32 v7, vcc_lo, 0, v8, vcc_lo
	s_delay_alu instid0(VALU_DEP_2) | instskip(NEXT) | instid1(VALU_DEP_2)
	v_add_co_u32 v5, vcc_lo, v6, v5
	v_add_co_ci_u32_e32 v5, vcc_lo, v7, v9, vcc_lo
	v_add_co_ci_u32_e32 v6, vcc_lo, 0, v10, vcc_lo
	v_ashrrev_i32_e32 v9, 31, v3
	s_delay_alu instid0(VALU_DEP_3) | instskip(NEXT) | instid1(VALU_DEP_3)
	v_add_co_u32 v4, vcc_lo, v5, v4
	v_add_co_ci_u32_e32 v5, vcc_lo, 0, v6, vcc_lo
	s_delay_alu instid0(VALU_DEP_2) | instskip(NEXT) | instid1(VALU_DEP_2)
	v_add_co_u32 v0, vcc_lo, v0, v4
	v_add_co_ci_u32_e32 v1, vcc_lo, v1, v5, vcc_lo
	s_delay_alu instid0(VALU_DEP_2) | instskip(SKIP_1) | instid1(VALU_DEP_3)
	v_mul_hi_u32 v4, s2, v0
	v_mul_lo_u32 v6, s7, v0
	v_mul_lo_u32 v5, s2, v1
	s_delay_alu instid0(VALU_DEP_1) | instskip(SKIP_1) | instid1(VALU_DEP_2)
	v_add_nc_u32_e32 v4, v4, v5
	v_mul_lo_u32 v5, s2, v0
	v_add_nc_u32_e32 v4, v4, v6
	s_delay_alu instid0(VALU_DEP_2) | instskip(NEXT) | instid1(VALU_DEP_2)
	v_mul_hi_u32 v6, v0, v5
	v_mul_lo_u32 v7, v0, v4
	v_mul_hi_u32 v8, v0, v4
	v_mul_hi_u32 v10, v1, v5
	v_mul_lo_u32 v5, v1, v5
	v_mul_hi_u32 v11, v1, v4
	v_mul_lo_u32 v4, v1, v4
	v_add_co_u32 v6, vcc_lo, v6, v7
	v_add_co_ci_u32_e32 v7, vcc_lo, 0, v8, vcc_lo
	s_delay_alu instid0(VALU_DEP_2) | instskip(NEXT) | instid1(VALU_DEP_2)
	v_add_co_u32 v5, vcc_lo, v6, v5
	v_add_co_ci_u32_e32 v5, vcc_lo, v7, v10, vcc_lo
	v_add_co_ci_u32_e32 v6, vcc_lo, 0, v11, vcc_lo
	v_add_co_u32 v7, vcc_lo, v2, v9
	v_add_co_ci_u32_e32 v3, vcc_lo, v3, v9, vcc_lo
	s_delay_alu instid0(VALU_DEP_4) | instskip(NEXT) | instid1(VALU_DEP_4)
	v_add_co_u32 v4, vcc_lo, v5, v4
	v_add_co_ci_u32_e32 v5, vcc_lo, 0, v6, vcc_lo
	s_delay_alu instid0(VALU_DEP_4) | instskip(NEXT) | instid1(VALU_DEP_3)
	v_xor_b32_e32 v7, v7, v9
	v_add_co_u32 v6, vcc_lo, v0, v4
	s_delay_alu instid0(VALU_DEP_3) | instskip(SKIP_1) | instid1(VALU_DEP_3)
	v_add_co_ci_u32_e32 v8, vcc_lo, v1, v5, vcc_lo
	v_xor_b32_e32 v10, v3, v9
	v_mul_hi_u32 v11, v7, v6
	s_delay_alu instid0(VALU_DEP_3) | instskip(NEXT) | instid1(VALU_DEP_3)
	v_mad_u64_u32 v[0:1], null, v7, v8, 0
	v_mad_u64_u32 v[3:4], null, v10, v6, 0
	;; [unrolled: 1-line block ×3, first 2 shown]
	s_delay_alu instid0(VALU_DEP_3) | instskip(NEXT) | instid1(VALU_DEP_4)
	v_add_co_u32 v0, vcc_lo, v11, v0
	v_add_co_ci_u32_e32 v1, vcc_lo, 0, v1, vcc_lo
	s_delay_alu instid0(VALU_DEP_2) | instskip(NEXT) | instid1(VALU_DEP_2)
	v_add_co_u32 v0, vcc_lo, v0, v3
	v_add_co_ci_u32_e32 v0, vcc_lo, v1, v4, vcc_lo
	v_add_co_ci_u32_e32 v1, vcc_lo, 0, v6, vcc_lo
	s_delay_alu instid0(VALU_DEP_2) | instskip(NEXT) | instid1(VALU_DEP_2)
	v_add_co_u32 v3, vcc_lo, v0, v5
	v_add_co_ci_u32_e32 v4, vcc_lo, 0, v1, vcc_lo
	s_delay_alu instid0(VALU_DEP_2) | instskip(SKIP_1) | instid1(VALU_DEP_3)
	v_mul_lo_u32 v5, s11, v3
	v_mad_u64_u32 v[0:1], null, s10, v3, 0
	v_mul_lo_u32 v6, s10, v4
	s_delay_alu instid0(VALU_DEP_2) | instskip(NEXT) | instid1(VALU_DEP_2)
	v_sub_co_u32 v0, vcc_lo, v7, v0
	v_add3_u32 v1, v1, v6, v5
	s_delay_alu instid0(VALU_DEP_1) | instskip(NEXT) | instid1(VALU_DEP_1)
	v_sub_nc_u32_e32 v5, v10, v1
	v_subrev_co_ci_u32_e64 v5, s2, s11, v5, vcc_lo
	v_add_co_u32 v6, s2, v3, 2
	s_delay_alu instid0(VALU_DEP_1) | instskip(SKIP_3) | instid1(VALU_DEP_3)
	v_add_co_ci_u32_e64 v7, s2, 0, v4, s2
	v_sub_co_u32 v8, s2, v0, s10
	v_sub_co_ci_u32_e32 v1, vcc_lo, v10, v1, vcc_lo
	v_subrev_co_ci_u32_e64 v5, s2, 0, v5, s2
	v_cmp_le_u32_e32 vcc_lo, s10, v8
	s_delay_alu instid0(VALU_DEP_3) | instskip(SKIP_1) | instid1(VALU_DEP_4)
	v_cmp_eq_u32_e64 s2, s11, v1
	v_cndmask_b32_e64 v8, 0, -1, vcc_lo
	v_cmp_le_u32_e32 vcc_lo, s11, v5
	v_cndmask_b32_e64 v10, 0, -1, vcc_lo
	v_cmp_le_u32_e32 vcc_lo, s10, v0
	;; [unrolled: 2-line block ×3, first 2 shown]
	v_cndmask_b32_e64 v11, 0, -1, vcc_lo
	v_cmp_eq_u32_e32 vcc_lo, s11, v5
	s_delay_alu instid0(VALU_DEP_2) | instskip(SKIP_3) | instid1(VALU_DEP_3)
	v_cndmask_b32_e64 v0, v11, v0, s2
	v_cndmask_b32_e32 v5, v10, v8, vcc_lo
	v_add_co_u32 v8, vcc_lo, v3, 1
	v_add_co_ci_u32_e32 v10, vcc_lo, 0, v4, vcc_lo
	v_cmp_ne_u32_e32 vcc_lo, 0, v5
	s_delay_alu instid0(VALU_DEP_2) | instskip(NEXT) | instid1(VALU_DEP_4)
	v_cndmask_b32_e32 v1, v10, v7, vcc_lo
	v_cndmask_b32_e32 v5, v8, v6, vcc_lo
	v_cmp_ne_u32_e32 vcc_lo, 0, v0
	v_xor_b32_e32 v0, s8, v9
	s_delay_alu instid0(VALU_DEP_3) | instskip(SKIP_2) | instid1(VALU_DEP_3)
	v_cndmask_b32_e32 v3, v3, v5, vcc_lo
	v_cndmask_b32_e32 v1, v4, v1, vcc_lo
	v_xor_b32_e32 v4, s9, v9
	v_xor_b32_e32 v3, v3, v0
	s_delay_alu instid0(VALU_DEP_2) | instskip(NEXT) | instid1(VALU_DEP_2)
	v_xor_b32_e32 v1, v1, v4
	v_sub_co_u32 v0, vcc_lo, v3, v0
	s_delay_alu instid0(VALU_DEP_2)
	v_sub_co_ci_u32_e32 v1, vcc_lo, v1, v4, vcc_lo
.LBB35_2:
	s_and_not1_saveexec_b32 s2, s3
	s_cbranch_execz .LBB35_4
; %bb.3:
	v_cvt_f32_u32_e32 v0, s6
	s_sub_i32 s3, 0, s6
	s_delay_alu instid0(VALU_DEP_1) | instskip(SKIP_2) | instid1(VALU_DEP_1)
	v_rcp_iflag_f32_e32 v0, v0
	s_waitcnt_depctr 0xfff
	v_mul_f32_e32 v0, 0x4f7ffffe, v0
	v_cvt_u32_f32_e32 v0, v0
	s_delay_alu instid0(VALU_DEP_1) | instskip(NEXT) | instid1(VALU_DEP_1)
	v_mul_lo_u32 v1, s3, v0
	v_mul_hi_u32 v1, v0, v1
	s_delay_alu instid0(VALU_DEP_1) | instskip(NEXT) | instid1(VALU_DEP_1)
	v_add_nc_u32_e32 v0, v0, v1
	v_mul_hi_u32 v0, v2, v0
	s_delay_alu instid0(VALU_DEP_1) | instskip(SKIP_1) | instid1(VALU_DEP_2)
	v_mul_lo_u32 v1, v0, s6
	v_add_nc_u32_e32 v3, 1, v0
	v_sub_nc_u32_e32 v1, v2, v1
	s_delay_alu instid0(VALU_DEP_1) | instskip(SKIP_1) | instid1(VALU_DEP_2)
	v_subrev_nc_u32_e32 v4, s6, v1
	v_cmp_le_u32_e32 vcc_lo, s6, v1
	v_dual_cndmask_b32 v1, v1, v4 :: v_dual_cndmask_b32 v0, v0, v3
	s_delay_alu instid0(VALU_DEP_1) | instskip(NEXT) | instid1(VALU_DEP_2)
	v_cmp_le_u32_e32 vcc_lo, s6, v1
	v_add_nc_u32_e32 v3, 1, v0
	s_delay_alu instid0(VALU_DEP_1)
	v_dual_mov_b32 v1, 0 :: v_dual_cndmask_b32 v0, v0, v3
.LBB35_4:
	s_or_b32 exec_lo, exec_lo, s2
	s_load_b64 s[2:3], s[0:1], 0x18
	s_delay_alu instid0(VALU_DEP_1) | instskip(NEXT) | instid1(VALU_DEP_1)
	v_mad_u64_u32 v[3:4], null, v0, s6, 0
	v_sub_co_u32 v2, null, v2, v3
	s_waitcnt lgkmcnt(0)
	v_cmp_gt_i64_e32 vcc_lo, s[2:3], v[0:1]
	s_delay_alu instid0(VALU_DEP_2) | instskip(NEXT) | instid1(VALU_DEP_1)
	v_cmp_gt_i32_e64 s2, s5, v2
	s_and_b32 s2, vcc_lo, s2
	s_delay_alu instid0(SALU_CYCLE_1)
	s_and_saveexec_b32 s3, s2
	s_cbranch_execz .LBB35_390
; %bb.5:
	s_ashr_i32 s6, s4, 31
	s_load_b64 s[2:3], s[0:1], 0x0
	v_mul_lo_u32 v5, v1, s4
	v_mad_u64_u32 v[3:4], null, v0, s4, 0
	v_mul_lo_u32 v6, v0, s6
	s_delay_alu instid0(VALU_DEP_1) | instskip(SKIP_1) | instid1(VALU_DEP_2)
	v_add3_u32 v4, v4, v6, v5
	v_dual_mov_b32 v6, 0 :: v_dual_lshlrev_b32 v5, 5, v2
	v_lshlrev_b64 v[3:4], 1, v[3:4]
	s_delay_alu instid0(VALU_DEP_2) | instskip(SKIP_1) | instid1(VALU_DEP_2)
	v_lshlrev_b64 v[5:6], 1, v[5:6]
	s_waitcnt lgkmcnt(0)
	v_add_co_u32 v3, vcc_lo, s2, v3
	s_delay_alu instid0(VALU_DEP_3) | instskip(SKIP_1) | instid1(VALU_DEP_2)
	v_add_co_ci_u32_e32 v4, vcc_lo, s3, v4, vcc_lo
	s_mov_b32 s2, 0xc2fe0000
	v_add_co_u32 v7, vcc_lo, v3, v5
	s_delay_alu instid0(VALU_DEP_2)
	v_add_co_ci_u32_e32 v8, vcc_lo, v4, v6, vcc_lo
	s_clause 0x3
	global_load_b128 v[3:6], v[7:8], off
	global_load_b128 v[10:13], v[7:8], off offset:16
	global_load_b128 v[52:55], v[7:8], off offset:32
	;; [unrolled: 1-line block ×3, first 2 shown]
	s_waitcnt vmcnt(3)
	v_lshlrev_b32_e32 v17, 16, v3
	v_and_b32_e32 v7, 0xffff0000, v3
	v_lshlrev_b32_e32 v9, 16, v4
	v_and_b32_e32 v14, 0xffff0000, v4
	;; [unrolled: 2-line block ×3, first 2 shown]
	v_max3_f32 v3, |v17|, 0, |v7|
	v_lshlrev_b32_e32 v22, 16, v6
	v_and_b32_e32 v26, 0xffff0000, v6
	s_waitcnt vmcnt(2)
	v_lshlrev_b32_e32 v28, 16, v10
	v_and_b32_e32 v32, 0xffff0000, v10
	v_max3_f32 v3, v3, |v9|, |v14|
	v_lshlrev_b32_e32 v34, 16, v11
	v_and_b32_e32 v38, 0xffff0000, v11
	v_lshlrev_b32_e32 v40, 16, v12
	v_and_b32_e32 v41, 0xffff0000, v12
	v_max3_f32 v3, v3, |v16|, |v20|
	v_lshlrev_b32_e32 v45, 16, v13
	v_and_b32_e32 v47, 0xffff0000, v13
	s_waitcnt vmcnt(1)
	v_lshlrev_b32_e32 v51, 16, v52
	v_and_b32_e32 v52, 0xffff0000, v52
	v_max3_f32 v3, v3, |v22|, |v26|
	v_lshlrev_b32_e32 v48, 16, v53
	v_and_b32_e32 v46, 0xffff0000, v53
	v_lshlrev_b32_e32 v42, 16, v54
	v_and_b32_e32 v39, 0xffff0000, v54
	v_max3_f32 v3, v3, |v28|, |v32|
	;; [unrolled: 11-line block ×3, first 2 shown]
	v_lshlrev_b32_e32 v13, 16, v59
	v_and_b32_e32 v8, 0xffff0000, v59
	s_delay_alu instid0(VALU_DEP_3) | instskip(NEXT) | instid1(VALU_DEP_1)
	v_max3_f32 v3, v3, |v45|, |v47|
	v_max3_f32 v3, v3, |v51|, |v52|
	s_delay_alu instid0(VALU_DEP_1) | instskip(NEXT) | instid1(VALU_DEP_1)
	v_max3_f32 v3, v3, |v48|, |v46|
	v_max3_f32 v3, v3, |v42|, |v39|
	s_delay_alu instid0(VALU_DEP_1) | instskip(NEXT) | instid1(VALU_DEP_1)
	v_max3_f32 v3, v3, |v36|, |v33|
	v_max3_f32 v3, v3, |v31|, |v27|
	s_delay_alu instid0(VALU_DEP_1) | instskip(NEXT) | instid1(VALU_DEP_1)
	v_max3_f32 v3, v3, |v25|, |v21|
	v_max3_f32 v3, v3, |v19|, |v15|
	s_delay_alu instid0(VALU_DEP_1) | instskip(NEXT) | instid1(VALU_DEP_1)
	v_max3_f32 v3, v3, |v13|, |v8|
	v_add_nc_u32_e32 v3, 0x200000, v3
	s_delay_alu instid0(VALU_DEP_1) | instskip(NEXT) | instid1(VALU_DEP_1)
	v_and_b32_e32 v3, 0x7f800000, v3
	v_cmp_gt_f32_e32 vcc_lo, 0x800000, v3
	v_cndmask_b32_e64 v4, 1.0, 0x4f800000, vcc_lo
	s_delay_alu instid0(VALU_DEP_1) | instskip(SKIP_1) | instid1(VALU_DEP_2)
	v_mul_f32_e32 v3, v3, v4
	v_cndmask_b32_e64 v4, 0, 0x42000000, vcc_lo
	v_log_f32_e32 v3, v3
	s_waitcnt_depctr 0xfff
	v_sub_f32_e32 v3, v3, v4
	s_delay_alu instid0(VALU_DEP_1) | instskip(NEXT) | instid1(VALU_DEP_1)
	v_floor_f32_e32 v3, v3
	v_add_f32_e32 v3, -2.0, v3
	s_delay_alu instid0(VALU_DEP_1) | instskip(SKIP_1) | instid1(VALU_DEP_1)
	v_maxmin_f32 v3, v3, s2, 0x42fe0000
	s_mov_b32 s2, exec_lo
	v_cmp_gt_f32_e32 vcc_lo, 0xc2fc0000, v3
	v_cndmask_b32_e64 v4, 0, 0x42800000, vcc_lo
	s_delay_alu instid0(VALU_DEP_1) | instskip(SKIP_1) | instid1(VALU_DEP_2)
	v_add_f32_e32 v3, v3, v4
	v_cndmask_b32_e64 v4, 1.0, 0x1f800000, vcc_lo
	v_exp_f32_e32 v3, v3
	s_waitcnt_depctr 0xfff
	v_mul_f32_e32 v3, v3, v4
	s_delay_alu instid0(VALU_DEP_1) | instskip(SKIP_1) | instid1(VALU_DEP_2)
	v_div_scale_f32 v4, null, v3, v3, 1.0
	v_div_scale_f32 v10, vcc_lo, 1.0, v3, 1.0
	v_rcp_f32_e32 v5, v4
	s_waitcnt_depctr 0xfff
	v_fma_f32 v6, -v4, v5, 1.0
	s_delay_alu instid0(VALU_DEP_1) | instskip(NEXT) | instid1(VALU_DEP_1)
	v_fmac_f32_e32 v5, v6, v5
	v_mul_f32_e32 v6, v10, v5
	s_delay_alu instid0(VALU_DEP_1) | instskip(NEXT) | instid1(VALU_DEP_1)
	v_fma_f32 v11, -v4, v6, v10
	v_fmac_f32_e32 v6, v11, v5
	s_delay_alu instid0(VALU_DEP_1) | instskip(NEXT) | instid1(VALU_DEP_1)
	v_fma_f32 v4, -v4, v6, v10
	v_div_fmas_f32 v4, v4, v5, v6
	v_cmp_neq_f32_e32 vcc_lo, 0, v3
	v_mov_b32_e32 v6, 7
	s_delay_alu instid0(VALU_DEP_3) | instskip(NEXT) | instid1(VALU_DEP_1)
	v_div_fixup_f32 v4, v4, v3, 1.0
	v_cndmask_b32_e32 v10, 0, v4, vcc_lo
	s_delay_alu instid0(VALU_DEP_1) | instskip(NEXT) | instid1(VALU_DEP_1)
	v_dual_mov_b32 v4, 7 :: v_dual_mul_f32 v5, v10, v17
	v_cmpx_nle_f32_e64 0x40a00000, |v5|
	s_cbranch_execz .LBB35_17
; %bb.6:
	v_mov_b32_e32 v4, 6
	s_mov_b32 s3, exec_lo
	v_cmpx_nle_f32_e64 0x40600000, |v5|
	s_cbranch_execz .LBB35_16
; %bb.7:
	v_mov_b32_e32 v4, 5
	s_mov_b32 s6, exec_lo
	;; [unrolled: 5-line block ×5, first 2 shown]
	v_cmpx_nle_f32_e64 0x3f400000, |v5|
; %bb.11:
	v_cmp_le_f32_e64 s10, 0x3e800000, |v5|
	s_delay_alu instid0(VALU_DEP_1)
	v_cndmask_b32_e64 v4, 0, 1, s10
; %bb.12:
	s_or_b32 exec_lo, exec_lo, s9
.LBB35_13:
	s_delay_alu instid0(SALU_CYCLE_1)
	s_or_b32 exec_lo, exec_lo, s8
.LBB35_14:
	s_delay_alu instid0(SALU_CYCLE_1)
	s_or_b32 exec_lo, exec_lo, s7
.LBB35_15:
	s_delay_alu instid0(SALU_CYCLE_1)
	s_or_b32 exec_lo, exec_lo, s6
.LBB35_16:
	s_delay_alu instid0(SALU_CYCLE_1)
	s_or_b32 exec_lo, exec_lo, s3
.LBB35_17:
	s_delay_alu instid0(SALU_CYCLE_1) | instskip(SKIP_2) | instid1(VALU_DEP_1)
	s_or_b32 exec_lo, exec_lo, s2
	v_mul_f32_e32 v7, v10, v7
	s_mov_b32 s2, exec_lo
	v_cmpx_nle_f32_e64 0x40a00000, |v7|
	s_cbranch_execz .LBB35_29
; %bb.18:
	v_mov_b32_e32 v6, 6
	s_mov_b32 s3, exec_lo
	v_cmpx_nle_f32_e64 0x40600000, |v7|
	s_cbranch_execz .LBB35_28
; %bb.19:
	v_mov_b32_e32 v6, 5
	;; [unrolled: 5-line block ×5, first 2 shown]
	s_mov_b32 s9, exec_lo
	v_cmpx_nle_f32_e64 0x3f400000, |v7|
; %bb.23:
	v_cmp_le_f32_e64 s10, 0x3e800000, |v7|
	s_delay_alu instid0(VALU_DEP_1)
	v_cndmask_b32_e64 v6, 0, 1, s10
; %bb.24:
	s_or_b32 exec_lo, exec_lo, s9
.LBB35_25:
	s_delay_alu instid0(SALU_CYCLE_1)
	s_or_b32 exec_lo, exec_lo, s8
.LBB35_26:
	s_delay_alu instid0(SALU_CYCLE_1)
	s_or_b32 exec_lo, exec_lo, s7
.LBB35_27:
	s_delay_alu instid0(SALU_CYCLE_1)
	s_or_b32 exec_lo, exec_lo, s6
.LBB35_28:
	s_delay_alu instid0(SALU_CYCLE_1)
	s_or_b32 exec_lo, exec_lo, s3
.LBB35_29:
	s_delay_alu instid0(SALU_CYCLE_1) | instskip(SKIP_3) | instid1(VALU_DEP_2)
	s_or_b32 exec_lo, exec_lo, s2
	v_dual_mul_f32 v11, v10, v9 :: v_dual_mov_b32 v12, 7
	v_mov_b32_e32 v9, 7
	s_mov_b32 s2, exec_lo
	v_cmpx_nle_f32_e64 0x40a00000, |v11|
	s_cbranch_execz .LBB35_41
; %bb.30:
	v_mov_b32_e32 v12, 6
	s_mov_b32 s3, exec_lo
	v_cmpx_nle_f32_e64 0x40600000, |v11|
	s_cbranch_execz .LBB35_40
; %bb.31:
	;; [unrolled: 5-line block ×5, first 2 shown]
	v_mov_b32_e32 v12, 2
	s_mov_b32 s9, exec_lo
	v_cmpx_nle_f32_e64 0x3f400000, |v11|
; %bb.35:
	v_cmp_le_f32_e64 s10, 0x3e800000, |v11|
	s_delay_alu instid0(VALU_DEP_1)
	v_cndmask_b32_e64 v12, 0, 1, s10
; %bb.36:
	s_or_b32 exec_lo, exec_lo, s9
.LBB35_37:
	s_delay_alu instid0(SALU_CYCLE_1)
	s_or_b32 exec_lo, exec_lo, s8
.LBB35_38:
	s_delay_alu instid0(SALU_CYCLE_1)
	s_or_b32 exec_lo, exec_lo, s7
.LBB35_39:
	s_delay_alu instid0(SALU_CYCLE_1)
	s_or_b32 exec_lo, exec_lo, s6
.LBB35_40:
	s_delay_alu instid0(SALU_CYCLE_1)
	s_or_b32 exec_lo, exec_lo, s3
.LBB35_41:
	s_delay_alu instid0(SALU_CYCLE_1) | instskip(SKIP_2) | instid1(VALU_DEP_1)
	s_or_b32 exec_lo, exec_lo, s2
	v_mul_f32_e32 v14, v10, v14
	s_mov_b32 s2, exec_lo
	v_cmpx_nle_f32_e64 0x40a00000, |v14|
	s_cbranch_execz .LBB35_53
; %bb.42:
	v_mov_b32_e32 v9, 6
	s_mov_b32 s3, exec_lo
	v_cmpx_nle_f32_e64 0x40600000, |v14|
	s_cbranch_execz .LBB35_52
; %bb.43:
	v_mov_b32_e32 v9, 5
	;; [unrolled: 5-line block ×5, first 2 shown]
	s_mov_b32 s9, exec_lo
	v_cmpx_nle_f32_e64 0x3f400000, |v14|
; %bb.47:
	v_cmp_le_f32_e64 s10, 0x3e800000, |v14|
	s_delay_alu instid0(VALU_DEP_1)
	v_cndmask_b32_e64 v9, 0, 1, s10
; %bb.48:
	s_or_b32 exec_lo, exec_lo, s9
.LBB35_49:
	s_delay_alu instid0(SALU_CYCLE_1)
	s_or_b32 exec_lo, exec_lo, s8
.LBB35_50:
	s_delay_alu instid0(SALU_CYCLE_1)
	s_or_b32 exec_lo, exec_lo, s7
.LBB35_51:
	s_delay_alu instid0(SALU_CYCLE_1)
	s_or_b32 exec_lo, exec_lo, s6
.LBB35_52:
	s_delay_alu instid0(SALU_CYCLE_1)
	s_or_b32 exec_lo, exec_lo, s3
.LBB35_53:
	s_delay_alu instid0(SALU_CYCLE_1) | instskip(SKIP_3) | instid1(VALU_DEP_2)
	s_or_b32 exec_lo, exec_lo, s2
	v_dual_mul_f32 v18, v10, v16 :: v_dual_mov_b32 v17, 7
	v_mov_b32_e32 v16, 7
	s_mov_b32 s2, exec_lo
	v_cmpx_nle_f32_e64 0x40a00000, |v18|
	s_cbranch_execz .LBB35_65
; %bb.54:
	v_mov_b32_e32 v16, 6
	s_mov_b32 s3, exec_lo
	v_cmpx_nle_f32_e64 0x40600000, |v18|
	s_cbranch_execz .LBB35_64
; %bb.55:
	;; [unrolled: 5-line block ×5, first 2 shown]
	v_mov_b32_e32 v16, 2
	s_mov_b32 s9, exec_lo
	v_cmpx_nle_f32_e64 0x3f400000, |v18|
; %bb.59:
	v_cmp_le_f32_e64 s10, 0x3e800000, |v18|
	s_delay_alu instid0(VALU_DEP_1)
	v_cndmask_b32_e64 v16, 0, 1, s10
; %bb.60:
	s_or_b32 exec_lo, exec_lo, s9
.LBB35_61:
	s_delay_alu instid0(SALU_CYCLE_1)
	s_or_b32 exec_lo, exec_lo, s8
.LBB35_62:
	s_delay_alu instid0(SALU_CYCLE_1)
	s_or_b32 exec_lo, exec_lo, s7
.LBB35_63:
	s_delay_alu instid0(SALU_CYCLE_1)
	s_or_b32 exec_lo, exec_lo, s6
.LBB35_64:
	s_delay_alu instid0(SALU_CYCLE_1)
	s_or_b32 exec_lo, exec_lo, s3
.LBB35_65:
	s_delay_alu instid0(SALU_CYCLE_1) | instskip(SKIP_2) | instid1(VALU_DEP_1)
	s_or_b32 exec_lo, exec_lo, s2
	v_mul_f32_e32 v20, v10, v20
	s_mov_b32 s2, exec_lo
	v_cmpx_nle_f32_e64 0x40a00000, |v20|
	s_cbranch_execz .LBB35_77
; %bb.66:
	v_mov_b32_e32 v17, 6
	s_mov_b32 s3, exec_lo
	v_cmpx_nle_f32_e64 0x40600000, |v20|
	s_cbranch_execz .LBB35_76
; %bb.67:
	v_mov_b32_e32 v17, 5
	;; [unrolled: 5-line block ×5, first 2 shown]
	s_mov_b32 s9, exec_lo
	v_cmpx_nle_f32_e64 0x3f400000, |v20|
; %bb.71:
	v_cmp_le_f32_e64 s10, 0x3e800000, |v20|
	s_delay_alu instid0(VALU_DEP_1)
	v_cndmask_b32_e64 v17, 0, 1, s10
; %bb.72:
	s_or_b32 exec_lo, exec_lo, s9
.LBB35_73:
	s_delay_alu instid0(SALU_CYCLE_1)
	s_or_b32 exec_lo, exec_lo, s8
.LBB35_74:
	s_delay_alu instid0(SALU_CYCLE_1)
	s_or_b32 exec_lo, exec_lo, s7
.LBB35_75:
	s_delay_alu instid0(SALU_CYCLE_1)
	s_or_b32 exec_lo, exec_lo, s6
.LBB35_76:
	s_delay_alu instid0(SALU_CYCLE_1)
	s_or_b32 exec_lo, exec_lo, s3
.LBB35_77:
	s_delay_alu instid0(SALU_CYCLE_1) | instskip(SKIP_3) | instid1(VALU_DEP_2)
	s_or_b32 exec_lo, exec_lo, s2
	v_dual_mul_f32 v24, v10, v22 :: v_dual_mov_b32 v23, 7
	v_mov_b32_e32 v22, 7
	s_mov_b32 s2, exec_lo
	v_cmpx_nle_f32_e64 0x40a00000, |v24|
	s_cbranch_execz .LBB35_89
; %bb.78:
	v_mov_b32_e32 v23, 6
	s_mov_b32 s3, exec_lo
	v_cmpx_nle_f32_e64 0x40600000, |v24|
	s_cbranch_execz .LBB35_88
; %bb.79:
	;; [unrolled: 5-line block ×5, first 2 shown]
	v_mov_b32_e32 v23, 2
	s_mov_b32 s9, exec_lo
	v_cmpx_nle_f32_e64 0x3f400000, |v24|
; %bb.83:
	v_cmp_le_f32_e64 s10, 0x3e800000, |v24|
	s_delay_alu instid0(VALU_DEP_1)
	v_cndmask_b32_e64 v23, 0, 1, s10
; %bb.84:
	s_or_b32 exec_lo, exec_lo, s9
.LBB35_85:
	s_delay_alu instid0(SALU_CYCLE_1)
	s_or_b32 exec_lo, exec_lo, s8
.LBB35_86:
	s_delay_alu instid0(SALU_CYCLE_1)
	s_or_b32 exec_lo, exec_lo, s7
.LBB35_87:
	s_delay_alu instid0(SALU_CYCLE_1)
	s_or_b32 exec_lo, exec_lo, s6
.LBB35_88:
	s_delay_alu instid0(SALU_CYCLE_1)
	s_or_b32 exec_lo, exec_lo, s3
.LBB35_89:
	s_delay_alu instid0(SALU_CYCLE_1) | instskip(SKIP_2) | instid1(VALU_DEP_1)
	s_or_b32 exec_lo, exec_lo, s2
	v_mul_f32_e32 v26, v10, v26
	s_mov_b32 s2, exec_lo
	v_cmpx_nle_f32_e64 0x40a00000, |v26|
	s_cbranch_execz .LBB35_101
; %bb.90:
	v_mov_b32_e32 v22, 6
	s_mov_b32 s3, exec_lo
	v_cmpx_nle_f32_e64 0x40600000, |v26|
	s_cbranch_execz .LBB35_100
; %bb.91:
	v_mov_b32_e32 v22, 5
	;; [unrolled: 5-line block ×5, first 2 shown]
	s_mov_b32 s9, exec_lo
	v_cmpx_nle_f32_e64 0x3f400000, |v26|
; %bb.95:
	v_cmp_le_f32_e64 s10, 0x3e800000, |v26|
	s_delay_alu instid0(VALU_DEP_1)
	v_cndmask_b32_e64 v22, 0, 1, s10
; %bb.96:
	s_or_b32 exec_lo, exec_lo, s9
.LBB35_97:
	s_delay_alu instid0(SALU_CYCLE_1)
	s_or_b32 exec_lo, exec_lo, s8
.LBB35_98:
	s_delay_alu instid0(SALU_CYCLE_1)
	s_or_b32 exec_lo, exec_lo, s7
.LBB35_99:
	s_delay_alu instid0(SALU_CYCLE_1)
	s_or_b32 exec_lo, exec_lo, s6
.LBB35_100:
	s_delay_alu instid0(SALU_CYCLE_1)
	s_or_b32 exec_lo, exec_lo, s3
.LBB35_101:
	s_delay_alu instid0(SALU_CYCLE_1) | instskip(SKIP_3) | instid1(VALU_DEP_2)
	s_or_b32 exec_lo, exec_lo, s2
	v_dual_mul_f32 v30, v10, v28 :: v_dual_mov_b32 v29, 7
	v_mov_b32_e32 v28, 7
	s_mov_b32 s2, exec_lo
	v_cmpx_nle_f32_e64 0x40a00000, |v30|
	s_cbranch_execz .LBB35_113
; %bb.102:
	v_mov_b32_e32 v29, 6
	s_mov_b32 s3, exec_lo
	v_cmpx_nle_f32_e64 0x40600000, |v30|
	s_cbranch_execz .LBB35_112
; %bb.103:
	;; [unrolled: 5-line block ×5, first 2 shown]
	v_mov_b32_e32 v29, 2
	s_mov_b32 s9, exec_lo
	v_cmpx_nle_f32_e64 0x3f400000, |v30|
; %bb.107:
	v_cmp_le_f32_e64 s10, 0x3e800000, |v30|
	s_delay_alu instid0(VALU_DEP_1)
	v_cndmask_b32_e64 v29, 0, 1, s10
; %bb.108:
	s_or_b32 exec_lo, exec_lo, s9
.LBB35_109:
	s_delay_alu instid0(SALU_CYCLE_1)
	s_or_b32 exec_lo, exec_lo, s8
.LBB35_110:
	s_delay_alu instid0(SALU_CYCLE_1)
	s_or_b32 exec_lo, exec_lo, s7
.LBB35_111:
	s_delay_alu instid0(SALU_CYCLE_1)
	s_or_b32 exec_lo, exec_lo, s6
.LBB35_112:
	s_delay_alu instid0(SALU_CYCLE_1)
	s_or_b32 exec_lo, exec_lo, s3
.LBB35_113:
	s_delay_alu instid0(SALU_CYCLE_1) | instskip(SKIP_2) | instid1(VALU_DEP_1)
	s_or_b32 exec_lo, exec_lo, s2
	v_mul_f32_e32 v32, v10, v32
	s_mov_b32 s2, exec_lo
	v_cmpx_nle_f32_e64 0x40a00000, |v32|
	s_cbranch_execz .LBB35_125
; %bb.114:
	v_mov_b32_e32 v28, 6
	s_mov_b32 s3, exec_lo
	v_cmpx_nle_f32_e64 0x40600000, |v32|
	s_cbranch_execz .LBB35_124
; %bb.115:
	v_mov_b32_e32 v28, 5
	;; [unrolled: 5-line block ×5, first 2 shown]
	s_mov_b32 s9, exec_lo
	v_cmpx_nle_f32_e64 0x3f400000, |v32|
; %bb.119:
	v_cmp_le_f32_e64 s10, 0x3e800000, |v32|
	s_delay_alu instid0(VALU_DEP_1)
	v_cndmask_b32_e64 v28, 0, 1, s10
; %bb.120:
	s_or_b32 exec_lo, exec_lo, s9
.LBB35_121:
	s_delay_alu instid0(SALU_CYCLE_1)
	s_or_b32 exec_lo, exec_lo, s8
.LBB35_122:
	s_delay_alu instid0(SALU_CYCLE_1)
	s_or_b32 exec_lo, exec_lo, s7
.LBB35_123:
	s_delay_alu instid0(SALU_CYCLE_1)
	s_or_b32 exec_lo, exec_lo, s6
.LBB35_124:
	s_delay_alu instid0(SALU_CYCLE_1)
	s_or_b32 exec_lo, exec_lo, s3
.LBB35_125:
	s_delay_alu instid0(SALU_CYCLE_1) | instskip(SKIP_3) | instid1(VALU_DEP_2)
	s_or_b32 exec_lo, exec_lo, s2
	v_dual_mul_f32 v37, v10, v34 :: v_dual_mov_b32 v34, 7
	v_mov_b32_e32 v35, 7
	s_mov_b32 s2, exec_lo
	v_cmpx_nle_f32_e64 0x40a00000, |v37|
	s_cbranch_execz .LBB35_137
; %bb.126:
	v_mov_b32_e32 v35, 6
	s_mov_b32 s3, exec_lo
	v_cmpx_nle_f32_e64 0x40600000, |v37|
	s_cbranch_execz .LBB35_136
; %bb.127:
	;; [unrolled: 5-line block ×5, first 2 shown]
	v_mov_b32_e32 v35, 2
	s_mov_b32 s9, exec_lo
	v_cmpx_nle_f32_e64 0x3f400000, |v37|
; %bb.131:
	v_cmp_le_f32_e64 s10, 0x3e800000, |v37|
	s_delay_alu instid0(VALU_DEP_1)
	v_cndmask_b32_e64 v35, 0, 1, s10
; %bb.132:
	s_or_b32 exec_lo, exec_lo, s9
.LBB35_133:
	s_delay_alu instid0(SALU_CYCLE_1)
	s_or_b32 exec_lo, exec_lo, s8
.LBB35_134:
	s_delay_alu instid0(SALU_CYCLE_1)
	s_or_b32 exec_lo, exec_lo, s7
.LBB35_135:
	s_delay_alu instid0(SALU_CYCLE_1)
	s_or_b32 exec_lo, exec_lo, s6
.LBB35_136:
	s_delay_alu instid0(SALU_CYCLE_1)
	s_or_b32 exec_lo, exec_lo, s3
.LBB35_137:
	s_delay_alu instid0(SALU_CYCLE_1) | instskip(SKIP_2) | instid1(VALU_DEP_1)
	s_or_b32 exec_lo, exec_lo, s2
	v_mul_f32_e32 v38, v10, v38
	s_mov_b32 s2, exec_lo
	v_cmpx_nle_f32_e64 0x40a00000, |v38|
	s_cbranch_execz .LBB35_149
; %bb.138:
	v_mov_b32_e32 v34, 6
	s_mov_b32 s3, exec_lo
	v_cmpx_nle_f32_e64 0x40600000, |v38|
	s_cbranch_execz .LBB35_148
; %bb.139:
	v_mov_b32_e32 v34, 5
	;; [unrolled: 5-line block ×5, first 2 shown]
	s_mov_b32 s9, exec_lo
	v_cmpx_nle_f32_e64 0x3f400000, |v38|
; %bb.143:
	v_cmp_le_f32_e64 s10, 0x3e800000, |v38|
	s_delay_alu instid0(VALU_DEP_1)
	v_cndmask_b32_e64 v34, 0, 1, s10
; %bb.144:
	s_or_b32 exec_lo, exec_lo, s9
.LBB35_145:
	s_delay_alu instid0(SALU_CYCLE_1)
	s_or_b32 exec_lo, exec_lo, s8
.LBB35_146:
	s_delay_alu instid0(SALU_CYCLE_1)
	s_or_b32 exec_lo, exec_lo, s7
.LBB35_147:
	s_delay_alu instid0(SALU_CYCLE_1)
	s_or_b32 exec_lo, exec_lo, s6
.LBB35_148:
	s_delay_alu instid0(SALU_CYCLE_1)
	s_or_b32 exec_lo, exec_lo, s3
.LBB35_149:
	s_delay_alu instid0(SALU_CYCLE_1) | instskip(SKIP_3) | instid1(VALU_DEP_2)
	s_or_b32 exec_lo, exec_lo, s2
	v_dual_mul_f32 v43, v10, v40 :: v_dual_mov_b32 v40, 7
	v_mov_b32_e32 v44, 7
	s_mov_b32 s2, exec_lo
	v_cmpx_nle_f32_e64 0x40a00000, |v43|
	s_cbranch_execz .LBB35_161
; %bb.150:
	v_mov_b32_e32 v44, 6
	s_mov_b32 s3, exec_lo
	v_cmpx_nle_f32_e64 0x40600000, |v43|
	s_cbranch_execz .LBB35_160
; %bb.151:
	;; [unrolled: 5-line block ×5, first 2 shown]
	v_mov_b32_e32 v44, 2
	s_mov_b32 s9, exec_lo
	v_cmpx_nle_f32_e64 0x3f400000, |v43|
; %bb.155:
	v_cmp_le_f32_e64 s10, 0x3e800000, |v43|
	s_delay_alu instid0(VALU_DEP_1)
	v_cndmask_b32_e64 v44, 0, 1, s10
; %bb.156:
	s_or_b32 exec_lo, exec_lo, s9
.LBB35_157:
	s_delay_alu instid0(SALU_CYCLE_1)
	s_or_b32 exec_lo, exec_lo, s8
.LBB35_158:
	s_delay_alu instid0(SALU_CYCLE_1)
	s_or_b32 exec_lo, exec_lo, s7
.LBB35_159:
	s_delay_alu instid0(SALU_CYCLE_1)
	s_or_b32 exec_lo, exec_lo, s6
.LBB35_160:
	s_delay_alu instid0(SALU_CYCLE_1)
	s_or_b32 exec_lo, exec_lo, s3
.LBB35_161:
	s_delay_alu instid0(SALU_CYCLE_1) | instskip(SKIP_2) | instid1(VALU_DEP_1)
	s_or_b32 exec_lo, exec_lo, s2
	v_mul_f32_e32 v41, v10, v41
	s_mov_b32 s2, exec_lo
	v_cmpx_nle_f32_e64 0x40a00000, |v41|
	s_cbranch_execz .LBB35_173
; %bb.162:
	v_mov_b32_e32 v40, 6
	s_mov_b32 s3, exec_lo
	v_cmpx_nle_f32_e64 0x40600000, |v41|
	s_cbranch_execz .LBB35_172
; %bb.163:
	v_mov_b32_e32 v40, 5
	;; [unrolled: 5-line block ×5, first 2 shown]
	s_mov_b32 s9, exec_lo
	v_cmpx_nle_f32_e64 0x3f400000, |v41|
; %bb.167:
	v_cmp_le_f32_e64 s10, 0x3e800000, |v41|
	s_delay_alu instid0(VALU_DEP_1)
	v_cndmask_b32_e64 v40, 0, 1, s10
; %bb.168:
	s_or_b32 exec_lo, exec_lo, s9
.LBB35_169:
	s_delay_alu instid0(SALU_CYCLE_1)
	s_or_b32 exec_lo, exec_lo, s8
.LBB35_170:
	s_delay_alu instid0(SALU_CYCLE_1)
	s_or_b32 exec_lo, exec_lo, s7
.LBB35_171:
	s_delay_alu instid0(SALU_CYCLE_1)
	s_or_b32 exec_lo, exec_lo, s6
.LBB35_172:
	s_delay_alu instid0(SALU_CYCLE_1)
	s_or_b32 exec_lo, exec_lo, s3
.LBB35_173:
	s_delay_alu instid0(SALU_CYCLE_1) | instskip(SKIP_3) | instid1(VALU_DEP_2)
	s_or_b32 exec_lo, exec_lo, s2
	v_dual_mul_f32 v50, v10, v45 :: v_dual_mov_b32 v45, 7
	v_mov_b32_e32 v49, 7
	s_mov_b32 s2, exec_lo
	v_cmpx_nle_f32_e64 0x40a00000, |v50|
	s_cbranch_execz .LBB35_185
; %bb.174:
	v_mov_b32_e32 v49, 6
	s_mov_b32 s3, exec_lo
	v_cmpx_nle_f32_e64 0x40600000, |v50|
	s_cbranch_execz .LBB35_184
; %bb.175:
	;; [unrolled: 5-line block ×5, first 2 shown]
	v_mov_b32_e32 v49, 2
	s_mov_b32 s9, exec_lo
	v_cmpx_nle_f32_e64 0x3f400000, |v50|
; %bb.179:
	v_cmp_le_f32_e64 s10, 0x3e800000, |v50|
	s_delay_alu instid0(VALU_DEP_1)
	v_cndmask_b32_e64 v49, 0, 1, s10
; %bb.180:
	s_or_b32 exec_lo, exec_lo, s9
.LBB35_181:
	s_delay_alu instid0(SALU_CYCLE_1)
	s_or_b32 exec_lo, exec_lo, s8
.LBB35_182:
	s_delay_alu instid0(SALU_CYCLE_1)
	s_or_b32 exec_lo, exec_lo, s7
.LBB35_183:
	s_delay_alu instid0(SALU_CYCLE_1)
	s_or_b32 exec_lo, exec_lo, s6
.LBB35_184:
	s_delay_alu instid0(SALU_CYCLE_1)
	s_or_b32 exec_lo, exec_lo, s3
.LBB35_185:
	s_delay_alu instid0(SALU_CYCLE_1) | instskip(SKIP_2) | instid1(VALU_DEP_1)
	s_or_b32 exec_lo, exec_lo, s2
	v_mul_f32_e32 v47, v10, v47
	s_mov_b32 s2, exec_lo
	v_cmpx_nle_f32_e64 0x40a00000, |v47|
	s_cbranch_execz .LBB35_197
; %bb.186:
	v_mov_b32_e32 v45, 6
	s_mov_b32 s3, exec_lo
	v_cmpx_nle_f32_e64 0x40600000, |v47|
	s_cbranch_execz .LBB35_196
; %bb.187:
	v_mov_b32_e32 v45, 5
	;; [unrolled: 5-line block ×5, first 2 shown]
	s_mov_b32 s9, exec_lo
	v_cmpx_nle_f32_e64 0x3f400000, |v47|
; %bb.191:
	v_cmp_le_f32_e64 s10, 0x3e800000, |v47|
	s_delay_alu instid0(VALU_DEP_1)
	v_cndmask_b32_e64 v45, 0, 1, s10
; %bb.192:
	s_or_b32 exec_lo, exec_lo, s9
.LBB35_193:
	s_delay_alu instid0(SALU_CYCLE_1)
	s_or_b32 exec_lo, exec_lo, s8
.LBB35_194:
	s_delay_alu instid0(SALU_CYCLE_1)
	s_or_b32 exec_lo, exec_lo, s7
.LBB35_195:
	s_delay_alu instid0(SALU_CYCLE_1)
	s_or_b32 exec_lo, exec_lo, s6
.LBB35_196:
	s_delay_alu instid0(SALU_CYCLE_1)
	s_or_b32 exec_lo, exec_lo, s3
.LBB35_197:
	s_delay_alu instid0(SALU_CYCLE_1) | instskip(SKIP_3) | instid1(VALU_DEP_2)
	s_or_b32 exec_lo, exec_lo, s2
	v_dual_mul_f32 v54, v10, v51 :: v_dual_mov_b32 v51, 7
	v_mov_b32_e32 v53, 7
	s_mov_b32 s2, exec_lo
	v_cmpx_nle_f32_e64 0x40a00000, |v54|
	s_cbranch_execz .LBB35_209
; %bb.198:
	v_mov_b32_e32 v53, 6
	s_mov_b32 s3, exec_lo
	v_cmpx_nle_f32_e64 0x40600000, |v54|
	s_cbranch_execz .LBB35_208
; %bb.199:
	;; [unrolled: 5-line block ×5, first 2 shown]
	v_mov_b32_e32 v53, 2
	s_mov_b32 s9, exec_lo
	v_cmpx_nle_f32_e64 0x3f400000, |v54|
; %bb.203:
	v_cmp_le_f32_e64 s10, 0x3e800000, |v54|
	s_delay_alu instid0(VALU_DEP_1)
	v_cndmask_b32_e64 v53, 0, 1, s10
; %bb.204:
	s_or_b32 exec_lo, exec_lo, s9
.LBB35_205:
	s_delay_alu instid0(SALU_CYCLE_1)
	s_or_b32 exec_lo, exec_lo, s8
.LBB35_206:
	s_delay_alu instid0(SALU_CYCLE_1)
	s_or_b32 exec_lo, exec_lo, s7
.LBB35_207:
	s_delay_alu instid0(SALU_CYCLE_1)
	s_or_b32 exec_lo, exec_lo, s6
.LBB35_208:
	s_delay_alu instid0(SALU_CYCLE_1)
	s_or_b32 exec_lo, exec_lo, s3
.LBB35_209:
	s_delay_alu instid0(SALU_CYCLE_1) | instskip(SKIP_2) | instid1(VALU_DEP_1)
	s_or_b32 exec_lo, exec_lo, s2
	v_mul_f32_e32 v52, v10, v52
	s_mov_b32 s2, exec_lo
	v_cmpx_nle_f32_e64 0x40a00000, |v52|
	s_cbranch_execz .LBB35_221
; %bb.210:
	v_mov_b32_e32 v51, 6
	s_mov_b32 s3, exec_lo
	v_cmpx_nle_f32_e64 0x40600000, |v52|
	s_cbranch_execz .LBB35_220
; %bb.211:
	v_mov_b32_e32 v51, 5
	;; [unrolled: 5-line block ×5, first 2 shown]
	s_mov_b32 s9, exec_lo
	v_cmpx_nle_f32_e64 0x3f400000, |v52|
; %bb.215:
	v_cmp_le_f32_e64 s10, 0x3e800000, |v52|
	s_delay_alu instid0(VALU_DEP_1)
	v_cndmask_b32_e64 v51, 0, 1, s10
; %bb.216:
	s_or_b32 exec_lo, exec_lo, s9
.LBB35_217:
	s_delay_alu instid0(SALU_CYCLE_1)
	s_or_b32 exec_lo, exec_lo, s8
.LBB35_218:
	s_delay_alu instid0(SALU_CYCLE_1)
	s_or_b32 exec_lo, exec_lo, s7
.LBB35_219:
	s_delay_alu instid0(SALU_CYCLE_1)
	s_or_b32 exec_lo, exec_lo, s6
.LBB35_220:
	s_delay_alu instid0(SALU_CYCLE_1)
	s_or_b32 exec_lo, exec_lo, s3
.LBB35_221:
	s_delay_alu instid0(SALU_CYCLE_1) | instskip(SKIP_3) | instid1(VALU_DEP_2)
	s_or_b32 exec_lo, exec_lo, s2
	v_dual_mul_f32 v56, v10, v48 :: v_dual_mov_b32 v55, 7
	v_mov_b32_e32 v48, 7
	s_mov_b32 s2, exec_lo
	v_cmpx_nle_f32_e64 0x40a00000, |v56|
	s_cbranch_execz .LBB35_233
; %bb.222:
	v_mov_b32_e32 v55, 6
	s_mov_b32 s3, exec_lo
	v_cmpx_nle_f32_e64 0x40600000, |v56|
	s_cbranch_execz .LBB35_232
; %bb.223:
	;; [unrolled: 5-line block ×5, first 2 shown]
	v_mov_b32_e32 v55, 2
	s_mov_b32 s9, exec_lo
	v_cmpx_nle_f32_e64 0x3f400000, |v56|
; %bb.227:
	v_cmp_le_f32_e64 s10, 0x3e800000, |v56|
	s_delay_alu instid0(VALU_DEP_1)
	v_cndmask_b32_e64 v55, 0, 1, s10
; %bb.228:
	s_or_b32 exec_lo, exec_lo, s9
.LBB35_229:
	s_delay_alu instid0(SALU_CYCLE_1)
	s_or_b32 exec_lo, exec_lo, s8
.LBB35_230:
	s_delay_alu instid0(SALU_CYCLE_1)
	s_or_b32 exec_lo, exec_lo, s7
.LBB35_231:
	s_delay_alu instid0(SALU_CYCLE_1)
	s_or_b32 exec_lo, exec_lo, s6
.LBB35_232:
	s_delay_alu instid0(SALU_CYCLE_1)
	s_or_b32 exec_lo, exec_lo, s3
.LBB35_233:
	s_delay_alu instid0(SALU_CYCLE_1) | instskip(SKIP_2) | instid1(VALU_DEP_1)
	s_or_b32 exec_lo, exec_lo, s2
	v_mul_f32_e32 v46, v10, v46
	s_mov_b32 s2, exec_lo
	v_cmpx_nle_f32_e64 0x40a00000, |v46|
	s_cbranch_execz .LBB35_245
; %bb.234:
	v_mov_b32_e32 v48, 6
	s_mov_b32 s3, exec_lo
	v_cmpx_nle_f32_e64 0x40600000, |v46|
	s_cbranch_execz .LBB35_244
; %bb.235:
	v_mov_b32_e32 v48, 5
	;; [unrolled: 5-line block ×5, first 2 shown]
	s_mov_b32 s9, exec_lo
	v_cmpx_nle_f32_e64 0x3f400000, |v46|
; %bb.239:
	v_cmp_le_f32_e64 s10, 0x3e800000, |v46|
	s_delay_alu instid0(VALU_DEP_1)
	v_cndmask_b32_e64 v48, 0, 1, s10
; %bb.240:
	s_or_b32 exec_lo, exec_lo, s9
.LBB35_241:
	s_delay_alu instid0(SALU_CYCLE_1)
	s_or_b32 exec_lo, exec_lo, s8
.LBB35_242:
	s_delay_alu instid0(SALU_CYCLE_1)
	s_or_b32 exec_lo, exec_lo, s7
.LBB35_243:
	s_delay_alu instid0(SALU_CYCLE_1)
	s_or_b32 exec_lo, exec_lo, s6
.LBB35_244:
	s_delay_alu instid0(SALU_CYCLE_1)
	s_or_b32 exec_lo, exec_lo, s3
.LBB35_245:
	s_delay_alu instid0(SALU_CYCLE_1) | instskip(SKIP_3) | instid1(VALU_DEP_2)
	s_or_b32 exec_lo, exec_lo, s2
	v_dual_mul_f32 v58, v10, v42 :: v_dual_mov_b32 v57, 7
	v_mov_b32_e32 v42, 7
	s_mov_b32 s2, exec_lo
	v_cmpx_nle_f32_e64 0x40a00000, |v58|
	s_cbranch_execz .LBB35_257
; %bb.246:
	v_mov_b32_e32 v57, 6
	s_mov_b32 s3, exec_lo
	v_cmpx_nle_f32_e64 0x40600000, |v58|
	s_cbranch_execz .LBB35_256
; %bb.247:
	v_mov_b32_e32 v57, 5
	s_mov_b32 s6, exec_lo
	v_cmpx_nle_f32_e64 0x40200000, |v58|
	s_cbranch_execz .LBB35_255
; %bb.248:
	v_mov_b32_e32 v57, 4
	s_mov_b32 s7, exec_lo
	v_cmpx_nle_f32_e64 0x3fe00000, |v58|
	s_cbranch_execz .LBB35_254
; %bb.249:
	v_mov_b32_e32 v57, 3
	s_mov_b32 s8, exec_lo
	v_cmpx_nle_f32_e64 0x3fa00000, |v58|
	s_cbranch_execz .LBB35_253
; %bb.250:
	v_mov_b32_e32 v57, 2
	s_mov_b32 s9, exec_lo
	v_cmpx_nle_f32_e64 0x3f400000, |v58|
; %bb.251:
	v_cmp_le_f32_e64 s10, 0x3e800000, |v58|
	s_delay_alu instid0(VALU_DEP_1)
	v_cndmask_b32_e64 v57, 0, 1, s10
; %bb.252:
	s_or_b32 exec_lo, exec_lo, s9
.LBB35_253:
	s_delay_alu instid0(SALU_CYCLE_1)
	s_or_b32 exec_lo, exec_lo, s8
.LBB35_254:
	s_delay_alu instid0(SALU_CYCLE_1)
	s_or_b32 exec_lo, exec_lo, s7
.LBB35_255:
	s_delay_alu instid0(SALU_CYCLE_1)
	s_or_b32 exec_lo, exec_lo, s6
.LBB35_256:
	s_delay_alu instid0(SALU_CYCLE_1)
	s_or_b32 exec_lo, exec_lo, s3
.LBB35_257:
	s_delay_alu instid0(SALU_CYCLE_1) | instskip(SKIP_2) | instid1(VALU_DEP_1)
	s_or_b32 exec_lo, exec_lo, s2
	v_mul_f32_e32 v39, v10, v39
	s_mov_b32 s2, exec_lo
	v_cmpx_nle_f32_e64 0x40a00000, |v39|
	s_cbranch_execz .LBB35_269
; %bb.258:
	v_mov_b32_e32 v42, 6
	s_mov_b32 s3, exec_lo
	v_cmpx_nle_f32_e64 0x40600000, |v39|
	s_cbranch_execz .LBB35_268
; %bb.259:
	v_mov_b32_e32 v42, 5
	s_mov_b32 s6, exec_lo
	v_cmpx_nle_f32_e64 0x40200000, |v39|
	s_cbranch_execz .LBB35_267
; %bb.260:
	v_mov_b32_e32 v42, 4
	s_mov_b32 s7, exec_lo
	v_cmpx_nle_f32_e64 0x3fe00000, |v39|
	s_cbranch_execz .LBB35_266
; %bb.261:
	v_mov_b32_e32 v42, 3
	s_mov_b32 s8, exec_lo
	v_cmpx_nle_f32_e64 0x3fa00000, |v39|
	s_cbranch_execz .LBB35_265
; %bb.262:
	v_mov_b32_e32 v42, 2
	s_mov_b32 s9, exec_lo
	v_cmpx_nle_f32_e64 0x3f400000, |v39|
; %bb.263:
	v_cmp_le_f32_e64 s10, 0x3e800000, |v39|
	s_delay_alu instid0(VALU_DEP_1)
	v_cndmask_b32_e64 v42, 0, 1, s10
; %bb.264:
	s_or_b32 exec_lo, exec_lo, s9
.LBB35_265:
	s_delay_alu instid0(SALU_CYCLE_1)
	s_or_b32 exec_lo, exec_lo, s8
.LBB35_266:
	s_delay_alu instid0(SALU_CYCLE_1)
	s_or_b32 exec_lo, exec_lo, s7
.LBB35_267:
	s_delay_alu instid0(SALU_CYCLE_1)
	s_or_b32 exec_lo, exec_lo, s6
.LBB35_268:
	s_delay_alu instid0(SALU_CYCLE_1)
	s_or_b32 exec_lo, exec_lo, s3
.LBB35_269:
	s_delay_alu instid0(SALU_CYCLE_1) | instskip(SKIP_3) | instid1(VALU_DEP_2)
	s_or_b32 exec_lo, exec_lo, s2
	v_dual_mul_f32 v59, v10, v36 :: v_dual_mov_b32 v36, 7
	v_mov_b32_e32 v60, 7
	s_mov_b32 s2, exec_lo
	v_cmpx_nle_f32_e64 0x40a00000, |v59|
	s_cbranch_execz .LBB35_281
; %bb.270:
	v_mov_b32_e32 v60, 6
	s_mov_b32 s3, exec_lo
	v_cmpx_nle_f32_e64 0x40600000, |v59|
	s_cbranch_execz .LBB35_280
; %bb.271:
	;; [unrolled: 5-line block ×5, first 2 shown]
	v_mov_b32_e32 v60, 2
	s_mov_b32 s9, exec_lo
	v_cmpx_nle_f32_e64 0x3f400000, |v59|
; %bb.275:
	v_cmp_le_f32_e64 s10, 0x3e800000, |v59|
	s_delay_alu instid0(VALU_DEP_1)
	v_cndmask_b32_e64 v60, 0, 1, s10
; %bb.276:
	s_or_b32 exec_lo, exec_lo, s9
.LBB35_277:
	s_delay_alu instid0(SALU_CYCLE_1)
	s_or_b32 exec_lo, exec_lo, s8
.LBB35_278:
	s_delay_alu instid0(SALU_CYCLE_1)
	s_or_b32 exec_lo, exec_lo, s7
.LBB35_279:
	s_delay_alu instid0(SALU_CYCLE_1)
	s_or_b32 exec_lo, exec_lo, s6
.LBB35_280:
	s_delay_alu instid0(SALU_CYCLE_1)
	s_or_b32 exec_lo, exec_lo, s3
.LBB35_281:
	s_delay_alu instid0(SALU_CYCLE_1) | instskip(SKIP_2) | instid1(VALU_DEP_1)
	s_or_b32 exec_lo, exec_lo, s2
	v_mul_f32_e32 v33, v10, v33
	s_mov_b32 s2, exec_lo
	v_cmpx_nle_f32_e64 0x40a00000, |v33|
	s_cbranch_execz .LBB35_293
; %bb.282:
	v_mov_b32_e32 v36, 6
	s_mov_b32 s3, exec_lo
	v_cmpx_nle_f32_e64 0x40600000, |v33|
	s_cbranch_execz .LBB35_292
; %bb.283:
	v_mov_b32_e32 v36, 5
	;; [unrolled: 5-line block ×5, first 2 shown]
	s_mov_b32 s9, exec_lo
	v_cmpx_nle_f32_e64 0x3f400000, |v33|
; %bb.287:
	v_cmp_le_f32_e64 s10, 0x3e800000, |v33|
	s_delay_alu instid0(VALU_DEP_1)
	v_cndmask_b32_e64 v36, 0, 1, s10
; %bb.288:
	s_or_b32 exec_lo, exec_lo, s9
.LBB35_289:
	s_delay_alu instid0(SALU_CYCLE_1)
	s_or_b32 exec_lo, exec_lo, s8
.LBB35_290:
	s_delay_alu instid0(SALU_CYCLE_1)
	s_or_b32 exec_lo, exec_lo, s7
.LBB35_291:
	s_delay_alu instid0(SALU_CYCLE_1)
	s_or_b32 exec_lo, exec_lo, s6
.LBB35_292:
	s_delay_alu instid0(SALU_CYCLE_1)
	s_or_b32 exec_lo, exec_lo, s3
.LBB35_293:
	s_delay_alu instid0(SALU_CYCLE_1) | instskip(SKIP_3) | instid1(VALU_DEP_2)
	s_or_b32 exec_lo, exec_lo, s2
	v_dual_mul_f32 v62, v10, v31 :: v_dual_mov_b32 v31, 7
	v_mov_b32_e32 v61, 7
	s_mov_b32 s2, exec_lo
	v_cmpx_nle_f32_e64 0x40a00000, |v62|
	s_cbranch_execz .LBB35_305
; %bb.294:
	v_mov_b32_e32 v61, 6
	s_mov_b32 s3, exec_lo
	v_cmpx_nle_f32_e64 0x40600000, |v62|
	s_cbranch_execz .LBB35_304
; %bb.295:
	;; [unrolled: 5-line block ×5, first 2 shown]
	v_mov_b32_e32 v61, 2
	s_mov_b32 s9, exec_lo
	v_cmpx_nle_f32_e64 0x3f400000, |v62|
; %bb.299:
	v_cmp_le_f32_e64 s10, 0x3e800000, |v62|
	s_delay_alu instid0(VALU_DEP_1)
	v_cndmask_b32_e64 v61, 0, 1, s10
; %bb.300:
	s_or_b32 exec_lo, exec_lo, s9
.LBB35_301:
	s_delay_alu instid0(SALU_CYCLE_1)
	s_or_b32 exec_lo, exec_lo, s8
.LBB35_302:
	s_delay_alu instid0(SALU_CYCLE_1)
	s_or_b32 exec_lo, exec_lo, s7
.LBB35_303:
	s_delay_alu instid0(SALU_CYCLE_1)
	s_or_b32 exec_lo, exec_lo, s6
.LBB35_304:
	s_delay_alu instid0(SALU_CYCLE_1)
	s_or_b32 exec_lo, exec_lo, s3
.LBB35_305:
	s_delay_alu instid0(SALU_CYCLE_1) | instskip(SKIP_2) | instid1(VALU_DEP_1)
	s_or_b32 exec_lo, exec_lo, s2
	v_mul_f32_e32 v27, v10, v27
	s_mov_b32 s2, exec_lo
	v_cmpx_nle_f32_e64 0x40a00000, |v27|
	s_cbranch_execz .LBB35_317
; %bb.306:
	v_mov_b32_e32 v31, 6
	s_mov_b32 s3, exec_lo
	v_cmpx_nle_f32_e64 0x40600000, |v27|
	s_cbranch_execz .LBB35_316
; %bb.307:
	v_mov_b32_e32 v31, 5
	;; [unrolled: 5-line block ×5, first 2 shown]
	s_mov_b32 s9, exec_lo
	v_cmpx_nle_f32_e64 0x3f400000, |v27|
; %bb.311:
	v_cmp_le_f32_e64 s10, 0x3e800000, |v27|
	s_delay_alu instid0(VALU_DEP_1)
	v_cndmask_b32_e64 v31, 0, 1, s10
; %bb.312:
	s_or_b32 exec_lo, exec_lo, s9
.LBB35_313:
	s_delay_alu instid0(SALU_CYCLE_1)
	s_or_b32 exec_lo, exec_lo, s8
.LBB35_314:
	s_delay_alu instid0(SALU_CYCLE_1)
	s_or_b32 exec_lo, exec_lo, s7
.LBB35_315:
	s_delay_alu instid0(SALU_CYCLE_1)
	s_or_b32 exec_lo, exec_lo, s6
.LBB35_316:
	s_delay_alu instid0(SALU_CYCLE_1)
	s_or_b32 exec_lo, exec_lo, s3
.LBB35_317:
	s_delay_alu instid0(SALU_CYCLE_1) | instskip(SKIP_3) | instid1(VALU_DEP_2)
	s_or_b32 exec_lo, exec_lo, s2
	v_dual_mul_f32 v64, v10, v25 :: v_dual_mov_b32 v25, 7
	v_mov_b32_e32 v63, 7
	s_mov_b32 s2, exec_lo
	v_cmpx_nle_f32_e64 0x40a00000, |v64|
	s_cbranch_execz .LBB35_329
; %bb.318:
	v_mov_b32_e32 v63, 6
	s_mov_b32 s3, exec_lo
	v_cmpx_nle_f32_e64 0x40600000, |v64|
	s_cbranch_execz .LBB35_328
; %bb.319:
	;; [unrolled: 5-line block ×5, first 2 shown]
	v_mov_b32_e32 v63, 2
	s_mov_b32 s9, exec_lo
	v_cmpx_nle_f32_e64 0x3f400000, |v64|
; %bb.323:
	v_cmp_le_f32_e64 s10, 0x3e800000, |v64|
	s_delay_alu instid0(VALU_DEP_1)
	v_cndmask_b32_e64 v63, 0, 1, s10
; %bb.324:
	s_or_b32 exec_lo, exec_lo, s9
.LBB35_325:
	s_delay_alu instid0(SALU_CYCLE_1)
	s_or_b32 exec_lo, exec_lo, s8
.LBB35_326:
	s_delay_alu instid0(SALU_CYCLE_1)
	s_or_b32 exec_lo, exec_lo, s7
.LBB35_327:
	s_delay_alu instid0(SALU_CYCLE_1)
	s_or_b32 exec_lo, exec_lo, s6
.LBB35_328:
	s_delay_alu instid0(SALU_CYCLE_1)
	s_or_b32 exec_lo, exec_lo, s3
.LBB35_329:
	s_delay_alu instid0(SALU_CYCLE_1) | instskip(SKIP_2) | instid1(VALU_DEP_1)
	s_or_b32 exec_lo, exec_lo, s2
	v_mul_f32_e32 v21, v10, v21
	s_mov_b32 s2, exec_lo
	v_cmpx_nle_f32_e64 0x40a00000, |v21|
	s_cbranch_execz .LBB35_341
; %bb.330:
	v_mov_b32_e32 v25, 6
	s_mov_b32 s3, exec_lo
	v_cmpx_nle_f32_e64 0x40600000, |v21|
	s_cbranch_execz .LBB35_340
; %bb.331:
	v_mov_b32_e32 v25, 5
	;; [unrolled: 5-line block ×5, first 2 shown]
	s_mov_b32 s9, exec_lo
	v_cmpx_nle_f32_e64 0x3f400000, |v21|
; %bb.335:
	v_cmp_le_f32_e64 s10, 0x3e800000, |v21|
	s_delay_alu instid0(VALU_DEP_1)
	v_cndmask_b32_e64 v25, 0, 1, s10
; %bb.336:
	s_or_b32 exec_lo, exec_lo, s9
.LBB35_337:
	s_delay_alu instid0(SALU_CYCLE_1)
	s_or_b32 exec_lo, exec_lo, s8
.LBB35_338:
	s_delay_alu instid0(SALU_CYCLE_1)
	s_or_b32 exec_lo, exec_lo, s7
.LBB35_339:
	s_delay_alu instid0(SALU_CYCLE_1)
	s_or_b32 exec_lo, exec_lo, s6
.LBB35_340:
	s_delay_alu instid0(SALU_CYCLE_1)
	s_or_b32 exec_lo, exec_lo, s3
.LBB35_341:
	s_delay_alu instid0(SALU_CYCLE_1) | instskip(SKIP_3) | instid1(VALU_DEP_2)
	s_or_b32 exec_lo, exec_lo, s2
	v_dual_mul_f32 v65, v10, v19 :: v_dual_mov_b32 v66, 7
	v_mov_b32_e32 v19, 7
	s_mov_b32 s2, exec_lo
	v_cmpx_nle_f32_e64 0x40a00000, |v65|
	s_cbranch_execz .LBB35_353
; %bb.342:
	v_mov_b32_e32 v66, 6
	s_mov_b32 s3, exec_lo
	v_cmpx_nle_f32_e64 0x40600000, |v65|
	s_cbranch_execz .LBB35_352
; %bb.343:
	;; [unrolled: 5-line block ×5, first 2 shown]
	v_mov_b32_e32 v66, 2
	s_mov_b32 s9, exec_lo
	v_cmpx_nle_f32_e64 0x3f400000, |v65|
; %bb.347:
	v_cmp_le_f32_e64 s10, 0x3e800000, |v65|
	s_delay_alu instid0(VALU_DEP_1)
	v_cndmask_b32_e64 v66, 0, 1, s10
; %bb.348:
	s_or_b32 exec_lo, exec_lo, s9
.LBB35_349:
	s_delay_alu instid0(SALU_CYCLE_1)
	s_or_b32 exec_lo, exec_lo, s8
.LBB35_350:
	s_delay_alu instid0(SALU_CYCLE_1)
	s_or_b32 exec_lo, exec_lo, s7
.LBB35_351:
	s_delay_alu instid0(SALU_CYCLE_1)
	s_or_b32 exec_lo, exec_lo, s6
.LBB35_352:
	s_delay_alu instid0(SALU_CYCLE_1)
	s_or_b32 exec_lo, exec_lo, s3
.LBB35_353:
	s_delay_alu instid0(SALU_CYCLE_1) | instskip(SKIP_2) | instid1(VALU_DEP_1)
	s_or_b32 exec_lo, exec_lo, s2
	v_mul_f32_e32 v15, v10, v15
	s_mov_b32 s2, exec_lo
	v_cmpx_nle_f32_e64 0x40a00000, |v15|
	s_cbranch_execz .LBB35_365
; %bb.354:
	v_mov_b32_e32 v19, 6
	s_mov_b32 s3, exec_lo
	v_cmpx_nle_f32_e64 0x40600000, |v15|
	s_cbranch_execz .LBB35_364
; %bb.355:
	v_mov_b32_e32 v19, 5
	;; [unrolled: 5-line block ×5, first 2 shown]
	s_mov_b32 s9, exec_lo
	v_cmpx_nle_f32_e64 0x3f400000, |v15|
; %bb.359:
	v_cmp_le_f32_e64 s10, 0x3e800000, |v15|
	s_delay_alu instid0(VALU_DEP_1)
	v_cndmask_b32_e64 v19, 0, 1, s10
; %bb.360:
	s_or_b32 exec_lo, exec_lo, s9
.LBB35_361:
	s_delay_alu instid0(SALU_CYCLE_1)
	s_or_b32 exec_lo, exec_lo, s8
.LBB35_362:
	s_delay_alu instid0(SALU_CYCLE_1)
	s_or_b32 exec_lo, exec_lo, s7
.LBB35_363:
	s_delay_alu instid0(SALU_CYCLE_1)
	s_or_b32 exec_lo, exec_lo, s6
.LBB35_364:
	s_delay_alu instid0(SALU_CYCLE_1)
	s_or_b32 exec_lo, exec_lo, s3
.LBB35_365:
	s_delay_alu instid0(SALU_CYCLE_1) | instskip(SKIP_4) | instid1(VALU_DEP_2)
	s_or_b32 exec_lo, exec_lo, s2
	s_load_b64 s[2:3], s[0:1], 0x10
	v_dual_mul_f32 v68, v10, v13 :: v_dual_mov_b32 v13, 7
	v_mov_b32_e32 v67, 7
	s_mov_b32 s6, exec_lo
	v_cmpx_nle_f32_e64 0x40a00000, |v68|
	s_cbranch_execz .LBB35_377
; %bb.366:
	v_mov_b32_e32 v67, 6
	s_mov_b32 s7, exec_lo
	v_cmpx_nle_f32_e64 0x40600000, |v68|
	s_cbranch_execz .LBB35_376
; %bb.367:
	;; [unrolled: 5-line block ×5, first 2 shown]
	v_mov_b32_e32 v67, 2
	s_mov_b32 s11, exec_lo
	v_cmpx_nle_f32_e64 0x3f400000, |v68|
; %bb.371:
	v_cmp_le_f32_e64 s12, 0x3e800000, |v68|
	s_delay_alu instid0(VALU_DEP_1)
	v_cndmask_b32_e64 v67, 0, 1, s12
; %bb.372:
	s_or_b32 exec_lo, exec_lo, s11
.LBB35_373:
	s_delay_alu instid0(SALU_CYCLE_1)
	s_or_b32 exec_lo, exec_lo, s10
.LBB35_374:
	s_delay_alu instid0(SALU_CYCLE_1)
	s_or_b32 exec_lo, exec_lo, s9
.LBB35_375:
	s_delay_alu instid0(SALU_CYCLE_1)
	s_or_b32 exec_lo, exec_lo, s8
.LBB35_376:
	s_delay_alu instid0(SALU_CYCLE_1)
	s_or_b32 exec_lo, exec_lo, s7
.LBB35_377:
	s_delay_alu instid0(SALU_CYCLE_1) | instskip(SKIP_3) | instid1(VALU_DEP_1)
	s_or_b32 exec_lo, exec_lo, s6
	s_load_b64 s[0:1], s[0:1], 0x8
	v_mul_f32_e32 v8, v10, v8
	s_mov_b32 s6, exec_lo
	v_cmpx_nle_f32_e64 0x40a00000, |v8|
	s_cbranch_execz .LBB35_389
; %bb.378:
	v_mov_b32_e32 v13, 6
	s_mov_b32 s7, exec_lo
	v_cmpx_nle_f32_e64 0x40600000, |v8|
	s_cbranch_execz .LBB35_388
; %bb.379:
	v_mov_b32_e32 v13, 5
	;; [unrolled: 5-line block ×5, first 2 shown]
	s_mov_b32 s11, exec_lo
	v_cmpx_nle_f32_e64 0x3f400000, |v8|
; %bb.383:
	v_cmp_le_f32_e64 s12, 0x3e800000, |v8|
	s_delay_alu instid0(VALU_DEP_1)
	v_cndmask_b32_e64 v13, 0, 1, s12
; %bb.384:
	s_or_b32 exec_lo, exec_lo, s11
.LBB35_385:
	s_delay_alu instid0(SALU_CYCLE_1)
	s_or_b32 exec_lo, exec_lo, s10
.LBB35_386:
	s_delay_alu instid0(SALU_CYCLE_1)
	s_or_b32 exec_lo, exec_lo, s9
.LBB35_387:
	s_delay_alu instid0(SALU_CYCLE_1)
	s_or_b32 exec_lo, exec_lo, s8
.LBB35_388:
	s_delay_alu instid0(SALU_CYCLE_1)
	s_or_b32 exec_lo, exec_lo, s7
.LBB35_389:
	s_delay_alu instid0(SALU_CYCLE_1)
	s_or_b32 exec_lo, exec_lo, s6
	v_cmp_gt_f32_e32 vcc_lo, 0, v68
	v_lshlrev_b16 v6, 4, v6
	v_lshlrev_b16 v9, 4, v9
	;; [unrolled: 1-line block ×4, first 2 shown]
	v_cndmask_b32_e64 v10, 0, 1, vcc_lo
	v_cmp_gt_f32_e32 vcc_lo, 0, v65
	v_lshlrev_b16 v19, 4, v19
	s_lshr_b32 s6, s4, 31
	s_delay_alu instid0(SALU_CYCLE_1) | instskip(SKIP_4) | instid1(VALU_DEP_3)
	s_add_i32 s4, s4, s6
	v_cndmask_b32_e64 v65, 0, 1, vcc_lo
	v_cmp_gt_f32_e32 vcc_lo, 0, v64
	v_lshlrev_b16 v10, 3, v10
	s_ashr_i32 s4, s4, 1
	v_lshlrev_b16 v65, 3, v65
	v_cndmask_b32_e64 v64, 0, 1, vcc_lo
	v_cmp_gt_f32_e32 vcc_lo, 0, v62
	v_or_b32_e32 v10, v10, v67
	s_ashr_i32 s6, s4, 31
	v_or_b32_e32 v65, v65, v66
	v_lshlrev_b16 v64, 3, v64
	v_cndmask_b32_e64 v62, 0, 1, vcc_lo
	v_cmp_gt_f32_e32 vcc_lo, 0, v59
	v_mul_lo_u32 v1, v1, s4
	s_delay_alu instid0(VALU_DEP_4) | instskip(NEXT) | instid1(VALU_DEP_4)
	v_or_b32_e32 v63, v64, v63
	v_lshlrev_b16 v62, 3, v62
	v_cndmask_b32_e64 v59, 0, 1, vcc_lo
	v_cmp_gt_f32_e32 vcc_lo, 0, v58
	s_delay_alu instid0(VALU_DEP_3) | instskip(NEXT) | instid1(VALU_DEP_3)
	v_or_b32_e32 v61, v62, v61
	v_lshlrev_b16 v59, 3, v59
	v_cndmask_b32_e64 v58, 0, 1, vcc_lo
	v_cmp_gt_f32_e32 vcc_lo, 0, v56
	s_delay_alu instid0(VALU_DEP_3) | instskip(NEXT) | instid1(VALU_DEP_3)
	;; [unrolled: 5-line block ×10, first 2 shown]
	v_or_b32_e32 v11, v11, v12
	v_lshlrev_b16 v24, 3, v24
	v_cndmask_b32_e64 v18, 0, 1, vcc_lo
	v_cmp_gt_f32_e32 vcc_lo, 0, v5
	s_delay_alu instid0(VALU_DEP_2) | instskip(SKIP_2) | instid1(VALU_DEP_2)
	v_lshlrev_b16 v18, 3, v18
	v_cndmask_b32_e64 v5, 0, 1, vcc_lo
	v_cmp_gt_f32_e32 vcc_lo, 0, v7
	v_lshlrev_b16 v5, 3, v5
	v_cndmask_b32_e64 v7, 0, 1, vcc_lo
	v_cmp_gt_f32_e32 vcc_lo, 0, v14
	s_delay_alu instid0(VALU_DEP_3) | instskip(NEXT) | instid1(VALU_DEP_3)
	v_or_b32_e32 v4, v5, v4
	v_lshlrev_b16 v7, 7, v7
	v_cndmask_b32_e64 v12, 0, 1, vcc_lo
	v_cmp_gt_f32_e32 vcc_lo, 0, v20
	s_delay_alu instid0(VALU_DEP_3) | instskip(NEXT) | instid1(VALU_DEP_3)
	v_or_b32_e32 v5, v7, v6
	v_lshlrev_b16 v12, 7, v12
	v_cndmask_b32_e64 v14, 0, 1, vcc_lo
	v_lshlrev_b16 v7, 4, v17
	v_cmp_gt_f32_e32 vcc_lo, 0, v26
	v_or_b32_e32 v4, v5, v4
	v_or_b32_e32 v6, v12, v9
	v_lshlrev_b16 v9, 7, v14
	v_or_b32_e32 v14, v18, v16
	v_lshlrev_b16 v17, 4, v28
	v_lshlrev_b16 v18, 4, v34
	v_or_b32_e32 v5, v6, v11
	v_or_b32_e32 v6, v9, v7
	v_cndmask_b32_e64 v9, 0, 1, vcc_lo
	v_cmp_gt_f32_e32 vcc_lo, 0, v32
	v_lshlrev_b16 v7, 4, v22
	v_or_b32_e32 v12, v24, v23
	v_or_b32_e32 v6, v6, v14
	v_lshlrev_b16 v9, 7, v9
	v_cndmask_b32_e64 v11, 0, 1, vcc_lo
	v_cmp_gt_f32_e32 vcc_lo, 0, v38
	v_lshlrev_b16 v14, 4, v45
	v_lshlrev_b16 v22, 4, v48
	v_or_b32_e32 v7, v9, v7
	v_lshlrev_b16 v11, 7, v11
	v_cndmask_b32_e64 v16, 0, 1, vcc_lo
	v_cmp_gt_f32_e32 vcc_lo, 0, v41
	v_lshlrev_b16 v5, 8, v5
	v_or_b32_e32 v7, v7, v12
	v_or_b32_e32 v9, v11, v17
	v_lshlrev_b16 v16, 7, v16
	v_cndmask_b32_e64 v20, 0, 1, vcc_lo
	v_cmp_gt_f32_e32 vcc_lo, 0, v47
	v_or_b32_e32 v4, v4, v5
	v_or_b32_e32 v9, v9, v29
	;; [unrolled: 1-line block ×3, first 2 shown]
	v_lshlrev_b16 v16, 4, v40
	v_lshlrev_b16 v17, 7, v20
	;; [unrolled: 1-line block ×4, first 2 shown]
	v_or_b32_e32 v11, v11, v35
	s_delay_alu instid0(VALU_DEP_4) | instskip(SKIP_2) | instid1(VALU_DEP_4)
	v_or_b32_e32 v12, v17, v16
	v_cndmask_b32_e64 v16, 0, 1, vcc_lo
	v_cmp_gt_f32_e32 vcc_lo, 0, v52
	v_lshlrev_b16 v11, 8, v11
	s_delay_alu instid0(VALU_DEP_4) | instskip(NEXT) | instid1(VALU_DEP_4)
	v_or_b32_e32 v12, v12, v43
	v_lshlrev_b16 v16, 7, v16
	v_cndmask_b32_e64 v17, 0, 1, vcc_lo
	v_cmp_gt_f32_e32 vcc_lo, 0, v46
	v_or_b32_e32 v9, v9, v11
	s_delay_alu instid0(VALU_DEP_4) | instskip(NEXT) | instid1(VALU_DEP_4)
	v_or_b32_e32 v14, v16, v14
	v_lshlrev_b16 v17, 7, v17
	v_cndmask_b32_e64 v18, 0, 1, vcc_lo
	v_cmp_gt_f32_e32 vcc_lo, 0, v39
	s_delay_alu instid0(VALU_DEP_4) | instskip(NEXT) | instid1(VALU_DEP_4)
	v_or_b32_e32 v14, v14, v49
	v_or_b32_e32 v16, v17, v20
	s_delay_alu instid0(VALU_DEP_4)
	v_lshlrev_b16 v18, 7, v18
	v_cndmask_b32_e64 v23, 0, 1, vcc_lo
	v_cmp_gt_f32_e32 vcc_lo, 0, v33
	v_lshlrev_b16 v11, 8, v14
	v_or_b32_e32 v16, v16, v53
	v_or_b32_e32 v17, v18, v22
	v_lshlrev_b16 v18, 4, v42
	v_cndmask_b32_e64 v22, 0, 1, vcc_lo
	v_cmp_gt_f32_e32 vcc_lo, 0, v21
	v_lshlrev_b16 v20, 7, v23
	v_lshlrev_b16 v23, 4, v31
	v_or_b32_e32 v17, v17, v55
	v_and_b32_e32 v14, 0xffff, v9
	v_cndmask_b32_e64 v21, 0, 1, vcc_lo
	v_cmp_gt_f32_e32 vcc_lo, 0, v27
	v_or_b32_e32 v18, v20, v18
	v_lshlrev_b16 v20, 4, v36
	s_delay_alu instid0(VALU_DEP_4) | instskip(SKIP_3) | instid1(VALU_DEP_4)
	v_lshlrev_b16 v21, 7, v21
	v_cndmask_b32_e64 v24, 0, 1, vcc_lo
	v_cmp_gt_f32_e32 vcc_lo, 0, v8
	v_or_b32_e32 v18, v18, v57
	v_or_b32_e32 v21, v21, v25
	s_delay_alu instid0(VALU_DEP_4) | instskip(SKIP_2) | instid1(VALU_DEP_2)
	v_lshlrev_b16 v24, 7, v24
	v_cndmask_b32_e64 v8, 0, 1, vcc_lo
	v_cmp_gt_f32_e32 vcc_lo, 0, v15
	v_lshlrev_b16 v8, 7, v8
	v_cndmask_b32_e64 v15, 0, 1, vcc_lo
	s_delay_alu instid0(VALU_DEP_2) | instskip(NEXT) | instid1(VALU_DEP_2)
	v_or_b32_e32 v8, v8, v13
	v_lshlrev_b16 v15, 7, v15
	v_lshlrev_b16 v13, 7, v22
	v_or_b32_e32 v22, v24, v23
	s_delay_alu instid0(VALU_DEP_4) | instskip(NEXT) | instid1(VALU_DEP_4)
	v_or_b32_e32 v8, v8, v10
	v_or_b32_e32 v15, v15, v19
	;; [unrolled: 1-line block ×5, first 2 shown]
	v_lshlrev_b16 v8, 8, v8
	v_or_b32_e32 v15, v15, v65
	v_lshlrev_b16 v19, 8, v19
	v_lshrrev_b32_e32 v20, 23, v3
	v_or_b32_e32 v10, v10, v59
	s_delay_alu instid0(VALU_DEP_4) | instskip(NEXT) | instid1(VALU_DEP_4)
	v_or_b32_e32 v8, v15, v8
	v_or_b32_e32 v3, v13, v19
	v_lshlrev_b16 v13, 8, v17
	s_delay_alu instid0(VALU_DEP_4) | instskip(NEXT) | instid1(VALU_DEP_4)
	v_lshlrev_b16 v10, 8, v10
	v_lshlrev_b32_e32 v15, 16, v8
	s_delay_alu instid0(VALU_DEP_4) | instskip(NEXT) | instid1(VALU_DEP_4)
	v_and_b32_e32 v3, 0xffff, v3
	v_or_b32_e32 v8, v16, v13
	v_mul_lo_u32 v16, v0, s6
	v_or_b32_e32 v10, v18, v10
	s_delay_alu instid0(VALU_DEP_3)
	v_and_b32_e32 v13, 0xffff, v8
	v_or_b32_e32 v8, v12, v11
	v_and_b32_e32 v12, 0xffff, v4
	v_or_b32_e32 v4, v6, v5
	s_waitcnt lgkmcnt(0)
	v_mad_u64_u32 v[6:7], null, v0, s4, s[0:1]
	v_lshlrev_b32_e32 v11, 16, v8
	v_mad_u64_u32 v[8:9], null, v0, s5, v[2:3]
	v_lshlrev_b32_e32 v0, 16, v4
	v_lshlrev_b32_e32 v9, 4, v2
	;; [unrolled: 1-line block ×3, first 2 shown]
	v_add3_u32 v1, v1, v7, v16
	v_or_b32_e32 v5, v3, v15
	v_or_b32_e32 v2, v12, v0
	v_ashrrev_i32_e32 v7, 31, v8
	v_add_co_u32 v0, vcc_lo, v6, v9
	v_add_co_ci_u32_e32 v1, vcc_lo, 0, v1, vcc_lo
	v_add_co_u32 v6, vcc_lo, s2, v8
	v_or_b32_e32 v4, v13, v10
	v_or_b32_e32 v3, v14, v11
	v_add_co_ci_u32_e32 v7, vcc_lo, s3, v7, vcc_lo
	global_store_b128 v[0:1], v[2:5], off
	global_store_b8 v[6:7], v20, off
.LBB35_390:
	s_nop 0
	s_sendmsg sendmsg(MSG_DEALLOC_VGPRS)
	s_endpgm
	.section	.rodata,"a",@progbits
	.p2align	6, 0x0
	.amdhsa_kernel _ZN5aiter18quant_mxfp4_kernelI12hip_bfloat16LNS_16MxScaleRoundModeE2ELb0ELb0ELb0EEEvPKT_PhPfliiib
		.amdhsa_group_segment_fixed_size 0
		.amdhsa_private_segment_fixed_size 0
		.amdhsa_kernarg_size 304
		.amdhsa_user_sgpr_count 15
		.amdhsa_user_sgpr_dispatch_ptr 0
		.amdhsa_user_sgpr_queue_ptr 0
		.amdhsa_user_sgpr_kernarg_segment_ptr 1
		.amdhsa_user_sgpr_dispatch_id 0
		.amdhsa_user_sgpr_private_segment_size 0
		.amdhsa_wavefront_size32 1
		.amdhsa_uses_dynamic_stack 0
		.amdhsa_enable_private_segment 0
		.amdhsa_system_sgpr_workgroup_id_x 1
		.amdhsa_system_sgpr_workgroup_id_y 0
		.amdhsa_system_sgpr_workgroup_id_z 0
		.amdhsa_system_sgpr_workgroup_info 0
		.amdhsa_system_vgpr_workitem_id 0
		.amdhsa_next_free_vgpr 69
		.amdhsa_next_free_sgpr 16
		.amdhsa_reserve_vcc 1
		.amdhsa_float_round_mode_32 0
		.amdhsa_float_round_mode_16_64 0
		.amdhsa_float_denorm_mode_32 3
		.amdhsa_float_denorm_mode_16_64 3
		.amdhsa_dx10_clamp 1
		.amdhsa_ieee_mode 1
		.amdhsa_fp16_overflow 0
		.amdhsa_workgroup_processor_mode 1
		.amdhsa_memory_ordered 1
		.amdhsa_forward_progress 0
		.amdhsa_shared_vgpr_count 0
		.amdhsa_exception_fp_ieee_invalid_op 0
		.amdhsa_exception_fp_denorm_src 0
		.amdhsa_exception_fp_ieee_div_zero 0
		.amdhsa_exception_fp_ieee_overflow 0
		.amdhsa_exception_fp_ieee_underflow 0
		.amdhsa_exception_fp_ieee_inexact 0
		.amdhsa_exception_int_div_zero 0
	.end_amdhsa_kernel
	.section	.text._ZN5aiter18quant_mxfp4_kernelI12hip_bfloat16LNS_16MxScaleRoundModeE2ELb0ELb0ELb0EEEvPKT_PhPfliiib,"axG",@progbits,_ZN5aiter18quant_mxfp4_kernelI12hip_bfloat16LNS_16MxScaleRoundModeE2ELb0ELb0ELb0EEEvPKT_PhPfliiib,comdat
.Lfunc_end35:
	.size	_ZN5aiter18quant_mxfp4_kernelI12hip_bfloat16LNS_16MxScaleRoundModeE2ELb0ELb0ELb0EEEvPKT_PhPfliiib, .Lfunc_end35-_ZN5aiter18quant_mxfp4_kernelI12hip_bfloat16LNS_16MxScaleRoundModeE2ELb0ELb0ELb0EEEvPKT_PhPfliiib
                                        ; -- End function
	.section	.AMDGPU.csdata,"",@progbits
; Kernel info:
; codeLenInByte = 10048
; NumSgprs: 18
; NumVgprs: 69
; ScratchSize: 0
; MemoryBound: 0
; FloatMode: 240
; IeeeMode: 1
; LDSByteSize: 0 bytes/workgroup (compile time only)
; SGPRBlocks: 2
; VGPRBlocks: 8
; NumSGPRsForWavesPerEU: 18
; NumVGPRsForWavesPerEU: 69
; Occupancy: 16
; WaveLimiterHint : 0
; COMPUTE_PGM_RSRC2:SCRATCH_EN: 0
; COMPUTE_PGM_RSRC2:USER_SGPR: 15
; COMPUTE_PGM_RSRC2:TRAP_HANDLER: 0
; COMPUTE_PGM_RSRC2:TGID_X_EN: 1
; COMPUTE_PGM_RSRC2:TGID_Y_EN: 0
; COMPUTE_PGM_RSRC2:TGID_Z_EN: 0
; COMPUTE_PGM_RSRC2:TIDIG_COMP_CNT: 0
	.section	.text._ZN5aiter18quant_mxfp4_kernelI12hip_bfloat16LNS_16MxScaleRoundModeE3ELb1ELb0ELb1EEEvPKT_PhPfliiib,"axG",@progbits,_ZN5aiter18quant_mxfp4_kernelI12hip_bfloat16LNS_16MxScaleRoundModeE3ELb1ELb0ELb1EEEvPKT_PhPfliiib,comdat
	.protected	_ZN5aiter18quant_mxfp4_kernelI12hip_bfloat16LNS_16MxScaleRoundModeE3ELb1ELb0ELb1EEEvPKT_PhPfliiib ; -- Begin function _ZN5aiter18quant_mxfp4_kernelI12hip_bfloat16LNS_16MxScaleRoundModeE3ELb1ELb0ELb1EEEvPKT_PhPfliiib
	.globl	_ZN5aiter18quant_mxfp4_kernelI12hip_bfloat16LNS_16MxScaleRoundModeE3ELb1ELb0ELb1EEEvPKT_PhPfliiib
	.p2align	8
	.type	_ZN5aiter18quant_mxfp4_kernelI12hip_bfloat16LNS_16MxScaleRoundModeE3ELb1ELb0ELb1EEEvPKT_PhPfliiib,@function
_ZN5aiter18quant_mxfp4_kernelI12hip_bfloat16LNS_16MxScaleRoundModeE3ELb1ELb0ELb1EEEvPKT_PhPfliiib: ; @_ZN5aiter18quant_mxfp4_kernelI12hip_bfloat16LNS_16MxScaleRoundModeE3ELb1ELb0ELb1EEEvPKT_PhPfliiib
; %bb.0:
	s_clause 0x1
	s_load_b32 s2, s[0:1], 0x3c
	s_load_b128 s[4:7], s[0:1], 0x20
	v_mov_b32_e32 v1, 0
	s_mov_b32 s3, exec_lo
	s_delay_alu instid0(VALU_DEP_1) | instskip(SKIP_2) | instid1(SALU_CYCLE_1)
	v_mov_b32_e32 v4, v1
	s_waitcnt lgkmcnt(0)
	s_and_b32 s2, s2, 0xffff
	v_mad_u64_u32 v[2:3], null, s2, s15, v[0:1]
	s_ashr_i32 s2, s6, 31
                                        ; implicit-def: $vgpr0_vgpr1
	s_delay_alu instid0(VALU_DEP_1) | instid1(SALU_CYCLE_1)
	v_or_b32_e32 v5, s2, v3
	s_delay_alu instid0(VALU_DEP_1)
	v_cmpx_ne_u64_e32 0, v[4:5]
	s_xor_b32 s3, exec_lo, s3
	s_cbranch_execz .LBB36_2
; %bb.1:
	s_add_u32 s10, s6, s2
	s_mov_b32 s8, s2
	s_mov_b32 s9, s2
	s_addc_u32 s11, s2, s2
	s_delay_alu instid0(SALU_CYCLE_1) | instskip(NEXT) | instid1(SALU_CYCLE_1)
	s_xor_b64 s[10:11], s[10:11], s[8:9]
	v_cvt_f32_u32_e32 v0, s10
	v_cvt_f32_u32_e32 v1, s11
	s_sub_u32 s2, 0, s10
	s_subb_u32 s7, 0, s11
	s_delay_alu instid0(VALU_DEP_1) | instskip(NEXT) | instid1(VALU_DEP_1)
	v_fmamk_f32 v0, v1, 0x4f800000, v0
	v_rcp_f32_e32 v0, v0
	s_waitcnt_depctr 0xfff
	v_mul_f32_e32 v0, 0x5f7ffffc, v0
	s_delay_alu instid0(VALU_DEP_1) | instskip(NEXT) | instid1(VALU_DEP_1)
	v_mul_f32_e32 v1, 0x2f800000, v0
	v_trunc_f32_e32 v1, v1
	s_delay_alu instid0(VALU_DEP_1) | instskip(SKIP_1) | instid1(VALU_DEP_2)
	v_fmamk_f32 v0, v1, 0xcf800000, v0
	v_cvt_u32_f32_e32 v1, v1
	v_cvt_u32_f32_e32 v0, v0
	s_delay_alu instid0(VALU_DEP_2) | instskip(NEXT) | instid1(VALU_DEP_2)
	v_mul_lo_u32 v4, s2, v1
	v_mul_hi_u32 v5, s2, v0
	v_mul_lo_u32 v6, s7, v0
	s_delay_alu instid0(VALU_DEP_2) | instskip(SKIP_1) | instid1(VALU_DEP_2)
	v_add_nc_u32_e32 v4, v5, v4
	v_mul_lo_u32 v5, s2, v0
	v_add_nc_u32_e32 v4, v4, v6
	s_delay_alu instid0(VALU_DEP_2) | instskip(NEXT) | instid1(VALU_DEP_2)
	v_mul_hi_u32 v6, v0, v5
	v_mul_lo_u32 v7, v0, v4
	v_mul_hi_u32 v8, v0, v4
	v_mul_hi_u32 v9, v1, v5
	v_mul_lo_u32 v5, v1, v5
	v_mul_hi_u32 v10, v1, v4
	v_mul_lo_u32 v4, v1, v4
	v_add_co_u32 v6, vcc_lo, v6, v7
	v_add_co_ci_u32_e32 v7, vcc_lo, 0, v8, vcc_lo
	s_delay_alu instid0(VALU_DEP_2) | instskip(NEXT) | instid1(VALU_DEP_2)
	v_add_co_u32 v5, vcc_lo, v6, v5
	v_add_co_ci_u32_e32 v5, vcc_lo, v7, v9, vcc_lo
	v_add_co_ci_u32_e32 v6, vcc_lo, 0, v10, vcc_lo
	v_ashrrev_i32_e32 v9, 31, v3
	s_delay_alu instid0(VALU_DEP_3) | instskip(NEXT) | instid1(VALU_DEP_3)
	v_add_co_u32 v4, vcc_lo, v5, v4
	v_add_co_ci_u32_e32 v5, vcc_lo, 0, v6, vcc_lo
	s_delay_alu instid0(VALU_DEP_2) | instskip(NEXT) | instid1(VALU_DEP_2)
	v_add_co_u32 v0, vcc_lo, v0, v4
	v_add_co_ci_u32_e32 v1, vcc_lo, v1, v5, vcc_lo
	s_delay_alu instid0(VALU_DEP_2) | instskip(SKIP_1) | instid1(VALU_DEP_3)
	v_mul_hi_u32 v4, s2, v0
	v_mul_lo_u32 v6, s7, v0
	v_mul_lo_u32 v5, s2, v1
	s_delay_alu instid0(VALU_DEP_1) | instskip(SKIP_1) | instid1(VALU_DEP_2)
	v_add_nc_u32_e32 v4, v4, v5
	v_mul_lo_u32 v5, s2, v0
	v_add_nc_u32_e32 v4, v4, v6
	s_delay_alu instid0(VALU_DEP_2) | instskip(NEXT) | instid1(VALU_DEP_2)
	v_mul_hi_u32 v6, v0, v5
	v_mul_lo_u32 v7, v0, v4
	v_mul_hi_u32 v8, v0, v4
	v_mul_hi_u32 v10, v1, v5
	v_mul_lo_u32 v5, v1, v5
	v_mul_hi_u32 v11, v1, v4
	v_mul_lo_u32 v4, v1, v4
	v_add_co_u32 v6, vcc_lo, v6, v7
	v_add_co_ci_u32_e32 v7, vcc_lo, 0, v8, vcc_lo
	s_delay_alu instid0(VALU_DEP_2) | instskip(NEXT) | instid1(VALU_DEP_2)
	v_add_co_u32 v5, vcc_lo, v6, v5
	v_add_co_ci_u32_e32 v5, vcc_lo, v7, v10, vcc_lo
	v_add_co_ci_u32_e32 v6, vcc_lo, 0, v11, vcc_lo
	v_add_co_u32 v7, vcc_lo, v2, v9
	v_add_co_ci_u32_e32 v3, vcc_lo, v3, v9, vcc_lo
	s_delay_alu instid0(VALU_DEP_4) | instskip(NEXT) | instid1(VALU_DEP_4)
	v_add_co_u32 v4, vcc_lo, v5, v4
	v_add_co_ci_u32_e32 v5, vcc_lo, 0, v6, vcc_lo
	s_delay_alu instid0(VALU_DEP_4) | instskip(NEXT) | instid1(VALU_DEP_3)
	v_xor_b32_e32 v7, v7, v9
	v_add_co_u32 v6, vcc_lo, v0, v4
	s_delay_alu instid0(VALU_DEP_3) | instskip(SKIP_1) | instid1(VALU_DEP_3)
	v_add_co_ci_u32_e32 v8, vcc_lo, v1, v5, vcc_lo
	v_xor_b32_e32 v10, v3, v9
	v_mul_hi_u32 v11, v7, v6
	s_delay_alu instid0(VALU_DEP_3) | instskip(NEXT) | instid1(VALU_DEP_3)
	v_mad_u64_u32 v[0:1], null, v7, v8, 0
	v_mad_u64_u32 v[3:4], null, v10, v6, 0
	;; [unrolled: 1-line block ×3, first 2 shown]
	s_delay_alu instid0(VALU_DEP_3) | instskip(NEXT) | instid1(VALU_DEP_4)
	v_add_co_u32 v0, vcc_lo, v11, v0
	v_add_co_ci_u32_e32 v1, vcc_lo, 0, v1, vcc_lo
	s_delay_alu instid0(VALU_DEP_2) | instskip(NEXT) | instid1(VALU_DEP_2)
	v_add_co_u32 v0, vcc_lo, v0, v3
	v_add_co_ci_u32_e32 v0, vcc_lo, v1, v4, vcc_lo
	v_add_co_ci_u32_e32 v1, vcc_lo, 0, v6, vcc_lo
	s_delay_alu instid0(VALU_DEP_2) | instskip(NEXT) | instid1(VALU_DEP_2)
	v_add_co_u32 v3, vcc_lo, v0, v5
	v_add_co_ci_u32_e32 v4, vcc_lo, 0, v1, vcc_lo
	s_delay_alu instid0(VALU_DEP_2) | instskip(SKIP_1) | instid1(VALU_DEP_3)
	v_mul_lo_u32 v5, s11, v3
	v_mad_u64_u32 v[0:1], null, s10, v3, 0
	v_mul_lo_u32 v6, s10, v4
	s_delay_alu instid0(VALU_DEP_2) | instskip(NEXT) | instid1(VALU_DEP_2)
	v_sub_co_u32 v0, vcc_lo, v7, v0
	v_add3_u32 v1, v1, v6, v5
	s_delay_alu instid0(VALU_DEP_1) | instskip(NEXT) | instid1(VALU_DEP_1)
	v_sub_nc_u32_e32 v5, v10, v1
	v_subrev_co_ci_u32_e64 v5, s2, s11, v5, vcc_lo
	v_add_co_u32 v6, s2, v3, 2
	s_delay_alu instid0(VALU_DEP_1) | instskip(SKIP_3) | instid1(VALU_DEP_3)
	v_add_co_ci_u32_e64 v7, s2, 0, v4, s2
	v_sub_co_u32 v8, s2, v0, s10
	v_sub_co_ci_u32_e32 v1, vcc_lo, v10, v1, vcc_lo
	v_subrev_co_ci_u32_e64 v5, s2, 0, v5, s2
	v_cmp_le_u32_e32 vcc_lo, s10, v8
	s_delay_alu instid0(VALU_DEP_3) | instskip(SKIP_1) | instid1(VALU_DEP_4)
	v_cmp_eq_u32_e64 s2, s11, v1
	v_cndmask_b32_e64 v8, 0, -1, vcc_lo
	v_cmp_le_u32_e32 vcc_lo, s11, v5
	v_cndmask_b32_e64 v10, 0, -1, vcc_lo
	v_cmp_le_u32_e32 vcc_lo, s10, v0
	v_cndmask_b32_e64 v0, 0, -1, vcc_lo
	v_cmp_le_u32_e32 vcc_lo, s11, v1
	v_cndmask_b32_e64 v11, 0, -1, vcc_lo
	v_cmp_eq_u32_e32 vcc_lo, s11, v5
	s_delay_alu instid0(VALU_DEP_2) | instskip(SKIP_3) | instid1(VALU_DEP_3)
	v_cndmask_b32_e64 v0, v11, v0, s2
	v_cndmask_b32_e32 v5, v10, v8, vcc_lo
	v_add_co_u32 v8, vcc_lo, v3, 1
	v_add_co_ci_u32_e32 v10, vcc_lo, 0, v4, vcc_lo
	v_cmp_ne_u32_e32 vcc_lo, 0, v5
	s_delay_alu instid0(VALU_DEP_2) | instskip(NEXT) | instid1(VALU_DEP_4)
	v_cndmask_b32_e32 v1, v10, v7, vcc_lo
	v_cndmask_b32_e32 v5, v8, v6, vcc_lo
	v_cmp_ne_u32_e32 vcc_lo, 0, v0
	v_xor_b32_e32 v0, s8, v9
	s_delay_alu instid0(VALU_DEP_3) | instskip(SKIP_2) | instid1(VALU_DEP_3)
	v_cndmask_b32_e32 v3, v3, v5, vcc_lo
	v_cndmask_b32_e32 v1, v4, v1, vcc_lo
	v_xor_b32_e32 v4, s9, v9
	v_xor_b32_e32 v3, v3, v0
	s_delay_alu instid0(VALU_DEP_2) | instskip(NEXT) | instid1(VALU_DEP_2)
	v_xor_b32_e32 v1, v1, v4
	v_sub_co_u32 v0, vcc_lo, v3, v0
	s_delay_alu instid0(VALU_DEP_2)
	v_sub_co_ci_u32_e32 v1, vcc_lo, v1, v4, vcc_lo
.LBB36_2:
	s_and_not1_saveexec_b32 s2, s3
	s_cbranch_execz .LBB36_4
; %bb.3:
	v_cvt_f32_u32_e32 v0, s6
	s_sub_i32 s3, 0, s6
	s_delay_alu instid0(VALU_DEP_1) | instskip(SKIP_2) | instid1(VALU_DEP_1)
	v_rcp_iflag_f32_e32 v0, v0
	s_waitcnt_depctr 0xfff
	v_mul_f32_e32 v0, 0x4f7ffffe, v0
	v_cvt_u32_f32_e32 v0, v0
	s_delay_alu instid0(VALU_DEP_1) | instskip(NEXT) | instid1(VALU_DEP_1)
	v_mul_lo_u32 v1, s3, v0
	v_mul_hi_u32 v1, v0, v1
	s_delay_alu instid0(VALU_DEP_1) | instskip(NEXT) | instid1(VALU_DEP_1)
	v_add_nc_u32_e32 v0, v0, v1
	v_mul_hi_u32 v0, v2, v0
	s_delay_alu instid0(VALU_DEP_1) | instskip(SKIP_1) | instid1(VALU_DEP_2)
	v_mul_lo_u32 v1, v0, s6
	v_add_nc_u32_e32 v3, 1, v0
	v_sub_nc_u32_e32 v1, v2, v1
	s_delay_alu instid0(VALU_DEP_1) | instskip(SKIP_1) | instid1(VALU_DEP_2)
	v_subrev_nc_u32_e32 v4, s6, v1
	v_cmp_le_u32_e32 vcc_lo, s6, v1
	v_dual_cndmask_b32 v1, v1, v4 :: v_dual_cndmask_b32 v0, v0, v3
	s_delay_alu instid0(VALU_DEP_1) | instskip(NEXT) | instid1(VALU_DEP_2)
	v_cmp_le_u32_e32 vcc_lo, s6, v1
	v_add_nc_u32_e32 v3, 1, v0
	s_delay_alu instid0(VALU_DEP_1)
	v_dual_mov_b32 v1, 0 :: v_dual_cndmask_b32 v0, v0, v3
.LBB36_4:
	s_or_b32 exec_lo, exec_lo, s2
	s_load_b64 s[2:3], s[0:1], 0x18
	s_delay_alu instid0(VALU_DEP_1) | instskip(NEXT) | instid1(VALU_DEP_1)
	v_mad_u64_u32 v[3:4], null, v0, s6, 0
	v_sub_co_u32 v2, null, v2, v3
	s_waitcnt lgkmcnt(0)
	v_cmp_gt_i64_e32 vcc_lo, s[2:3], v[0:1]
	s_delay_alu instid0(VALU_DEP_2) | instskip(NEXT) | instid1(VALU_DEP_1)
	v_cmp_gt_i32_e64 s2, s5, v2
	s_and_b32 s2, vcc_lo, s2
	s_delay_alu instid0(SALU_CYCLE_1)
	s_and_saveexec_b32 s3, s2
	s_cbranch_execz .LBB36_390
; %bb.5:
	s_ashr_i32 s5, s4, 31
	s_load_b64 s[2:3], s[0:1], 0x0
	v_mul_lo_u32 v5, v1, s4
	v_mad_u64_u32 v[3:4], null, v0, s4, 0
	v_mul_lo_u32 v6, v0, s5
	s_delay_alu instid0(VALU_DEP_1) | instskip(SKIP_1) | instid1(VALU_DEP_2)
	v_add3_u32 v4, v4, v6, v5
	v_dual_mov_b32 v6, 0 :: v_dual_lshlrev_b32 v5, 5, v2
	v_lshlrev_b64 v[3:4], 1, v[3:4]
	s_delay_alu instid0(VALU_DEP_2) | instskip(SKIP_1) | instid1(VALU_DEP_2)
	v_lshlrev_b64 v[5:6], 1, v[5:6]
	s_waitcnt lgkmcnt(0)
	v_add_co_u32 v3, vcc_lo, s2, v3
	s_delay_alu instid0(VALU_DEP_3) | instskip(SKIP_1) | instid1(VALU_DEP_2)
	v_add_co_ci_u32_e32 v4, vcc_lo, s3, v4, vcc_lo
	s_mov_b32 s2, exec_lo
	v_add_co_u32 v7, vcc_lo, v3, v5
	s_delay_alu instid0(VALU_DEP_2)
	v_add_co_ci_u32_e32 v8, vcc_lo, v4, v6, vcc_lo
	s_clause 0x3
	global_load_b128 v[3:6], v[7:8], off
	global_load_b128 v[10:13], v[7:8], off offset:16
	global_load_b128 v[52:55], v[7:8], off offset:32
	global_load_b128 v[56:59], v[7:8], off offset:48
	s_waitcnt vmcnt(3)
	v_lshlrev_b32_e32 v17, 16, v3
	v_and_b32_e32 v7, 0xffff0000, v3
	v_lshlrev_b32_e32 v9, 16, v4
	v_and_b32_e32 v14, 0xffff0000, v4
	;; [unrolled: 2-line block ×3, first 2 shown]
	v_max3_f32 v3, |v17|, 0, |v7|
	v_lshlrev_b32_e32 v22, 16, v6
	v_and_b32_e32 v26, 0xffff0000, v6
	s_waitcnt vmcnt(2)
	v_lshlrev_b32_e32 v28, 16, v10
	v_and_b32_e32 v31, 0xffff0000, v10
	v_max3_f32 v3, v3, |v9|, |v14|
	v_lshlrev_b32_e32 v33, 16, v11
	v_and_b32_e32 v37, 0xffff0000, v11
	v_lshlrev_b32_e32 v40, 16, v12
	v_and_b32_e32 v41, 0xffff0000, v12
	v_max3_f32 v3, v3, |v16|, |v20|
	v_lshlrev_b32_e32 v45, 16, v13
	v_and_b32_e32 v47, 0xffff0000, v13
	s_waitcnt vmcnt(1)
	v_lshlrev_b32_e32 v51, 16, v52
	v_and_b32_e32 v52, 0xffff0000, v52
	v_max3_f32 v3, v3, |v22|, |v26|
	v_lshlrev_b32_e32 v48, 16, v53
	v_and_b32_e32 v46, 0xffff0000, v53
	v_lshlrev_b32_e32 v43, 16, v54
	v_and_b32_e32 v39, 0xffff0000, v54
	v_max3_f32 v3, v3, |v28|, |v31|
	;; [unrolled: 11-line block ×3, first 2 shown]
	v_lshlrev_b32_e32 v13, 16, v59
	v_and_b32_e32 v8, 0xffff0000, v59
	s_delay_alu instid0(VALU_DEP_3) | instskip(NEXT) | instid1(VALU_DEP_1)
	v_max3_f32 v3, v3, |v45|, |v47|
	v_max3_f32 v3, v3, |v51|, |v52|
	s_delay_alu instid0(VALU_DEP_1) | instskip(NEXT) | instid1(VALU_DEP_1)
	v_max3_f32 v3, v3, |v48|, |v46|
	v_max3_f32 v3, v3, |v43|, |v39|
	s_delay_alu instid0(VALU_DEP_1) | instskip(NEXT) | instid1(VALU_DEP_1)
	;; [unrolled: 3-line block ×4, first 2 shown]
	v_max3_f32 v3, v3, |v13|, |v8|
	v_mul_f32_e32 v3, 0x3e800000, v3
	s_delay_alu instid0(VALU_DEP_1) | instskip(SKIP_1) | instid1(VALU_DEP_2)
	v_and_b32_e32 v4, 0x7fffff, v3
	v_bfe_u32 v3, v3, 23, 8
	v_cmp_ne_u32_e32 vcc_lo, 0, v4
	s_delay_alu instid0(VALU_DEP_2) | instskip(SKIP_1) | instid1(VALU_DEP_2)
	v_add_co_ci_u32_e32 v4, vcc_lo, 0, v3, vcc_lo
	v_cmp_ne_u32_e32 vcc_lo, 0xff, v3
	v_lshlrev_b32_e32 v4, 23, v4
	s_delay_alu instid0(VALU_DEP_1) | instskip(NEXT) | instid1(VALU_DEP_1)
	v_cndmask_b32_e32 v3, 0x7f800000, v4, vcc_lo
	v_div_scale_f32 v4, null, v3, v3, 1.0
	v_div_scale_f32 v10, vcc_lo, 1.0, v3, 1.0
	s_delay_alu instid0(VALU_DEP_2) | instskip(SKIP_2) | instid1(VALU_DEP_1)
	v_rcp_f32_e32 v5, v4
	s_waitcnt_depctr 0xfff
	v_fma_f32 v6, -v4, v5, 1.0
	v_fmac_f32_e32 v5, v6, v5
	s_delay_alu instid0(VALU_DEP_1) | instskip(NEXT) | instid1(VALU_DEP_1)
	v_mul_f32_e32 v6, v10, v5
	v_fma_f32 v11, -v4, v6, v10
	s_delay_alu instid0(VALU_DEP_1) | instskip(NEXT) | instid1(VALU_DEP_1)
	v_fmac_f32_e32 v6, v11, v5
	v_fma_f32 v4, -v4, v6, v10
	s_delay_alu instid0(VALU_DEP_1) | instskip(SKIP_2) | instid1(VALU_DEP_3)
	v_div_fmas_f32 v4, v4, v5, v6
	v_cmp_neq_f32_e32 vcc_lo, 0, v3
	v_mov_b32_e32 v6, 7
	v_div_fixup_f32 v4, v4, v3, 1.0
	s_delay_alu instid0(VALU_DEP_1) | instskip(NEXT) | instid1(VALU_DEP_1)
	v_cndmask_b32_e32 v12, 0, v4, vcc_lo
	v_dual_mov_b32 v4, 7 :: v_dual_mul_f32 v5, v12, v17
	s_delay_alu instid0(VALU_DEP_1)
	v_cmpx_nle_f32_e64 0x40a00000, |v5|
	s_cbranch_execz .LBB36_17
; %bb.6:
	v_mov_b32_e32 v4, 6
	s_mov_b32 s3, exec_lo
	v_cmpx_nle_f32_e64 0x40600000, |v5|
	s_cbranch_execz .LBB36_16
; %bb.7:
	v_mov_b32_e32 v4, 5
	s_mov_b32 s5, exec_lo
	;; [unrolled: 5-line block ×5, first 2 shown]
	v_cmpx_nle_f32_e64 0x3f400000, |v5|
; %bb.11:
	v_cmp_le_f32_e64 s10, 0x3e800000, |v5|
	s_delay_alu instid0(VALU_DEP_1)
	v_cndmask_b32_e64 v4, 0, 1, s10
; %bb.12:
	s_or_b32 exec_lo, exec_lo, s9
.LBB36_13:
	s_delay_alu instid0(SALU_CYCLE_1)
	s_or_b32 exec_lo, exec_lo, s8
.LBB36_14:
	s_delay_alu instid0(SALU_CYCLE_1)
	s_or_b32 exec_lo, exec_lo, s7
.LBB36_15:
	s_delay_alu instid0(SALU_CYCLE_1)
	s_or_b32 exec_lo, exec_lo, s5
.LBB36_16:
	s_delay_alu instid0(SALU_CYCLE_1)
	s_or_b32 exec_lo, exec_lo, s3
.LBB36_17:
	s_delay_alu instid0(SALU_CYCLE_1) | instskip(SKIP_2) | instid1(VALU_DEP_1)
	s_or_b32 exec_lo, exec_lo, s2
	v_mul_f32_e32 v7, v12, v7
	s_mov_b32 s2, exec_lo
	v_cmpx_nle_f32_e64 0x40a00000, |v7|
	s_cbranch_execz .LBB36_29
; %bb.18:
	v_mov_b32_e32 v6, 6
	s_mov_b32 s3, exec_lo
	v_cmpx_nle_f32_e64 0x40600000, |v7|
	s_cbranch_execz .LBB36_28
; %bb.19:
	v_mov_b32_e32 v6, 5
	;; [unrolled: 5-line block ×5, first 2 shown]
	s_mov_b32 s9, exec_lo
	v_cmpx_nle_f32_e64 0x3f400000, |v7|
; %bb.23:
	v_cmp_le_f32_e64 s10, 0x3e800000, |v7|
	s_delay_alu instid0(VALU_DEP_1)
	v_cndmask_b32_e64 v6, 0, 1, s10
; %bb.24:
	s_or_b32 exec_lo, exec_lo, s9
.LBB36_25:
	s_delay_alu instid0(SALU_CYCLE_1)
	s_or_b32 exec_lo, exec_lo, s8
.LBB36_26:
	s_delay_alu instid0(SALU_CYCLE_1)
	s_or_b32 exec_lo, exec_lo, s7
.LBB36_27:
	s_delay_alu instid0(SALU_CYCLE_1)
	s_or_b32 exec_lo, exec_lo, s5
.LBB36_28:
	s_delay_alu instid0(SALU_CYCLE_1)
	s_or_b32 exec_lo, exec_lo, s3
.LBB36_29:
	s_delay_alu instid0(SALU_CYCLE_1) | instskip(SKIP_3) | instid1(VALU_DEP_2)
	s_or_b32 exec_lo, exec_lo, s2
	v_dual_mul_f32 v10, v12, v9 :: v_dual_mov_b32 v11, 7
	v_mov_b32_e32 v9, 7
	s_mov_b32 s2, exec_lo
	v_cmpx_nle_f32_e64 0x40a00000, |v10|
	s_cbranch_execz .LBB36_41
; %bb.30:
	v_mov_b32_e32 v9, 6
	s_mov_b32 s3, exec_lo
	v_cmpx_nle_f32_e64 0x40600000, |v10|
	s_cbranch_execz .LBB36_40
; %bb.31:
	;; [unrolled: 5-line block ×5, first 2 shown]
	v_mov_b32_e32 v9, 2
	s_mov_b32 s9, exec_lo
	v_cmpx_nle_f32_e64 0x3f400000, |v10|
; %bb.35:
	v_cmp_le_f32_e64 s10, 0x3e800000, |v10|
	s_delay_alu instid0(VALU_DEP_1)
	v_cndmask_b32_e64 v9, 0, 1, s10
; %bb.36:
	s_or_b32 exec_lo, exec_lo, s9
.LBB36_37:
	s_delay_alu instid0(SALU_CYCLE_1)
	s_or_b32 exec_lo, exec_lo, s8
.LBB36_38:
	s_delay_alu instid0(SALU_CYCLE_1)
	s_or_b32 exec_lo, exec_lo, s7
.LBB36_39:
	s_delay_alu instid0(SALU_CYCLE_1)
	s_or_b32 exec_lo, exec_lo, s5
.LBB36_40:
	s_delay_alu instid0(SALU_CYCLE_1)
	s_or_b32 exec_lo, exec_lo, s3
.LBB36_41:
	s_delay_alu instid0(SALU_CYCLE_1) | instskip(SKIP_2) | instid1(VALU_DEP_1)
	s_or_b32 exec_lo, exec_lo, s2
	v_mul_f32_e32 v14, v12, v14
	s_mov_b32 s2, exec_lo
	v_cmpx_nle_f32_e64 0x40a00000, |v14|
	s_cbranch_execz .LBB36_53
; %bb.42:
	v_mov_b32_e32 v11, 6
	s_mov_b32 s3, exec_lo
	v_cmpx_nle_f32_e64 0x40600000, |v14|
	s_cbranch_execz .LBB36_52
; %bb.43:
	v_mov_b32_e32 v11, 5
	;; [unrolled: 5-line block ×5, first 2 shown]
	s_mov_b32 s9, exec_lo
	v_cmpx_nle_f32_e64 0x3f400000, |v14|
; %bb.47:
	v_cmp_le_f32_e64 s10, 0x3e800000, |v14|
	s_delay_alu instid0(VALU_DEP_1)
	v_cndmask_b32_e64 v11, 0, 1, s10
; %bb.48:
	s_or_b32 exec_lo, exec_lo, s9
.LBB36_49:
	s_delay_alu instid0(SALU_CYCLE_1)
	s_or_b32 exec_lo, exec_lo, s8
.LBB36_50:
	s_delay_alu instid0(SALU_CYCLE_1)
	s_or_b32 exec_lo, exec_lo, s7
.LBB36_51:
	s_delay_alu instid0(SALU_CYCLE_1)
	s_or_b32 exec_lo, exec_lo, s5
.LBB36_52:
	s_delay_alu instid0(SALU_CYCLE_1)
	s_or_b32 exec_lo, exec_lo, s3
.LBB36_53:
	s_delay_alu instid0(SALU_CYCLE_1) | instskip(SKIP_3) | instid1(VALU_DEP_2)
	s_or_b32 exec_lo, exec_lo, s2
	v_dual_mul_f32 v18, v12, v16 :: v_dual_mov_b32 v17, 7
	v_mov_b32_e32 v16, 7
	s_mov_b32 s2, exec_lo
	v_cmpx_nle_f32_e64 0x40a00000, |v18|
	s_cbranch_execz .LBB36_65
; %bb.54:
	v_mov_b32_e32 v17, 6
	s_mov_b32 s3, exec_lo
	v_cmpx_nle_f32_e64 0x40600000, |v18|
	s_cbranch_execz .LBB36_64
; %bb.55:
	;; [unrolled: 5-line block ×5, first 2 shown]
	v_mov_b32_e32 v17, 2
	s_mov_b32 s9, exec_lo
	v_cmpx_nle_f32_e64 0x3f400000, |v18|
; %bb.59:
	v_cmp_le_f32_e64 s10, 0x3e800000, |v18|
	s_delay_alu instid0(VALU_DEP_1)
	v_cndmask_b32_e64 v17, 0, 1, s10
; %bb.60:
	s_or_b32 exec_lo, exec_lo, s9
.LBB36_61:
	s_delay_alu instid0(SALU_CYCLE_1)
	s_or_b32 exec_lo, exec_lo, s8
.LBB36_62:
	s_delay_alu instid0(SALU_CYCLE_1)
	s_or_b32 exec_lo, exec_lo, s7
.LBB36_63:
	s_delay_alu instid0(SALU_CYCLE_1)
	s_or_b32 exec_lo, exec_lo, s5
.LBB36_64:
	s_delay_alu instid0(SALU_CYCLE_1)
	s_or_b32 exec_lo, exec_lo, s3
.LBB36_65:
	s_delay_alu instid0(SALU_CYCLE_1) | instskip(SKIP_2) | instid1(VALU_DEP_1)
	s_or_b32 exec_lo, exec_lo, s2
	v_mul_f32_e32 v20, v12, v20
	s_mov_b32 s2, exec_lo
	v_cmpx_nle_f32_e64 0x40a00000, |v20|
	s_cbranch_execz .LBB36_77
; %bb.66:
	v_mov_b32_e32 v16, 6
	s_mov_b32 s3, exec_lo
	v_cmpx_nle_f32_e64 0x40600000, |v20|
	s_cbranch_execz .LBB36_76
; %bb.67:
	v_mov_b32_e32 v16, 5
	;; [unrolled: 5-line block ×5, first 2 shown]
	s_mov_b32 s9, exec_lo
	v_cmpx_nle_f32_e64 0x3f400000, |v20|
; %bb.71:
	v_cmp_le_f32_e64 s10, 0x3e800000, |v20|
	s_delay_alu instid0(VALU_DEP_1)
	v_cndmask_b32_e64 v16, 0, 1, s10
; %bb.72:
	s_or_b32 exec_lo, exec_lo, s9
.LBB36_73:
	s_delay_alu instid0(SALU_CYCLE_1)
	s_or_b32 exec_lo, exec_lo, s8
.LBB36_74:
	s_delay_alu instid0(SALU_CYCLE_1)
	s_or_b32 exec_lo, exec_lo, s7
.LBB36_75:
	s_delay_alu instid0(SALU_CYCLE_1)
	s_or_b32 exec_lo, exec_lo, s5
.LBB36_76:
	s_delay_alu instid0(SALU_CYCLE_1)
	s_or_b32 exec_lo, exec_lo, s3
.LBB36_77:
	s_delay_alu instid0(SALU_CYCLE_1) | instskip(SKIP_3) | instid1(VALU_DEP_2)
	s_or_b32 exec_lo, exec_lo, s2
	v_dual_mul_f32 v24, v12, v22 :: v_dual_mov_b32 v23, 7
	v_mov_b32_e32 v22, 7
	s_mov_b32 s2, exec_lo
	v_cmpx_nle_f32_e64 0x40a00000, |v24|
	s_cbranch_execz .LBB36_89
; %bb.78:
	v_mov_b32_e32 v23, 6
	s_mov_b32 s3, exec_lo
	v_cmpx_nle_f32_e64 0x40600000, |v24|
	s_cbranch_execz .LBB36_88
; %bb.79:
	;; [unrolled: 5-line block ×5, first 2 shown]
	v_mov_b32_e32 v23, 2
	s_mov_b32 s9, exec_lo
	v_cmpx_nle_f32_e64 0x3f400000, |v24|
; %bb.83:
	v_cmp_le_f32_e64 s10, 0x3e800000, |v24|
	s_delay_alu instid0(VALU_DEP_1)
	v_cndmask_b32_e64 v23, 0, 1, s10
; %bb.84:
	s_or_b32 exec_lo, exec_lo, s9
.LBB36_85:
	s_delay_alu instid0(SALU_CYCLE_1)
	s_or_b32 exec_lo, exec_lo, s8
.LBB36_86:
	s_delay_alu instid0(SALU_CYCLE_1)
	s_or_b32 exec_lo, exec_lo, s7
.LBB36_87:
	s_delay_alu instid0(SALU_CYCLE_1)
	s_or_b32 exec_lo, exec_lo, s5
.LBB36_88:
	s_delay_alu instid0(SALU_CYCLE_1)
	s_or_b32 exec_lo, exec_lo, s3
.LBB36_89:
	s_delay_alu instid0(SALU_CYCLE_1) | instskip(SKIP_2) | instid1(VALU_DEP_1)
	s_or_b32 exec_lo, exec_lo, s2
	v_mul_f32_e32 v26, v12, v26
	s_mov_b32 s2, exec_lo
	v_cmpx_nle_f32_e64 0x40a00000, |v26|
	s_cbranch_execz .LBB36_101
; %bb.90:
	v_mov_b32_e32 v22, 6
	s_mov_b32 s3, exec_lo
	v_cmpx_nle_f32_e64 0x40600000, |v26|
	s_cbranch_execz .LBB36_100
; %bb.91:
	v_mov_b32_e32 v22, 5
	;; [unrolled: 5-line block ×5, first 2 shown]
	s_mov_b32 s9, exec_lo
	v_cmpx_nle_f32_e64 0x3f400000, |v26|
; %bb.95:
	v_cmp_le_f32_e64 s10, 0x3e800000, |v26|
	s_delay_alu instid0(VALU_DEP_1)
	v_cndmask_b32_e64 v22, 0, 1, s10
; %bb.96:
	s_or_b32 exec_lo, exec_lo, s9
.LBB36_97:
	s_delay_alu instid0(SALU_CYCLE_1)
	s_or_b32 exec_lo, exec_lo, s8
.LBB36_98:
	s_delay_alu instid0(SALU_CYCLE_1)
	s_or_b32 exec_lo, exec_lo, s7
.LBB36_99:
	s_delay_alu instid0(SALU_CYCLE_1)
	s_or_b32 exec_lo, exec_lo, s5
.LBB36_100:
	s_delay_alu instid0(SALU_CYCLE_1)
	s_or_b32 exec_lo, exec_lo, s3
.LBB36_101:
	s_delay_alu instid0(SALU_CYCLE_1) | instskip(SKIP_3) | instid1(VALU_DEP_2)
	s_or_b32 exec_lo, exec_lo, s2
	v_dual_mul_f32 v29, v12, v28 :: v_dual_mov_b32 v28, 7
	v_mov_b32_e32 v30, 7
	s_mov_b32 s2, exec_lo
	v_cmpx_nle_f32_e64 0x40a00000, |v29|
	s_cbranch_execz .LBB36_113
; %bb.102:
	v_mov_b32_e32 v30, 6
	s_mov_b32 s3, exec_lo
	v_cmpx_nle_f32_e64 0x40600000, |v29|
	s_cbranch_execz .LBB36_112
; %bb.103:
	;; [unrolled: 5-line block ×5, first 2 shown]
	v_mov_b32_e32 v30, 2
	s_mov_b32 s9, exec_lo
	v_cmpx_nle_f32_e64 0x3f400000, |v29|
; %bb.107:
	v_cmp_le_f32_e64 s10, 0x3e800000, |v29|
	s_delay_alu instid0(VALU_DEP_1)
	v_cndmask_b32_e64 v30, 0, 1, s10
; %bb.108:
	s_or_b32 exec_lo, exec_lo, s9
.LBB36_109:
	s_delay_alu instid0(SALU_CYCLE_1)
	s_or_b32 exec_lo, exec_lo, s8
.LBB36_110:
	s_delay_alu instid0(SALU_CYCLE_1)
	s_or_b32 exec_lo, exec_lo, s7
.LBB36_111:
	s_delay_alu instid0(SALU_CYCLE_1)
	s_or_b32 exec_lo, exec_lo, s5
.LBB36_112:
	s_delay_alu instid0(SALU_CYCLE_1)
	s_or_b32 exec_lo, exec_lo, s3
.LBB36_113:
	s_delay_alu instid0(SALU_CYCLE_1) | instskip(SKIP_2) | instid1(VALU_DEP_1)
	s_or_b32 exec_lo, exec_lo, s2
	v_mul_f32_e32 v31, v12, v31
	s_mov_b32 s2, exec_lo
	v_cmpx_nle_f32_e64 0x40a00000, |v31|
	s_cbranch_execz .LBB36_125
; %bb.114:
	v_mov_b32_e32 v28, 6
	s_mov_b32 s3, exec_lo
	v_cmpx_nle_f32_e64 0x40600000, |v31|
	s_cbranch_execz .LBB36_124
; %bb.115:
	v_mov_b32_e32 v28, 5
	;; [unrolled: 5-line block ×5, first 2 shown]
	s_mov_b32 s9, exec_lo
	v_cmpx_nle_f32_e64 0x3f400000, |v31|
; %bb.119:
	v_cmp_le_f32_e64 s10, 0x3e800000, |v31|
	s_delay_alu instid0(VALU_DEP_1)
	v_cndmask_b32_e64 v28, 0, 1, s10
; %bb.120:
	s_or_b32 exec_lo, exec_lo, s9
.LBB36_121:
	s_delay_alu instid0(SALU_CYCLE_1)
	s_or_b32 exec_lo, exec_lo, s8
.LBB36_122:
	s_delay_alu instid0(SALU_CYCLE_1)
	s_or_b32 exec_lo, exec_lo, s7
.LBB36_123:
	s_delay_alu instid0(SALU_CYCLE_1)
	s_or_b32 exec_lo, exec_lo, s5
.LBB36_124:
	s_delay_alu instid0(SALU_CYCLE_1)
	s_or_b32 exec_lo, exec_lo, s3
.LBB36_125:
	s_delay_alu instid0(SALU_CYCLE_1) | instskip(SKIP_3) | instid1(VALU_DEP_2)
	s_or_b32 exec_lo, exec_lo, s2
	v_dual_mul_f32 v36, v12, v33 :: v_dual_mov_b32 v33, 7
	v_mov_b32_e32 v35, 7
	s_mov_b32 s2, exec_lo
	v_cmpx_nle_f32_e64 0x40a00000, |v36|
	s_cbranch_execz .LBB36_137
; %bb.126:
	v_mov_b32_e32 v35, 6
	s_mov_b32 s3, exec_lo
	v_cmpx_nle_f32_e64 0x40600000, |v36|
	s_cbranch_execz .LBB36_136
; %bb.127:
	;; [unrolled: 5-line block ×5, first 2 shown]
	v_mov_b32_e32 v35, 2
	s_mov_b32 s9, exec_lo
	v_cmpx_nle_f32_e64 0x3f400000, |v36|
; %bb.131:
	v_cmp_le_f32_e64 s10, 0x3e800000, |v36|
	s_delay_alu instid0(VALU_DEP_1)
	v_cndmask_b32_e64 v35, 0, 1, s10
; %bb.132:
	s_or_b32 exec_lo, exec_lo, s9
.LBB36_133:
	s_delay_alu instid0(SALU_CYCLE_1)
	s_or_b32 exec_lo, exec_lo, s8
.LBB36_134:
	s_delay_alu instid0(SALU_CYCLE_1)
	s_or_b32 exec_lo, exec_lo, s7
.LBB36_135:
	s_delay_alu instid0(SALU_CYCLE_1)
	s_or_b32 exec_lo, exec_lo, s5
.LBB36_136:
	s_delay_alu instid0(SALU_CYCLE_1)
	s_or_b32 exec_lo, exec_lo, s3
.LBB36_137:
	s_delay_alu instid0(SALU_CYCLE_1) | instskip(SKIP_2) | instid1(VALU_DEP_1)
	s_or_b32 exec_lo, exec_lo, s2
	v_mul_f32_e32 v37, v12, v37
	s_mov_b32 s2, exec_lo
	v_cmpx_nle_f32_e64 0x40a00000, |v37|
	s_cbranch_execz .LBB36_149
; %bb.138:
	v_mov_b32_e32 v33, 6
	s_mov_b32 s3, exec_lo
	v_cmpx_nle_f32_e64 0x40600000, |v37|
	s_cbranch_execz .LBB36_148
; %bb.139:
	v_mov_b32_e32 v33, 5
	;; [unrolled: 5-line block ×5, first 2 shown]
	s_mov_b32 s9, exec_lo
	v_cmpx_nle_f32_e64 0x3f400000, |v37|
; %bb.143:
	v_cmp_le_f32_e64 s10, 0x3e800000, |v37|
	s_delay_alu instid0(VALU_DEP_1)
	v_cndmask_b32_e64 v33, 0, 1, s10
; %bb.144:
	s_or_b32 exec_lo, exec_lo, s9
.LBB36_145:
	s_delay_alu instid0(SALU_CYCLE_1)
	s_or_b32 exec_lo, exec_lo, s8
.LBB36_146:
	s_delay_alu instid0(SALU_CYCLE_1)
	s_or_b32 exec_lo, exec_lo, s7
.LBB36_147:
	s_delay_alu instid0(SALU_CYCLE_1)
	s_or_b32 exec_lo, exec_lo, s5
.LBB36_148:
	s_delay_alu instid0(SALU_CYCLE_1)
	s_or_b32 exec_lo, exec_lo, s3
.LBB36_149:
	s_delay_alu instid0(SALU_CYCLE_1) | instskip(SKIP_4) | instid1(VALU_DEP_3)
	s_or_b32 exec_lo, exec_lo, s2
	v_mul_f32_e32 v44, v12, v40
	v_mov_b32_e32 v40, 7
	v_mov_b32_e32 v42, 7
	s_mov_b32 s2, exec_lo
	v_cmpx_nle_f32_e64 0x40a00000, |v44|
	s_cbranch_execz .LBB36_161
; %bb.150:
	v_mov_b32_e32 v42, 6
	s_mov_b32 s3, exec_lo
	v_cmpx_nle_f32_e64 0x40600000, |v44|
	s_cbranch_execz .LBB36_160
; %bb.151:
	;; [unrolled: 5-line block ×5, first 2 shown]
	v_mov_b32_e32 v42, 2
	s_mov_b32 s9, exec_lo
	v_cmpx_nle_f32_e64 0x3f400000, |v44|
; %bb.155:
	v_cmp_le_f32_e64 s10, 0x3e800000, |v44|
	s_delay_alu instid0(VALU_DEP_1)
	v_cndmask_b32_e64 v42, 0, 1, s10
; %bb.156:
	s_or_b32 exec_lo, exec_lo, s9
.LBB36_157:
	s_delay_alu instid0(SALU_CYCLE_1)
	s_or_b32 exec_lo, exec_lo, s8
.LBB36_158:
	s_delay_alu instid0(SALU_CYCLE_1)
	s_or_b32 exec_lo, exec_lo, s7
.LBB36_159:
	s_delay_alu instid0(SALU_CYCLE_1)
	s_or_b32 exec_lo, exec_lo, s5
.LBB36_160:
	s_delay_alu instid0(SALU_CYCLE_1)
	s_or_b32 exec_lo, exec_lo, s3
.LBB36_161:
	s_delay_alu instid0(SALU_CYCLE_1) | instskip(SKIP_2) | instid1(VALU_DEP_1)
	s_or_b32 exec_lo, exec_lo, s2
	v_mul_f32_e32 v41, v12, v41
	s_mov_b32 s2, exec_lo
	v_cmpx_nle_f32_e64 0x40a00000, |v41|
	s_cbranch_execz .LBB36_173
; %bb.162:
	v_mov_b32_e32 v40, 6
	s_mov_b32 s3, exec_lo
	v_cmpx_nle_f32_e64 0x40600000, |v41|
	s_cbranch_execz .LBB36_172
; %bb.163:
	v_mov_b32_e32 v40, 5
	s_mov_b32 s5, exec_lo
	v_cmpx_nle_f32_e64 0x40200000, |v41|
	s_cbranch_execz .LBB36_171
; %bb.164:
	v_mov_b32_e32 v40, 4
	s_mov_b32 s7, exec_lo
	v_cmpx_nle_f32_e64 0x3fe00000, |v41|
	s_cbranch_execz .LBB36_170
; %bb.165:
	v_mov_b32_e32 v40, 3
	s_mov_b32 s8, exec_lo
	v_cmpx_nle_f32_e64 0x3fa00000, |v41|
	s_cbranch_execz .LBB36_169
; %bb.166:
	v_mov_b32_e32 v40, 2
	s_mov_b32 s9, exec_lo
	v_cmpx_nle_f32_e64 0x3f400000, |v41|
; %bb.167:
	v_cmp_le_f32_e64 s10, 0x3e800000, |v41|
	s_delay_alu instid0(VALU_DEP_1)
	v_cndmask_b32_e64 v40, 0, 1, s10
; %bb.168:
	s_or_b32 exec_lo, exec_lo, s9
.LBB36_169:
	s_delay_alu instid0(SALU_CYCLE_1)
	s_or_b32 exec_lo, exec_lo, s8
.LBB36_170:
	s_delay_alu instid0(SALU_CYCLE_1)
	s_or_b32 exec_lo, exec_lo, s7
.LBB36_171:
	s_delay_alu instid0(SALU_CYCLE_1)
	s_or_b32 exec_lo, exec_lo, s5
.LBB36_172:
	s_delay_alu instid0(SALU_CYCLE_1)
	s_or_b32 exec_lo, exec_lo, s3
.LBB36_173:
	s_delay_alu instid0(SALU_CYCLE_1) | instskip(SKIP_3) | instid1(VALU_DEP_2)
	s_or_b32 exec_lo, exec_lo, s2
	v_dual_mul_f32 v50, v12, v45 :: v_dual_mov_b32 v45, 7
	v_mov_b32_e32 v49, 7
	s_mov_b32 s2, exec_lo
	v_cmpx_nle_f32_e64 0x40a00000, |v50|
	s_cbranch_execz .LBB36_185
; %bb.174:
	v_mov_b32_e32 v49, 6
	s_mov_b32 s3, exec_lo
	v_cmpx_nle_f32_e64 0x40600000, |v50|
	s_cbranch_execz .LBB36_184
; %bb.175:
	;; [unrolled: 5-line block ×5, first 2 shown]
	v_mov_b32_e32 v49, 2
	s_mov_b32 s9, exec_lo
	v_cmpx_nle_f32_e64 0x3f400000, |v50|
; %bb.179:
	v_cmp_le_f32_e64 s10, 0x3e800000, |v50|
	s_delay_alu instid0(VALU_DEP_1)
	v_cndmask_b32_e64 v49, 0, 1, s10
; %bb.180:
	s_or_b32 exec_lo, exec_lo, s9
.LBB36_181:
	s_delay_alu instid0(SALU_CYCLE_1)
	s_or_b32 exec_lo, exec_lo, s8
.LBB36_182:
	s_delay_alu instid0(SALU_CYCLE_1)
	s_or_b32 exec_lo, exec_lo, s7
.LBB36_183:
	s_delay_alu instid0(SALU_CYCLE_1)
	s_or_b32 exec_lo, exec_lo, s5
.LBB36_184:
	s_delay_alu instid0(SALU_CYCLE_1)
	s_or_b32 exec_lo, exec_lo, s3
.LBB36_185:
	s_delay_alu instid0(SALU_CYCLE_1) | instskip(SKIP_2) | instid1(VALU_DEP_1)
	s_or_b32 exec_lo, exec_lo, s2
	v_mul_f32_e32 v47, v12, v47
	s_mov_b32 s2, exec_lo
	v_cmpx_nle_f32_e64 0x40a00000, |v47|
	s_cbranch_execz .LBB36_197
; %bb.186:
	v_mov_b32_e32 v45, 6
	s_mov_b32 s3, exec_lo
	v_cmpx_nle_f32_e64 0x40600000, |v47|
	s_cbranch_execz .LBB36_196
; %bb.187:
	v_mov_b32_e32 v45, 5
	;; [unrolled: 5-line block ×5, first 2 shown]
	s_mov_b32 s9, exec_lo
	v_cmpx_nle_f32_e64 0x3f400000, |v47|
; %bb.191:
	v_cmp_le_f32_e64 s10, 0x3e800000, |v47|
	s_delay_alu instid0(VALU_DEP_1)
	v_cndmask_b32_e64 v45, 0, 1, s10
; %bb.192:
	s_or_b32 exec_lo, exec_lo, s9
.LBB36_193:
	s_delay_alu instid0(SALU_CYCLE_1)
	s_or_b32 exec_lo, exec_lo, s8
.LBB36_194:
	s_delay_alu instid0(SALU_CYCLE_1)
	s_or_b32 exec_lo, exec_lo, s7
.LBB36_195:
	s_delay_alu instid0(SALU_CYCLE_1)
	s_or_b32 exec_lo, exec_lo, s5
.LBB36_196:
	s_delay_alu instid0(SALU_CYCLE_1)
	s_or_b32 exec_lo, exec_lo, s3
.LBB36_197:
	s_delay_alu instid0(SALU_CYCLE_1) | instskip(SKIP_3) | instid1(VALU_DEP_2)
	s_or_b32 exec_lo, exec_lo, s2
	v_dual_mul_f32 v54, v12, v51 :: v_dual_mov_b32 v51, 7
	v_mov_b32_e32 v53, 7
	s_mov_b32 s2, exec_lo
	v_cmpx_nle_f32_e64 0x40a00000, |v54|
	s_cbranch_execz .LBB36_209
; %bb.198:
	v_mov_b32_e32 v53, 6
	s_mov_b32 s3, exec_lo
	v_cmpx_nle_f32_e64 0x40600000, |v54|
	s_cbranch_execz .LBB36_208
; %bb.199:
	;; [unrolled: 5-line block ×5, first 2 shown]
	v_mov_b32_e32 v53, 2
	s_mov_b32 s9, exec_lo
	v_cmpx_nle_f32_e64 0x3f400000, |v54|
; %bb.203:
	v_cmp_le_f32_e64 s10, 0x3e800000, |v54|
	s_delay_alu instid0(VALU_DEP_1)
	v_cndmask_b32_e64 v53, 0, 1, s10
; %bb.204:
	s_or_b32 exec_lo, exec_lo, s9
.LBB36_205:
	s_delay_alu instid0(SALU_CYCLE_1)
	s_or_b32 exec_lo, exec_lo, s8
.LBB36_206:
	s_delay_alu instid0(SALU_CYCLE_1)
	s_or_b32 exec_lo, exec_lo, s7
.LBB36_207:
	s_delay_alu instid0(SALU_CYCLE_1)
	s_or_b32 exec_lo, exec_lo, s5
.LBB36_208:
	s_delay_alu instid0(SALU_CYCLE_1)
	s_or_b32 exec_lo, exec_lo, s3
.LBB36_209:
	s_delay_alu instid0(SALU_CYCLE_1) | instskip(SKIP_2) | instid1(VALU_DEP_1)
	s_or_b32 exec_lo, exec_lo, s2
	v_mul_f32_e32 v52, v12, v52
	s_mov_b32 s2, exec_lo
	v_cmpx_nle_f32_e64 0x40a00000, |v52|
	s_cbranch_execz .LBB36_221
; %bb.210:
	v_mov_b32_e32 v51, 6
	s_mov_b32 s3, exec_lo
	v_cmpx_nle_f32_e64 0x40600000, |v52|
	s_cbranch_execz .LBB36_220
; %bb.211:
	v_mov_b32_e32 v51, 5
	;; [unrolled: 5-line block ×5, first 2 shown]
	s_mov_b32 s9, exec_lo
	v_cmpx_nle_f32_e64 0x3f400000, |v52|
; %bb.215:
	v_cmp_le_f32_e64 s10, 0x3e800000, |v52|
	s_delay_alu instid0(VALU_DEP_1)
	v_cndmask_b32_e64 v51, 0, 1, s10
; %bb.216:
	s_or_b32 exec_lo, exec_lo, s9
.LBB36_217:
	s_delay_alu instid0(SALU_CYCLE_1)
	s_or_b32 exec_lo, exec_lo, s8
.LBB36_218:
	s_delay_alu instid0(SALU_CYCLE_1)
	s_or_b32 exec_lo, exec_lo, s7
.LBB36_219:
	s_delay_alu instid0(SALU_CYCLE_1)
	s_or_b32 exec_lo, exec_lo, s5
.LBB36_220:
	s_delay_alu instid0(SALU_CYCLE_1)
	s_or_b32 exec_lo, exec_lo, s3
.LBB36_221:
	s_delay_alu instid0(SALU_CYCLE_1) | instskip(SKIP_3) | instid1(VALU_DEP_2)
	s_or_b32 exec_lo, exec_lo, s2
	v_dual_mul_f32 v55, v12, v48 :: v_dual_mov_b32 v48, 7
	v_mov_b32_e32 v56, 7
	s_mov_b32 s2, exec_lo
	v_cmpx_nle_f32_e64 0x40a00000, |v55|
	s_cbranch_execz .LBB36_233
; %bb.222:
	v_mov_b32_e32 v56, 6
	s_mov_b32 s3, exec_lo
	v_cmpx_nle_f32_e64 0x40600000, |v55|
	s_cbranch_execz .LBB36_232
; %bb.223:
	v_mov_b32_e32 v56, 5
	s_mov_b32 s5, exec_lo
	v_cmpx_nle_f32_e64 0x40200000, |v55|
	s_cbranch_execz .LBB36_231
; %bb.224:
	v_mov_b32_e32 v56, 4
	s_mov_b32 s7, exec_lo
	v_cmpx_nle_f32_e64 0x3fe00000, |v55|
	s_cbranch_execz .LBB36_230
; %bb.225:
	v_mov_b32_e32 v56, 3
	s_mov_b32 s8, exec_lo
	v_cmpx_nle_f32_e64 0x3fa00000, |v55|
	s_cbranch_execz .LBB36_229
; %bb.226:
	v_mov_b32_e32 v56, 2
	s_mov_b32 s9, exec_lo
	v_cmpx_nle_f32_e64 0x3f400000, |v55|
; %bb.227:
	v_cmp_le_f32_e64 s10, 0x3e800000, |v55|
	s_delay_alu instid0(VALU_DEP_1)
	v_cndmask_b32_e64 v56, 0, 1, s10
; %bb.228:
	s_or_b32 exec_lo, exec_lo, s9
.LBB36_229:
	s_delay_alu instid0(SALU_CYCLE_1)
	s_or_b32 exec_lo, exec_lo, s8
.LBB36_230:
	s_delay_alu instid0(SALU_CYCLE_1)
	s_or_b32 exec_lo, exec_lo, s7
.LBB36_231:
	s_delay_alu instid0(SALU_CYCLE_1)
	s_or_b32 exec_lo, exec_lo, s5
.LBB36_232:
	s_delay_alu instid0(SALU_CYCLE_1)
	s_or_b32 exec_lo, exec_lo, s3
.LBB36_233:
	s_delay_alu instid0(SALU_CYCLE_1) | instskip(SKIP_2) | instid1(VALU_DEP_1)
	s_or_b32 exec_lo, exec_lo, s2
	v_mul_f32_e32 v46, v12, v46
	s_mov_b32 s2, exec_lo
	v_cmpx_nle_f32_e64 0x40a00000, |v46|
	s_cbranch_execz .LBB36_245
; %bb.234:
	v_mov_b32_e32 v48, 6
	s_mov_b32 s3, exec_lo
	v_cmpx_nle_f32_e64 0x40600000, |v46|
	s_cbranch_execz .LBB36_244
; %bb.235:
	v_mov_b32_e32 v48, 5
	;; [unrolled: 5-line block ×5, first 2 shown]
	s_mov_b32 s9, exec_lo
	v_cmpx_nle_f32_e64 0x3f400000, |v46|
; %bb.239:
	v_cmp_le_f32_e64 s10, 0x3e800000, |v46|
	s_delay_alu instid0(VALU_DEP_1)
	v_cndmask_b32_e64 v48, 0, 1, s10
; %bb.240:
	s_or_b32 exec_lo, exec_lo, s9
.LBB36_241:
	s_delay_alu instid0(SALU_CYCLE_1)
	s_or_b32 exec_lo, exec_lo, s8
.LBB36_242:
	s_delay_alu instid0(SALU_CYCLE_1)
	s_or_b32 exec_lo, exec_lo, s7
.LBB36_243:
	s_delay_alu instid0(SALU_CYCLE_1)
	s_or_b32 exec_lo, exec_lo, s5
.LBB36_244:
	s_delay_alu instid0(SALU_CYCLE_1)
	s_or_b32 exec_lo, exec_lo, s3
.LBB36_245:
	s_delay_alu instid0(SALU_CYCLE_1) | instskip(SKIP_3) | instid1(VALU_DEP_2)
	s_or_b32 exec_lo, exec_lo, s2
	v_dual_mul_f32 v58, v12, v43 :: v_dual_mov_b32 v43, 7
	v_mov_b32_e32 v57, 7
	s_mov_b32 s2, exec_lo
	v_cmpx_nle_f32_e64 0x40a00000, |v58|
	s_cbranch_execz .LBB36_257
; %bb.246:
	v_mov_b32_e32 v57, 6
	s_mov_b32 s3, exec_lo
	v_cmpx_nle_f32_e64 0x40600000, |v58|
	s_cbranch_execz .LBB36_256
; %bb.247:
	;; [unrolled: 5-line block ×5, first 2 shown]
	v_mov_b32_e32 v57, 2
	s_mov_b32 s9, exec_lo
	v_cmpx_nle_f32_e64 0x3f400000, |v58|
; %bb.251:
	v_cmp_le_f32_e64 s10, 0x3e800000, |v58|
	s_delay_alu instid0(VALU_DEP_1)
	v_cndmask_b32_e64 v57, 0, 1, s10
; %bb.252:
	s_or_b32 exec_lo, exec_lo, s9
.LBB36_253:
	s_delay_alu instid0(SALU_CYCLE_1)
	s_or_b32 exec_lo, exec_lo, s8
.LBB36_254:
	s_delay_alu instid0(SALU_CYCLE_1)
	s_or_b32 exec_lo, exec_lo, s7
.LBB36_255:
	s_delay_alu instid0(SALU_CYCLE_1)
	s_or_b32 exec_lo, exec_lo, s5
.LBB36_256:
	s_delay_alu instid0(SALU_CYCLE_1)
	s_or_b32 exec_lo, exec_lo, s3
.LBB36_257:
	s_delay_alu instid0(SALU_CYCLE_1) | instskip(SKIP_2) | instid1(VALU_DEP_1)
	s_or_b32 exec_lo, exec_lo, s2
	v_mul_f32_e32 v39, v12, v39
	s_mov_b32 s2, exec_lo
	v_cmpx_nle_f32_e64 0x40a00000, |v39|
	s_cbranch_execz .LBB36_269
; %bb.258:
	v_mov_b32_e32 v43, 6
	s_mov_b32 s3, exec_lo
	v_cmpx_nle_f32_e64 0x40600000, |v39|
	s_cbranch_execz .LBB36_268
; %bb.259:
	v_mov_b32_e32 v43, 5
	;; [unrolled: 5-line block ×5, first 2 shown]
	s_mov_b32 s9, exec_lo
	v_cmpx_nle_f32_e64 0x3f400000, |v39|
; %bb.263:
	v_cmp_le_f32_e64 s10, 0x3e800000, |v39|
	s_delay_alu instid0(VALU_DEP_1)
	v_cndmask_b32_e64 v43, 0, 1, s10
; %bb.264:
	s_or_b32 exec_lo, exec_lo, s9
.LBB36_265:
	s_delay_alu instid0(SALU_CYCLE_1)
	s_or_b32 exec_lo, exec_lo, s8
.LBB36_266:
	s_delay_alu instid0(SALU_CYCLE_1)
	s_or_b32 exec_lo, exec_lo, s7
.LBB36_267:
	s_delay_alu instid0(SALU_CYCLE_1)
	s_or_b32 exec_lo, exec_lo, s5
.LBB36_268:
	s_delay_alu instid0(SALU_CYCLE_1)
	s_or_b32 exec_lo, exec_lo, s3
.LBB36_269:
	s_delay_alu instid0(SALU_CYCLE_1) | instskip(SKIP_3) | instid1(VALU_DEP_2)
	s_or_b32 exec_lo, exec_lo, s2
	v_dual_mul_f32 v60, v12, v38 :: v_dual_mov_b32 v59, 7
	v_mov_b32_e32 v38, 7
	s_mov_b32 s2, exec_lo
	v_cmpx_nle_f32_e64 0x40a00000, |v60|
	s_cbranch_execz .LBB36_281
; %bb.270:
	v_mov_b32_e32 v59, 6
	s_mov_b32 s3, exec_lo
	v_cmpx_nle_f32_e64 0x40600000, |v60|
	s_cbranch_execz .LBB36_280
; %bb.271:
	;; [unrolled: 5-line block ×5, first 2 shown]
	v_mov_b32_e32 v59, 2
	s_mov_b32 s9, exec_lo
	v_cmpx_nle_f32_e64 0x3f400000, |v60|
; %bb.275:
	v_cmp_le_f32_e64 s10, 0x3e800000, |v60|
	s_delay_alu instid0(VALU_DEP_1)
	v_cndmask_b32_e64 v59, 0, 1, s10
; %bb.276:
	s_or_b32 exec_lo, exec_lo, s9
.LBB36_277:
	s_delay_alu instid0(SALU_CYCLE_1)
	s_or_b32 exec_lo, exec_lo, s8
.LBB36_278:
	s_delay_alu instid0(SALU_CYCLE_1)
	s_or_b32 exec_lo, exec_lo, s7
.LBB36_279:
	s_delay_alu instid0(SALU_CYCLE_1)
	s_or_b32 exec_lo, exec_lo, s5
.LBB36_280:
	s_delay_alu instid0(SALU_CYCLE_1)
	s_or_b32 exec_lo, exec_lo, s3
.LBB36_281:
	s_delay_alu instid0(SALU_CYCLE_1) | instskip(SKIP_2) | instid1(VALU_DEP_1)
	s_or_b32 exec_lo, exec_lo, s2
	v_mul_f32_e32 v34, v12, v34
	s_mov_b32 s2, exec_lo
	v_cmpx_nle_f32_e64 0x40a00000, |v34|
	s_cbranch_execz .LBB36_293
; %bb.282:
	v_mov_b32_e32 v38, 6
	s_mov_b32 s3, exec_lo
	v_cmpx_nle_f32_e64 0x40600000, |v34|
	s_cbranch_execz .LBB36_292
; %bb.283:
	v_mov_b32_e32 v38, 5
	;; [unrolled: 5-line block ×5, first 2 shown]
	s_mov_b32 s9, exec_lo
	v_cmpx_nle_f32_e64 0x3f400000, |v34|
; %bb.287:
	v_cmp_le_f32_e64 s10, 0x3e800000, |v34|
	s_delay_alu instid0(VALU_DEP_1)
	v_cndmask_b32_e64 v38, 0, 1, s10
; %bb.288:
	s_or_b32 exec_lo, exec_lo, s9
.LBB36_289:
	s_delay_alu instid0(SALU_CYCLE_1)
	s_or_b32 exec_lo, exec_lo, s8
.LBB36_290:
	s_delay_alu instid0(SALU_CYCLE_1)
	s_or_b32 exec_lo, exec_lo, s7
.LBB36_291:
	s_delay_alu instid0(SALU_CYCLE_1)
	s_or_b32 exec_lo, exec_lo, s5
.LBB36_292:
	s_delay_alu instid0(SALU_CYCLE_1)
	s_or_b32 exec_lo, exec_lo, s3
.LBB36_293:
	s_delay_alu instid0(SALU_CYCLE_1) | instskip(SKIP_3) | instid1(VALU_DEP_2)
	s_or_b32 exec_lo, exec_lo, s2
	v_dual_mul_f32 v62, v12, v32 :: v_dual_mov_b32 v61, 7
	v_mov_b32_e32 v32, 7
	s_mov_b32 s2, exec_lo
	v_cmpx_nle_f32_e64 0x40a00000, |v62|
	s_cbranch_execz .LBB36_305
; %bb.294:
	v_mov_b32_e32 v61, 6
	s_mov_b32 s3, exec_lo
	v_cmpx_nle_f32_e64 0x40600000, |v62|
	s_cbranch_execz .LBB36_304
; %bb.295:
	;; [unrolled: 5-line block ×5, first 2 shown]
	v_mov_b32_e32 v61, 2
	s_mov_b32 s9, exec_lo
	v_cmpx_nle_f32_e64 0x3f400000, |v62|
; %bb.299:
	v_cmp_le_f32_e64 s10, 0x3e800000, |v62|
	s_delay_alu instid0(VALU_DEP_1)
	v_cndmask_b32_e64 v61, 0, 1, s10
; %bb.300:
	s_or_b32 exec_lo, exec_lo, s9
.LBB36_301:
	s_delay_alu instid0(SALU_CYCLE_1)
	s_or_b32 exec_lo, exec_lo, s8
.LBB36_302:
	s_delay_alu instid0(SALU_CYCLE_1)
	s_or_b32 exec_lo, exec_lo, s7
.LBB36_303:
	s_delay_alu instid0(SALU_CYCLE_1)
	s_or_b32 exec_lo, exec_lo, s5
.LBB36_304:
	s_delay_alu instid0(SALU_CYCLE_1)
	s_or_b32 exec_lo, exec_lo, s3
.LBB36_305:
	s_delay_alu instid0(SALU_CYCLE_1) | instskip(SKIP_2) | instid1(VALU_DEP_1)
	s_or_b32 exec_lo, exec_lo, s2
	v_mul_f32_e32 v27, v12, v27
	s_mov_b32 s2, exec_lo
	v_cmpx_nle_f32_e64 0x40a00000, |v27|
	s_cbranch_execz .LBB36_317
; %bb.306:
	v_mov_b32_e32 v32, 6
	s_mov_b32 s3, exec_lo
	v_cmpx_nle_f32_e64 0x40600000, |v27|
	s_cbranch_execz .LBB36_316
; %bb.307:
	v_mov_b32_e32 v32, 5
	s_mov_b32 s5, exec_lo
	v_cmpx_nle_f32_e64 0x40200000, |v27|
	s_cbranch_execz .LBB36_315
; %bb.308:
	v_mov_b32_e32 v32, 4
	s_mov_b32 s7, exec_lo
	v_cmpx_nle_f32_e64 0x3fe00000, |v27|
	s_cbranch_execz .LBB36_314
; %bb.309:
	v_mov_b32_e32 v32, 3
	s_mov_b32 s8, exec_lo
	v_cmpx_nle_f32_e64 0x3fa00000, |v27|
	s_cbranch_execz .LBB36_313
; %bb.310:
	v_mov_b32_e32 v32, 2
	s_mov_b32 s9, exec_lo
	v_cmpx_nle_f32_e64 0x3f400000, |v27|
; %bb.311:
	v_cmp_le_f32_e64 s10, 0x3e800000, |v27|
	s_delay_alu instid0(VALU_DEP_1)
	v_cndmask_b32_e64 v32, 0, 1, s10
; %bb.312:
	s_or_b32 exec_lo, exec_lo, s9
.LBB36_313:
	s_delay_alu instid0(SALU_CYCLE_1)
	s_or_b32 exec_lo, exec_lo, s8
.LBB36_314:
	s_delay_alu instid0(SALU_CYCLE_1)
	s_or_b32 exec_lo, exec_lo, s7
.LBB36_315:
	s_delay_alu instid0(SALU_CYCLE_1)
	s_or_b32 exec_lo, exec_lo, s5
.LBB36_316:
	s_delay_alu instid0(SALU_CYCLE_1)
	s_or_b32 exec_lo, exec_lo, s3
.LBB36_317:
	s_delay_alu instid0(SALU_CYCLE_1) | instskip(SKIP_3) | instid1(VALU_DEP_2)
	s_or_b32 exec_lo, exec_lo, s2
	v_dual_mul_f32 v64, v12, v25 :: v_dual_mov_b32 v25, 7
	v_mov_b32_e32 v63, 7
	s_mov_b32 s2, exec_lo
	v_cmpx_nle_f32_e64 0x40a00000, |v64|
	s_cbranch_execz .LBB36_329
; %bb.318:
	v_mov_b32_e32 v63, 6
	s_mov_b32 s3, exec_lo
	v_cmpx_nle_f32_e64 0x40600000, |v64|
	s_cbranch_execz .LBB36_328
; %bb.319:
	;; [unrolled: 5-line block ×5, first 2 shown]
	v_mov_b32_e32 v63, 2
	s_mov_b32 s9, exec_lo
	v_cmpx_nle_f32_e64 0x3f400000, |v64|
; %bb.323:
	v_cmp_le_f32_e64 s10, 0x3e800000, |v64|
	s_delay_alu instid0(VALU_DEP_1)
	v_cndmask_b32_e64 v63, 0, 1, s10
; %bb.324:
	s_or_b32 exec_lo, exec_lo, s9
.LBB36_325:
	s_delay_alu instid0(SALU_CYCLE_1)
	s_or_b32 exec_lo, exec_lo, s8
.LBB36_326:
	s_delay_alu instid0(SALU_CYCLE_1)
	s_or_b32 exec_lo, exec_lo, s7
.LBB36_327:
	s_delay_alu instid0(SALU_CYCLE_1)
	s_or_b32 exec_lo, exec_lo, s5
.LBB36_328:
	s_delay_alu instid0(SALU_CYCLE_1)
	s_or_b32 exec_lo, exec_lo, s3
.LBB36_329:
	s_delay_alu instid0(SALU_CYCLE_1) | instskip(SKIP_2) | instid1(VALU_DEP_1)
	s_or_b32 exec_lo, exec_lo, s2
	v_mul_f32_e32 v21, v12, v21
	s_mov_b32 s2, exec_lo
	v_cmpx_nle_f32_e64 0x40a00000, |v21|
	s_cbranch_execz .LBB36_341
; %bb.330:
	v_mov_b32_e32 v25, 6
	s_mov_b32 s3, exec_lo
	v_cmpx_nle_f32_e64 0x40600000, |v21|
	s_cbranch_execz .LBB36_340
; %bb.331:
	v_mov_b32_e32 v25, 5
	;; [unrolled: 5-line block ×5, first 2 shown]
	s_mov_b32 s9, exec_lo
	v_cmpx_nle_f32_e64 0x3f400000, |v21|
; %bb.335:
	v_cmp_le_f32_e64 s10, 0x3e800000, |v21|
	s_delay_alu instid0(VALU_DEP_1)
	v_cndmask_b32_e64 v25, 0, 1, s10
; %bb.336:
	s_or_b32 exec_lo, exec_lo, s9
.LBB36_337:
	s_delay_alu instid0(SALU_CYCLE_1)
	s_or_b32 exec_lo, exec_lo, s8
.LBB36_338:
	s_delay_alu instid0(SALU_CYCLE_1)
	s_or_b32 exec_lo, exec_lo, s7
.LBB36_339:
	s_delay_alu instid0(SALU_CYCLE_1)
	s_or_b32 exec_lo, exec_lo, s5
.LBB36_340:
	s_delay_alu instid0(SALU_CYCLE_1)
	s_or_b32 exec_lo, exec_lo, s3
.LBB36_341:
	s_delay_alu instid0(SALU_CYCLE_1) | instskip(SKIP_3) | instid1(VALU_DEP_2)
	s_or_b32 exec_lo, exec_lo, s2
	v_dual_mul_f32 v65, v12, v19 :: v_dual_mov_b32 v66, 7
	v_mov_b32_e32 v19, 7
	s_mov_b32 s2, exec_lo
	v_cmpx_nle_f32_e64 0x40a00000, |v65|
	s_cbranch_execz .LBB36_353
; %bb.342:
	v_mov_b32_e32 v66, 6
	s_mov_b32 s3, exec_lo
	v_cmpx_nle_f32_e64 0x40600000, |v65|
	s_cbranch_execz .LBB36_352
; %bb.343:
	v_mov_b32_e32 v66, 5
	s_mov_b32 s5, exec_lo
	v_cmpx_nle_f32_e64 0x40200000, |v65|
	s_cbranch_execz .LBB36_351
; %bb.344:
	v_mov_b32_e32 v66, 4
	s_mov_b32 s7, exec_lo
	v_cmpx_nle_f32_e64 0x3fe00000, |v65|
	s_cbranch_execz .LBB36_350
; %bb.345:
	v_mov_b32_e32 v66, 3
	s_mov_b32 s8, exec_lo
	v_cmpx_nle_f32_e64 0x3fa00000, |v65|
	s_cbranch_execz .LBB36_349
; %bb.346:
	v_mov_b32_e32 v66, 2
	s_mov_b32 s9, exec_lo
	v_cmpx_nle_f32_e64 0x3f400000, |v65|
; %bb.347:
	v_cmp_le_f32_e64 s10, 0x3e800000, |v65|
	s_delay_alu instid0(VALU_DEP_1)
	v_cndmask_b32_e64 v66, 0, 1, s10
; %bb.348:
	s_or_b32 exec_lo, exec_lo, s9
.LBB36_349:
	s_delay_alu instid0(SALU_CYCLE_1)
	s_or_b32 exec_lo, exec_lo, s8
.LBB36_350:
	s_delay_alu instid0(SALU_CYCLE_1)
	s_or_b32 exec_lo, exec_lo, s7
.LBB36_351:
	s_delay_alu instid0(SALU_CYCLE_1)
	s_or_b32 exec_lo, exec_lo, s5
.LBB36_352:
	s_delay_alu instid0(SALU_CYCLE_1)
	s_or_b32 exec_lo, exec_lo, s3
.LBB36_353:
	s_delay_alu instid0(SALU_CYCLE_1) | instskip(SKIP_2) | instid1(VALU_DEP_1)
	s_or_b32 exec_lo, exec_lo, s2
	v_mul_f32_e32 v15, v12, v15
	s_mov_b32 s2, exec_lo
	v_cmpx_nle_f32_e64 0x40a00000, |v15|
	s_cbranch_execz .LBB36_365
; %bb.354:
	v_mov_b32_e32 v19, 6
	s_mov_b32 s3, exec_lo
	v_cmpx_nle_f32_e64 0x40600000, |v15|
	s_cbranch_execz .LBB36_364
; %bb.355:
	v_mov_b32_e32 v19, 5
	;; [unrolled: 5-line block ×5, first 2 shown]
	s_mov_b32 s9, exec_lo
	v_cmpx_nle_f32_e64 0x3f400000, |v15|
; %bb.359:
	v_cmp_le_f32_e64 s10, 0x3e800000, |v15|
	s_delay_alu instid0(VALU_DEP_1)
	v_cndmask_b32_e64 v19, 0, 1, s10
; %bb.360:
	s_or_b32 exec_lo, exec_lo, s9
.LBB36_361:
	s_delay_alu instid0(SALU_CYCLE_1)
	s_or_b32 exec_lo, exec_lo, s8
.LBB36_362:
	s_delay_alu instid0(SALU_CYCLE_1)
	s_or_b32 exec_lo, exec_lo, s7
.LBB36_363:
	s_delay_alu instid0(SALU_CYCLE_1)
	s_or_b32 exec_lo, exec_lo, s5
.LBB36_364:
	s_delay_alu instid0(SALU_CYCLE_1)
	s_or_b32 exec_lo, exec_lo, s3
.LBB36_365:
	s_delay_alu instid0(SALU_CYCLE_1) | instskip(SKIP_4) | instid1(VALU_DEP_2)
	s_or_b32 exec_lo, exec_lo, s2
	s_load_b64 s[2:3], s[0:1], 0x10
	v_dual_mul_f32 v67, v12, v13 :: v_dual_mov_b32 v68, 7
	v_mov_b32_e32 v13, 7
	s_mov_b32 s5, exec_lo
	v_cmpx_nle_f32_e64 0x40a00000, |v67|
	s_cbranch_execz .LBB36_377
; %bb.366:
	v_mov_b32_e32 v68, 6
	s_mov_b32 s7, exec_lo
	v_cmpx_nle_f32_e64 0x40600000, |v67|
	s_cbranch_execz .LBB36_376
; %bb.367:
	;; [unrolled: 5-line block ×5, first 2 shown]
	v_mov_b32_e32 v68, 2
	s_mov_b32 s11, exec_lo
	v_cmpx_nle_f32_e64 0x3f400000, |v67|
; %bb.371:
	v_cmp_le_f32_e64 s12, 0x3e800000, |v67|
	s_delay_alu instid0(VALU_DEP_1)
	v_cndmask_b32_e64 v68, 0, 1, s12
; %bb.372:
	s_or_b32 exec_lo, exec_lo, s11
.LBB36_373:
	s_delay_alu instid0(SALU_CYCLE_1)
	s_or_b32 exec_lo, exec_lo, s10
.LBB36_374:
	s_delay_alu instid0(SALU_CYCLE_1)
	s_or_b32 exec_lo, exec_lo, s9
.LBB36_375:
	s_delay_alu instid0(SALU_CYCLE_1)
	s_or_b32 exec_lo, exec_lo, s8
.LBB36_376:
	s_delay_alu instid0(SALU_CYCLE_1)
	s_or_b32 exec_lo, exec_lo, s7
.LBB36_377:
	s_delay_alu instid0(SALU_CYCLE_1) | instskip(SKIP_3) | instid1(VALU_DEP_1)
	s_or_b32 exec_lo, exec_lo, s5
	s_load_b64 s[0:1], s[0:1], 0x8
	v_mul_f32_e32 v8, v12, v8
	s_mov_b32 s5, exec_lo
	v_cmpx_nle_f32_e64 0x40a00000, |v8|
	s_cbranch_execz .LBB36_389
; %bb.378:
	v_mov_b32_e32 v13, 6
	s_mov_b32 s7, exec_lo
	v_cmpx_nle_f32_e64 0x40600000, |v8|
	s_cbranch_execz .LBB36_388
; %bb.379:
	v_mov_b32_e32 v13, 5
	;; [unrolled: 5-line block ×5, first 2 shown]
	s_mov_b32 s11, exec_lo
	v_cmpx_nle_f32_e64 0x3f400000, |v8|
; %bb.383:
	v_cmp_le_f32_e64 s12, 0x3e800000, |v8|
	s_delay_alu instid0(VALU_DEP_1)
	v_cndmask_b32_e64 v13, 0, 1, s12
; %bb.384:
	s_or_b32 exec_lo, exec_lo, s11
.LBB36_385:
	s_delay_alu instid0(SALU_CYCLE_1)
	s_or_b32 exec_lo, exec_lo, s10
.LBB36_386:
	s_delay_alu instid0(SALU_CYCLE_1)
	s_or_b32 exec_lo, exec_lo, s9
.LBB36_387:
	s_delay_alu instid0(SALU_CYCLE_1)
	s_or_b32 exec_lo, exec_lo, s8
.LBB36_388:
	s_delay_alu instid0(SALU_CYCLE_1)
	s_or_b32 exec_lo, exec_lo, s7
.LBB36_389:
	s_delay_alu instid0(SALU_CYCLE_1)
	s_or_b32 exec_lo, exec_lo, s5
	v_cmp_gt_f32_e32 vcc_lo, 0, v67
	v_lshlrev_b16 v6, 4, v6
	v_lshlrev_b16 v25, 4, v25
	;; [unrolled: 1-line block ×4, first 2 shown]
	v_cndmask_b32_e64 v12, 0, 1, vcc_lo
	v_cmp_gt_f32_e32 vcc_lo, 0, v65
	s_lshr_b32 s5, s4, 31
	s_delay_alu instid0(SALU_CYCLE_1) | instskip(NEXT) | instid1(VALU_DEP_2)
	s_add_i32 s4, s4, s5
	v_lshlrev_b16 v12, 3, v12
	v_cndmask_b32_e64 v65, 0, 1, vcc_lo
	v_cmp_gt_f32_e32 vcc_lo, 0, v64
	s_ashr_i32 s4, s4, 1
	s_delay_alu instid0(SALU_CYCLE_1) | instskip(NEXT) | instid1(VALU_DEP_2)
	s_ashr_i32 s5, s4, 31
	v_lshlrev_b16 v65, 3, v65
	v_cndmask_b32_e64 v64, 0, 1, vcc_lo
	v_cmp_gt_f32_e32 vcc_lo, 0, v62
	v_or_b32_e32 v12, v12, v68
	v_mul_lo_u32 v1, v1, s4
	v_or_b32_e32 v65, v65, v66
	v_lshlrev_b16 v64, 3, v64
	v_cndmask_b32_e64 v62, 0, 1, vcc_lo
	v_cmp_gt_f32_e32 vcc_lo, 0, v60
	s_delay_alu instid0(VALU_DEP_3) | instskip(NEXT) | instid1(VALU_DEP_3)
	v_or_b32_e32 v63, v64, v63
	v_lshlrev_b16 v62, 3, v62
	v_cndmask_b32_e64 v60, 0, 1, vcc_lo
	v_cmp_gt_f32_e32 vcc_lo, 0, v58
	s_delay_alu instid0(VALU_DEP_3) | instskip(NEXT) | instid1(VALU_DEP_3)
	;; [unrolled: 5-line block ×10, first 2 shown]
	v_or_b32_e32 v29, v29, v30
	v_lshlrev_b16 v24, 3, v24
	v_cndmask_b32_e64 v18, 0, 1, vcc_lo
	v_cmp_gt_f32_e32 vcc_lo, 0, v5
	s_delay_alu instid0(VALU_DEP_2) | instskip(SKIP_2) | instid1(VALU_DEP_2)
	v_lshlrev_b16 v18, 3, v18
	v_cndmask_b32_e64 v5, 0, 1, vcc_lo
	v_cmp_gt_f32_e32 vcc_lo, 0, v7
	v_lshlrev_b16 v5, 3, v5
	v_cndmask_b32_e64 v7, 0, 1, vcc_lo
	v_cmp_gt_f32_e32 vcc_lo, 0, v10
	s_delay_alu instid0(VALU_DEP_3) | instskip(NEXT) | instid1(VALU_DEP_3)
	v_or_b32_e32 v4, v5, v4
	v_lshlrev_b16 v7, 7, v7
	v_cndmask_b32_e64 v10, 0, 1, vcc_lo
	v_cmp_gt_f32_e32 vcc_lo, 0, v14
	s_delay_alu instid0(VALU_DEP_3)
	v_or_b32_e32 v5, v7, v6
	v_lshlrev_b16 v6, 4, v11
	v_cndmask_b32_e64 v14, 0, 1, vcc_lo
	v_cmp_gt_f32_e32 vcc_lo, 0, v20
	v_lshlrev_b16 v10, 3, v10
	v_or_b32_e32 v4, v5, v4
	v_or_b32_e32 v11, v24, v23
	v_lshlrev_b16 v7, 7, v14
	v_or_b32_e32 v14, v18, v17
	v_or_b32_e32 v9, v10, v9
	v_lshlrev_b16 v10, 4, v22
	v_lshlrev_b16 v22, 4, v33
	v_or_b32_e32 v5, v7, v6
	v_cndmask_b32_e64 v6, 0, 1, vcc_lo
	v_cmp_gt_f32_e32 vcc_lo, 0, v26
	v_lshlrev_b16 v23, 4, v40
	s_delay_alu instid0(VALU_DEP_4)
	v_or_b32_e32 v9, v5, v9
	v_lshlrev_b16 v5, 4, v16
	v_cndmask_b32_e64 v7, 0, 1, vcc_lo
	v_cmp_gt_f32_e32 vcc_lo, 0, v31
	v_lshlrev_b16 v6, 7, v6
	v_lshlrev_b16 v16, 4, v28
	;; [unrolled: 1-line block ×4, first 2 shown]
	v_cndmask_b32_e64 v17, 0, 1, vcc_lo
	v_cmp_gt_f32_e32 vcc_lo, 0, v37
	v_or_b32_e32 v5, v6, v5
	v_or_b32_e32 v4, v4, v9
	;; [unrolled: 1-line block ×3, first 2 shown]
	v_lshlrev_b16 v17, 7, v17
	v_cndmask_b32_e64 v18, 0, 1, vcc_lo
	v_cmp_gt_f32_e32 vcc_lo, 0, v41
	v_or_b32_e32 v14, v5, v14
	v_or_b32_e32 v11, v6, v11
	;; [unrolled: 1-line block ×3, first 2 shown]
	v_lshlrev_b16 v18, 7, v18
	v_cndmask_b32_e64 v20, 0, 1, vcc_lo
	v_cmp_gt_f32_e32 vcc_lo, 0, v52
	v_lshlrev_b16 v6, 4, v51
	v_lshlrev_b16 v5, 4, v45
	v_or_b32_e32 v10, v18, v22
	v_lshlrev_b16 v20, 7, v20
	v_cndmask_b32_e64 v17, 0, 1, vcc_lo
	v_cmp_gt_f32_e32 vcc_lo, 0, v46
	v_lshlrev_b16 v22, 4, v48
	v_or_b32_e32 v10, v10, v35
	v_or_b32_e32 v16, v20, v23
	v_lshlrev_b16 v17, 7, v17
	v_cndmask_b32_e64 v18, 0, 1, vcc_lo
	v_cmp_gt_f32_e32 vcc_lo, 0, v39
	v_lshlrev_b16 v23, 4, v43
	v_or_b32_e32 v7, v7, v29
	v_or_b32_e32 v6, v17, v6
	v_lshlrev_b16 v18, 7, v18
	v_cndmask_b32_e64 v20, 0, 1, vcc_lo
	v_cmp_gt_f32_e32 vcc_lo, 0, v47
	v_or_b32_e32 v16, v16, v42
	v_or_b32_e32 v6, v6, v53
	;; [unrolled: 1-line block ×3, first 2 shown]
	v_lshlrev_b16 v20, 7, v20
	v_cndmask_b32_e64 v24, 0, 1, vcc_lo
	v_cmp_gt_f32_e32 vcc_lo, 0, v34
	v_lshlrev_b16 v22, 4, v38
	v_or_b32_e32 v17, v17, v55
	v_or_b32_e32 v18, v20, v23
	v_lshlrev_b16 v23, 4, v32
	v_cndmask_b32_e64 v20, 0, 1, vcc_lo
	v_cmp_gt_f32_e32 vcc_lo, 0, v21
	v_lshlrev_b16 v17, 8, v17
	v_or_b32_e32 v18, v18, v57
	v_lshlrev_b16 v11, 8, v11
	v_lshlrev_b16 v20, 7, v20
	v_cndmask_b32_e64 v21, 0, 1, vcc_lo
	v_cmp_gt_f32_e32 vcc_lo, 0, v27
	v_or_b32_e32 v6, v6, v17
	s_delay_alu instid0(VALU_DEP_3) | instskip(SKIP_2) | instid1(VALU_DEP_3)
	v_lshlrev_b16 v21, 7, v21
	v_cndmask_b32_e64 v26, 0, 1, vcc_lo
	v_cmp_gt_f32_e32 vcc_lo, 0, v8
	v_or_b32_e32 v21, v21, v25
	s_delay_alu instid0(VALU_DEP_3) | instskip(SKIP_2) | instid1(VALU_DEP_2)
	v_lshlrev_b16 v26, 7, v26
	v_cndmask_b32_e64 v8, 0, 1, vcc_lo
	v_cmp_gt_f32_e32 vcc_lo, 0, v15
	v_lshlrev_b16 v8, 7, v8
	v_cndmask_b32_e64 v15, 0, 1, vcc_lo
	s_delay_alu instid0(VALU_DEP_2) | instskip(NEXT) | instid1(VALU_DEP_2)
	v_or_b32_e32 v8, v8, v13
	v_lshlrev_b16 v15, 7, v15
	v_or_b32_e32 v13, v20, v22
	v_or_b32_e32 v20, v26, v23
	s_delay_alu instid0(VALU_DEP_4) | instskip(NEXT) | instid1(VALU_DEP_4)
	v_or_b32_e32 v8, v8, v12
	v_or_b32_e32 v15, v15, v19
	;; [unrolled: 1-line block ×5, first 2 shown]
	v_lshlrev_b16 v8, 8, v8
	v_or_b32_e32 v15, v15, v65
	v_lshlrev_b16 v19, 8, v19
	v_lshlrev_b16 v12, 8, v12
	;; [unrolled: 1-line block ×3, first 2 shown]
	s_delay_alu instid0(VALU_DEP_4) | instskip(NEXT) | instid1(VALU_DEP_4)
	v_or_b32_e32 v8, v15, v8
	v_or_b32_e32 v13, v13, v19
	s_delay_alu instid0(VALU_DEP_4) | instskip(NEXT) | instid1(VALU_DEP_4)
	v_or_b32_e32 v12, v18, v12
	v_or_b32_e32 v5, v20, v5
	v_ashrrev_i32_e32 v18, 31, v0
	v_lshlrev_b32_e32 v8, 16, v8
	v_and_b32_e32 v13, 0xffff, v13
	v_and_b32_e32 v15, 0xffff, v6
	v_lshlrev_b32_e32 v12, 16, v12
	v_or_b32_e32 v17, v5, v49
	v_lshrrev_b32_e32 v19, 23, v3
	v_or_b32_e32 v6, v13, v8
	v_lshrrev_b32_e32 v8, 27, v18
	v_or_b32_e32 v5, v15, v12
	v_lshlrev_b16 v3, 8, v10
	v_lshlrev_b16 v10, 8, v17
	s_delay_alu instid0(VALU_DEP_4) | instskip(SKIP_1) | instid1(VALU_DEP_4)
	v_add_nc_u32_e32 v12, v0, v8
	v_or_b32_e32 v8, v14, v11
	v_or_b32_e32 v3, v7, v3
	s_delay_alu instid0(VALU_DEP_4)
	v_or_b32_e32 v7, v16, v10
	v_and_b32_e32 v10, 0xffff, v4
	v_and_b32_e32 v9, 0xffe0, v12
	v_lshlrev_b32_e32 v8, 16, v8
	v_and_b32_e32 v3, 0xffff, v3
	v_lshlrev_b32_e32 v7, 16, v7
	v_lshrrev_b32_e32 v11, 28, v18
	v_sub_nc_u32_e32 v9, v0, v9
	v_lshlrev_b32_e32 v14, 8, v2
	s_delay_alu instid0(VALU_DEP_4) | instskip(SKIP_1) | instid1(VALU_DEP_4)
	v_or_b32_e32 v4, v3, v7
	v_or_b32_e32 v3, v10, v8
	v_bfe_i32 v7, v9, 0, 8
	v_lshlrev_b32_e32 v8, 4, v0
	v_and_b32_e32 v10, -16, v0
	v_add_nc_u32_e32 v11, v0, v11
	s_delay_alu instid0(VALU_DEP_4) | instskip(NEXT) | instid1(VALU_DEP_4)
	v_lshrrev_b16 v7, 11, v7
	v_and_b32_e32 v13, 0xf0, v8
	s_delay_alu instid0(VALU_DEP_4) | instskip(NEXT) | instid1(VALU_DEP_4)
	v_mul_lo_u32 v15, v10, s5
	v_and_b32_e32 v11, 0x3ffffff0, v11
	s_delay_alu instid0(VALU_DEP_4)
	v_and_b32_e32 v16, 15, v7
	s_waitcnt lgkmcnt(0)
	v_mad_u64_u32 v[7:8], null, v10, s4, s[0:1]
	v_lshrrev_b32_e32 v10, 5, v12
	v_lshlrev_b32_e32 v12, 6, v2
	v_add_nc_u16 v9, v9, v16
	v_sub_nc_u32_e32 v0, v0, v11
	v_and_b32_e32 v16, 0x3fffff8, v2
	v_mul_lo_u32 v10, v10, s6
	v_and_b32_e32 v12, 0xc0, v12
	v_bfe_i32 v9, v9, 0, 8
	v_lshrrev_b32_e32 v2, 1, v2
	v_add3_u32 v1, v1, v8, v15
	v_and_b32_e32 v11, 0x7ffffe00, v14
	v_lshl_add_u32 v0, v0, 2, v12
	v_ashrrev_i16 v9, 4, v9
	v_add_lshl_u32 v8, v10, v16, 5
	v_and_b32_e32 v12, 0x100, v14
	s_delay_alu instid0(VALU_DEP_4) | instskip(NEXT) | instid1(VALU_DEP_4)
	v_and_or_b32 v0, v2, 2, v0
	v_bfe_i32 v9, v9, 0, 16
	v_add_co_u32 v2, vcc_lo, v7, v13
	v_add_co_ci_u32_e32 v1, vcc_lo, 0, v1, vcc_lo
	s_delay_alu instid0(VALU_DEP_3) | instskip(NEXT) | instid1(VALU_DEP_3)
	v_add3_u32 v7, v0, v8, v9
	v_add_co_u32 v0, vcc_lo, v2, v11
	s_delay_alu instid0(VALU_DEP_3) | instskip(NEXT) | instid1(VALU_DEP_3)
	v_add_co_ci_u32_e32 v1, vcc_lo, 0, v1, vcc_lo
	v_ashrrev_i32_e32 v2, 31, v7
	s_delay_alu instid0(VALU_DEP_3) | instskip(NEXT) | instid1(VALU_DEP_3)
	v_add_co_u32 v0, vcc_lo, v0, v12
	v_add_co_ci_u32_e32 v1, vcc_lo, 0, v1, vcc_lo
	v_add_co_u32 v7, vcc_lo, s2, v7
	s_delay_alu instid0(VALU_DEP_4)
	v_add_co_ci_u32_e32 v8, vcc_lo, s3, v2, vcc_lo
	global_store_b128 v[0:1], v[3:6], off
	global_store_b8 v[7:8], v19, off
.LBB36_390:
	s_nop 0
	s_sendmsg sendmsg(MSG_DEALLOC_VGPRS)
	s_endpgm
	.section	.rodata,"a",@progbits
	.p2align	6, 0x0
	.amdhsa_kernel _ZN5aiter18quant_mxfp4_kernelI12hip_bfloat16LNS_16MxScaleRoundModeE3ELb1ELb0ELb1EEEvPKT_PhPfliiib
		.amdhsa_group_segment_fixed_size 0
		.amdhsa_private_segment_fixed_size 0
		.amdhsa_kernarg_size 304
		.amdhsa_user_sgpr_count 15
		.amdhsa_user_sgpr_dispatch_ptr 0
		.amdhsa_user_sgpr_queue_ptr 0
		.amdhsa_user_sgpr_kernarg_segment_ptr 1
		.amdhsa_user_sgpr_dispatch_id 0
		.amdhsa_user_sgpr_private_segment_size 0
		.amdhsa_wavefront_size32 1
		.amdhsa_uses_dynamic_stack 0
		.amdhsa_enable_private_segment 0
		.amdhsa_system_sgpr_workgroup_id_x 1
		.amdhsa_system_sgpr_workgroup_id_y 0
		.amdhsa_system_sgpr_workgroup_id_z 0
		.amdhsa_system_sgpr_workgroup_info 0
		.amdhsa_system_vgpr_workitem_id 0
		.amdhsa_next_free_vgpr 69
		.amdhsa_next_free_sgpr 16
		.amdhsa_reserve_vcc 1
		.amdhsa_float_round_mode_32 0
		.amdhsa_float_round_mode_16_64 0
		.amdhsa_float_denorm_mode_32 3
		.amdhsa_float_denorm_mode_16_64 3
		.amdhsa_dx10_clamp 1
		.amdhsa_ieee_mode 1
		.amdhsa_fp16_overflow 0
		.amdhsa_workgroup_processor_mode 1
		.amdhsa_memory_ordered 1
		.amdhsa_forward_progress 0
		.amdhsa_shared_vgpr_count 0
		.amdhsa_exception_fp_ieee_invalid_op 0
		.amdhsa_exception_fp_denorm_src 0
		.amdhsa_exception_fp_ieee_div_zero 0
		.amdhsa_exception_fp_ieee_overflow 0
		.amdhsa_exception_fp_ieee_underflow 0
		.amdhsa_exception_fp_ieee_inexact 0
		.amdhsa_exception_int_div_zero 0
	.end_amdhsa_kernel
	.section	.text._ZN5aiter18quant_mxfp4_kernelI12hip_bfloat16LNS_16MxScaleRoundModeE3ELb1ELb0ELb1EEEvPKT_PhPfliiib,"axG",@progbits,_ZN5aiter18quant_mxfp4_kernelI12hip_bfloat16LNS_16MxScaleRoundModeE3ELb1ELb0ELb1EEEvPKT_PhPfliiib,comdat
.Lfunc_end36:
	.size	_ZN5aiter18quant_mxfp4_kernelI12hip_bfloat16LNS_16MxScaleRoundModeE3ELb1ELb0ELb1EEEvPKT_PhPfliiib, .Lfunc_end36-_ZN5aiter18quant_mxfp4_kernelI12hip_bfloat16LNS_16MxScaleRoundModeE3ELb1ELb0ELb1EEEvPKT_PhPfliiib
                                        ; -- End function
	.section	.AMDGPU.csdata,"",@progbits
; Kernel info:
; codeLenInByte = 10184
; NumSgprs: 18
; NumVgprs: 69
; ScratchSize: 0
; MemoryBound: 0
; FloatMode: 240
; IeeeMode: 1
; LDSByteSize: 0 bytes/workgroup (compile time only)
; SGPRBlocks: 2
; VGPRBlocks: 8
; NumSGPRsForWavesPerEU: 18
; NumVGPRsForWavesPerEU: 69
; Occupancy: 16
; WaveLimiterHint : 0
; COMPUTE_PGM_RSRC2:SCRATCH_EN: 0
; COMPUTE_PGM_RSRC2:USER_SGPR: 15
; COMPUTE_PGM_RSRC2:TRAP_HANDLER: 0
; COMPUTE_PGM_RSRC2:TGID_X_EN: 1
; COMPUTE_PGM_RSRC2:TGID_Y_EN: 0
; COMPUTE_PGM_RSRC2:TGID_Z_EN: 0
; COMPUTE_PGM_RSRC2:TIDIG_COMP_CNT: 0
	.section	.text._ZN5aiter18quant_mxfp4_kernelI12hip_bfloat16LNS_16MxScaleRoundModeE3ELb1ELb0ELb0EEEvPKT_PhPfliiib,"axG",@progbits,_ZN5aiter18quant_mxfp4_kernelI12hip_bfloat16LNS_16MxScaleRoundModeE3ELb1ELb0ELb0EEEvPKT_PhPfliiib,comdat
	.protected	_ZN5aiter18quant_mxfp4_kernelI12hip_bfloat16LNS_16MxScaleRoundModeE3ELb1ELb0ELb0EEEvPKT_PhPfliiib ; -- Begin function _ZN5aiter18quant_mxfp4_kernelI12hip_bfloat16LNS_16MxScaleRoundModeE3ELb1ELb0ELb0EEEvPKT_PhPfliiib
	.globl	_ZN5aiter18quant_mxfp4_kernelI12hip_bfloat16LNS_16MxScaleRoundModeE3ELb1ELb0ELb0EEEvPKT_PhPfliiib
	.p2align	8
	.type	_ZN5aiter18quant_mxfp4_kernelI12hip_bfloat16LNS_16MxScaleRoundModeE3ELb1ELb0ELb0EEEvPKT_PhPfliiib,@function
_ZN5aiter18quant_mxfp4_kernelI12hip_bfloat16LNS_16MxScaleRoundModeE3ELb1ELb0ELb0EEEvPKT_PhPfliiib: ; @_ZN5aiter18quant_mxfp4_kernelI12hip_bfloat16LNS_16MxScaleRoundModeE3ELb1ELb0ELb0EEEvPKT_PhPfliiib
; %bb.0:
	s_clause 0x1
	s_load_b32 s2, s[0:1], 0x3c
	s_load_b128 s[4:7], s[0:1], 0x20
	v_mov_b32_e32 v1, 0
	s_mov_b32 s3, exec_lo
	s_delay_alu instid0(VALU_DEP_1) | instskip(SKIP_2) | instid1(SALU_CYCLE_1)
	v_mov_b32_e32 v4, v1
	s_waitcnt lgkmcnt(0)
	s_and_b32 s2, s2, 0xffff
	v_mad_u64_u32 v[2:3], null, s2, s15, v[0:1]
	s_ashr_i32 s2, s6, 31
                                        ; implicit-def: $vgpr0_vgpr1
	s_delay_alu instid0(VALU_DEP_1) | instid1(SALU_CYCLE_1)
	v_or_b32_e32 v5, s2, v3
	s_delay_alu instid0(VALU_DEP_1)
	v_cmpx_ne_u64_e32 0, v[4:5]
	s_xor_b32 s3, exec_lo, s3
	s_cbranch_execz .LBB37_2
; %bb.1:
	s_add_u32 s10, s6, s2
	s_mov_b32 s8, s2
	s_mov_b32 s9, s2
	s_addc_u32 s11, s2, s2
	s_delay_alu instid0(SALU_CYCLE_1) | instskip(NEXT) | instid1(SALU_CYCLE_1)
	s_xor_b64 s[10:11], s[10:11], s[8:9]
	v_cvt_f32_u32_e32 v0, s10
	v_cvt_f32_u32_e32 v1, s11
	s_sub_u32 s2, 0, s10
	s_subb_u32 s7, 0, s11
	s_delay_alu instid0(VALU_DEP_1) | instskip(NEXT) | instid1(VALU_DEP_1)
	v_fmamk_f32 v0, v1, 0x4f800000, v0
	v_rcp_f32_e32 v0, v0
	s_waitcnt_depctr 0xfff
	v_mul_f32_e32 v0, 0x5f7ffffc, v0
	s_delay_alu instid0(VALU_DEP_1) | instskip(NEXT) | instid1(VALU_DEP_1)
	v_mul_f32_e32 v1, 0x2f800000, v0
	v_trunc_f32_e32 v1, v1
	s_delay_alu instid0(VALU_DEP_1) | instskip(SKIP_1) | instid1(VALU_DEP_2)
	v_fmamk_f32 v0, v1, 0xcf800000, v0
	v_cvt_u32_f32_e32 v1, v1
	v_cvt_u32_f32_e32 v0, v0
	s_delay_alu instid0(VALU_DEP_2) | instskip(NEXT) | instid1(VALU_DEP_2)
	v_mul_lo_u32 v4, s2, v1
	v_mul_hi_u32 v5, s2, v0
	v_mul_lo_u32 v6, s7, v0
	s_delay_alu instid0(VALU_DEP_2) | instskip(SKIP_1) | instid1(VALU_DEP_2)
	v_add_nc_u32_e32 v4, v5, v4
	v_mul_lo_u32 v5, s2, v0
	v_add_nc_u32_e32 v4, v4, v6
	s_delay_alu instid0(VALU_DEP_2) | instskip(NEXT) | instid1(VALU_DEP_2)
	v_mul_hi_u32 v6, v0, v5
	v_mul_lo_u32 v7, v0, v4
	v_mul_hi_u32 v8, v0, v4
	v_mul_hi_u32 v9, v1, v5
	v_mul_lo_u32 v5, v1, v5
	v_mul_hi_u32 v10, v1, v4
	v_mul_lo_u32 v4, v1, v4
	v_add_co_u32 v6, vcc_lo, v6, v7
	v_add_co_ci_u32_e32 v7, vcc_lo, 0, v8, vcc_lo
	s_delay_alu instid0(VALU_DEP_2) | instskip(NEXT) | instid1(VALU_DEP_2)
	v_add_co_u32 v5, vcc_lo, v6, v5
	v_add_co_ci_u32_e32 v5, vcc_lo, v7, v9, vcc_lo
	v_add_co_ci_u32_e32 v6, vcc_lo, 0, v10, vcc_lo
	v_ashrrev_i32_e32 v9, 31, v3
	s_delay_alu instid0(VALU_DEP_3) | instskip(NEXT) | instid1(VALU_DEP_3)
	v_add_co_u32 v4, vcc_lo, v5, v4
	v_add_co_ci_u32_e32 v5, vcc_lo, 0, v6, vcc_lo
	s_delay_alu instid0(VALU_DEP_2) | instskip(NEXT) | instid1(VALU_DEP_2)
	v_add_co_u32 v0, vcc_lo, v0, v4
	v_add_co_ci_u32_e32 v1, vcc_lo, v1, v5, vcc_lo
	s_delay_alu instid0(VALU_DEP_2) | instskip(SKIP_1) | instid1(VALU_DEP_3)
	v_mul_hi_u32 v4, s2, v0
	v_mul_lo_u32 v6, s7, v0
	v_mul_lo_u32 v5, s2, v1
	s_delay_alu instid0(VALU_DEP_1) | instskip(SKIP_1) | instid1(VALU_DEP_2)
	v_add_nc_u32_e32 v4, v4, v5
	v_mul_lo_u32 v5, s2, v0
	v_add_nc_u32_e32 v4, v4, v6
	s_delay_alu instid0(VALU_DEP_2) | instskip(NEXT) | instid1(VALU_DEP_2)
	v_mul_hi_u32 v6, v0, v5
	v_mul_lo_u32 v7, v0, v4
	v_mul_hi_u32 v8, v0, v4
	v_mul_hi_u32 v10, v1, v5
	v_mul_lo_u32 v5, v1, v5
	v_mul_hi_u32 v11, v1, v4
	v_mul_lo_u32 v4, v1, v4
	v_add_co_u32 v6, vcc_lo, v6, v7
	v_add_co_ci_u32_e32 v7, vcc_lo, 0, v8, vcc_lo
	s_delay_alu instid0(VALU_DEP_2) | instskip(NEXT) | instid1(VALU_DEP_2)
	v_add_co_u32 v5, vcc_lo, v6, v5
	v_add_co_ci_u32_e32 v5, vcc_lo, v7, v10, vcc_lo
	v_add_co_ci_u32_e32 v6, vcc_lo, 0, v11, vcc_lo
	v_add_co_u32 v7, vcc_lo, v2, v9
	v_add_co_ci_u32_e32 v3, vcc_lo, v3, v9, vcc_lo
	s_delay_alu instid0(VALU_DEP_4) | instskip(NEXT) | instid1(VALU_DEP_4)
	v_add_co_u32 v4, vcc_lo, v5, v4
	v_add_co_ci_u32_e32 v5, vcc_lo, 0, v6, vcc_lo
	s_delay_alu instid0(VALU_DEP_4) | instskip(NEXT) | instid1(VALU_DEP_3)
	v_xor_b32_e32 v7, v7, v9
	v_add_co_u32 v6, vcc_lo, v0, v4
	s_delay_alu instid0(VALU_DEP_3) | instskip(SKIP_1) | instid1(VALU_DEP_3)
	v_add_co_ci_u32_e32 v8, vcc_lo, v1, v5, vcc_lo
	v_xor_b32_e32 v10, v3, v9
	v_mul_hi_u32 v11, v7, v6
	s_delay_alu instid0(VALU_DEP_3) | instskip(NEXT) | instid1(VALU_DEP_3)
	v_mad_u64_u32 v[0:1], null, v7, v8, 0
	v_mad_u64_u32 v[3:4], null, v10, v6, 0
	;; [unrolled: 1-line block ×3, first 2 shown]
	s_delay_alu instid0(VALU_DEP_3) | instskip(NEXT) | instid1(VALU_DEP_4)
	v_add_co_u32 v0, vcc_lo, v11, v0
	v_add_co_ci_u32_e32 v1, vcc_lo, 0, v1, vcc_lo
	s_delay_alu instid0(VALU_DEP_2) | instskip(NEXT) | instid1(VALU_DEP_2)
	v_add_co_u32 v0, vcc_lo, v0, v3
	v_add_co_ci_u32_e32 v0, vcc_lo, v1, v4, vcc_lo
	v_add_co_ci_u32_e32 v1, vcc_lo, 0, v6, vcc_lo
	s_delay_alu instid0(VALU_DEP_2) | instskip(NEXT) | instid1(VALU_DEP_2)
	v_add_co_u32 v3, vcc_lo, v0, v5
	v_add_co_ci_u32_e32 v4, vcc_lo, 0, v1, vcc_lo
	s_delay_alu instid0(VALU_DEP_2) | instskip(SKIP_1) | instid1(VALU_DEP_3)
	v_mul_lo_u32 v5, s11, v3
	v_mad_u64_u32 v[0:1], null, s10, v3, 0
	v_mul_lo_u32 v6, s10, v4
	s_delay_alu instid0(VALU_DEP_2) | instskip(NEXT) | instid1(VALU_DEP_2)
	v_sub_co_u32 v0, vcc_lo, v7, v0
	v_add3_u32 v1, v1, v6, v5
	s_delay_alu instid0(VALU_DEP_1) | instskip(NEXT) | instid1(VALU_DEP_1)
	v_sub_nc_u32_e32 v5, v10, v1
	v_subrev_co_ci_u32_e64 v5, s2, s11, v5, vcc_lo
	v_add_co_u32 v6, s2, v3, 2
	s_delay_alu instid0(VALU_DEP_1) | instskip(SKIP_3) | instid1(VALU_DEP_3)
	v_add_co_ci_u32_e64 v7, s2, 0, v4, s2
	v_sub_co_u32 v8, s2, v0, s10
	v_sub_co_ci_u32_e32 v1, vcc_lo, v10, v1, vcc_lo
	v_subrev_co_ci_u32_e64 v5, s2, 0, v5, s2
	v_cmp_le_u32_e32 vcc_lo, s10, v8
	s_delay_alu instid0(VALU_DEP_3) | instskip(SKIP_1) | instid1(VALU_DEP_4)
	v_cmp_eq_u32_e64 s2, s11, v1
	v_cndmask_b32_e64 v8, 0, -1, vcc_lo
	v_cmp_le_u32_e32 vcc_lo, s11, v5
	v_cndmask_b32_e64 v10, 0, -1, vcc_lo
	v_cmp_le_u32_e32 vcc_lo, s10, v0
	v_cndmask_b32_e64 v0, 0, -1, vcc_lo
	v_cmp_le_u32_e32 vcc_lo, s11, v1
	v_cndmask_b32_e64 v11, 0, -1, vcc_lo
	v_cmp_eq_u32_e32 vcc_lo, s11, v5
	s_delay_alu instid0(VALU_DEP_2) | instskip(SKIP_3) | instid1(VALU_DEP_3)
	v_cndmask_b32_e64 v0, v11, v0, s2
	v_cndmask_b32_e32 v5, v10, v8, vcc_lo
	v_add_co_u32 v8, vcc_lo, v3, 1
	v_add_co_ci_u32_e32 v10, vcc_lo, 0, v4, vcc_lo
	v_cmp_ne_u32_e32 vcc_lo, 0, v5
	s_delay_alu instid0(VALU_DEP_2) | instskip(NEXT) | instid1(VALU_DEP_4)
	v_cndmask_b32_e32 v1, v10, v7, vcc_lo
	v_cndmask_b32_e32 v5, v8, v6, vcc_lo
	v_cmp_ne_u32_e32 vcc_lo, 0, v0
	v_xor_b32_e32 v0, s8, v9
	s_delay_alu instid0(VALU_DEP_3) | instskip(SKIP_2) | instid1(VALU_DEP_3)
	v_cndmask_b32_e32 v3, v3, v5, vcc_lo
	v_cndmask_b32_e32 v1, v4, v1, vcc_lo
	v_xor_b32_e32 v4, s9, v9
	v_xor_b32_e32 v3, v3, v0
	s_delay_alu instid0(VALU_DEP_2) | instskip(NEXT) | instid1(VALU_DEP_2)
	v_xor_b32_e32 v1, v1, v4
	v_sub_co_u32 v0, vcc_lo, v3, v0
	s_delay_alu instid0(VALU_DEP_2)
	v_sub_co_ci_u32_e32 v1, vcc_lo, v1, v4, vcc_lo
.LBB37_2:
	s_and_not1_saveexec_b32 s2, s3
	s_cbranch_execz .LBB37_4
; %bb.3:
	v_cvt_f32_u32_e32 v0, s6
	s_sub_i32 s3, 0, s6
	s_delay_alu instid0(VALU_DEP_1) | instskip(SKIP_2) | instid1(VALU_DEP_1)
	v_rcp_iflag_f32_e32 v0, v0
	s_waitcnt_depctr 0xfff
	v_mul_f32_e32 v0, 0x4f7ffffe, v0
	v_cvt_u32_f32_e32 v0, v0
	s_delay_alu instid0(VALU_DEP_1) | instskip(NEXT) | instid1(VALU_DEP_1)
	v_mul_lo_u32 v1, s3, v0
	v_mul_hi_u32 v1, v0, v1
	s_delay_alu instid0(VALU_DEP_1) | instskip(NEXT) | instid1(VALU_DEP_1)
	v_add_nc_u32_e32 v0, v0, v1
	v_mul_hi_u32 v0, v2, v0
	s_delay_alu instid0(VALU_DEP_1) | instskip(SKIP_1) | instid1(VALU_DEP_2)
	v_mul_lo_u32 v1, v0, s6
	v_add_nc_u32_e32 v3, 1, v0
	v_sub_nc_u32_e32 v1, v2, v1
	s_delay_alu instid0(VALU_DEP_1) | instskip(SKIP_1) | instid1(VALU_DEP_2)
	v_subrev_nc_u32_e32 v4, s6, v1
	v_cmp_le_u32_e32 vcc_lo, s6, v1
	v_dual_cndmask_b32 v1, v1, v4 :: v_dual_cndmask_b32 v0, v0, v3
	s_delay_alu instid0(VALU_DEP_1) | instskip(NEXT) | instid1(VALU_DEP_2)
	v_cmp_le_u32_e32 vcc_lo, s6, v1
	v_add_nc_u32_e32 v3, 1, v0
	s_delay_alu instid0(VALU_DEP_1)
	v_dual_mov_b32 v1, 0 :: v_dual_cndmask_b32 v0, v0, v3
.LBB37_4:
	s_or_b32 exec_lo, exec_lo, s2
	s_load_b64 s[2:3], s[0:1], 0x18
	s_delay_alu instid0(VALU_DEP_1) | instskip(NEXT) | instid1(VALU_DEP_1)
	v_mad_u64_u32 v[3:4], null, v0, s6, 0
	v_sub_co_u32 v2, null, v2, v3
	s_waitcnt lgkmcnt(0)
	v_cmp_gt_i64_e32 vcc_lo, s[2:3], v[0:1]
	s_delay_alu instid0(VALU_DEP_2) | instskip(NEXT) | instid1(VALU_DEP_1)
	v_cmp_gt_i32_e64 s2, s5, v2
	s_and_b32 s2, vcc_lo, s2
	s_delay_alu instid0(SALU_CYCLE_1)
	s_and_saveexec_b32 s3, s2
	s_cbranch_execz .LBB37_390
; %bb.5:
	s_ashr_i32 s5, s4, 31
	s_load_b64 s[2:3], s[0:1], 0x0
	v_mul_lo_u32 v5, v1, s4
	v_mad_u64_u32 v[3:4], null, v0, s4, 0
	v_mul_lo_u32 v6, v0, s5
	s_delay_alu instid0(VALU_DEP_1) | instskip(SKIP_1) | instid1(VALU_DEP_2)
	v_add3_u32 v4, v4, v6, v5
	v_dual_mov_b32 v6, 0 :: v_dual_lshlrev_b32 v5, 5, v2
	v_lshlrev_b64 v[3:4], 1, v[3:4]
	s_delay_alu instid0(VALU_DEP_2) | instskip(SKIP_1) | instid1(VALU_DEP_2)
	v_lshlrev_b64 v[5:6], 1, v[5:6]
	s_waitcnt lgkmcnt(0)
	v_add_co_u32 v3, vcc_lo, s2, v3
	s_delay_alu instid0(VALU_DEP_3) | instskip(SKIP_1) | instid1(VALU_DEP_2)
	v_add_co_ci_u32_e32 v4, vcc_lo, s3, v4, vcc_lo
	s_mov_b32 s2, exec_lo
	v_add_co_u32 v7, vcc_lo, v3, v5
	s_delay_alu instid0(VALU_DEP_2)
	v_add_co_ci_u32_e32 v8, vcc_lo, v4, v6, vcc_lo
	s_clause 0x3
	global_load_b128 v[3:6], v[7:8], off
	global_load_b128 v[10:13], v[7:8], off offset:16
	global_load_b128 v[52:55], v[7:8], off offset:32
	;; [unrolled: 1-line block ×3, first 2 shown]
	s_waitcnt vmcnt(3)
	v_lshlrev_b32_e32 v17, 16, v3
	v_and_b32_e32 v7, 0xffff0000, v3
	v_lshlrev_b32_e32 v9, 16, v4
	v_and_b32_e32 v14, 0xffff0000, v4
	;; [unrolled: 2-line block ×3, first 2 shown]
	v_max3_f32 v3, |v17|, 0, |v7|
	v_lshlrev_b32_e32 v22, 16, v6
	v_and_b32_e32 v26, 0xffff0000, v6
	s_waitcnt vmcnt(2)
	v_lshlrev_b32_e32 v28, 16, v10
	v_and_b32_e32 v32, 0xffff0000, v10
	v_max3_f32 v3, v3, |v9|, |v14|
	v_lshlrev_b32_e32 v33, 16, v11
	v_and_b32_e32 v36, 0xffff0000, v11
	v_lshlrev_b32_e32 v39, 16, v12
	v_and_b32_e32 v41, 0xffff0000, v12
	v_max3_f32 v3, v3, |v16|, |v20|
	v_lshlrev_b32_e32 v45, 16, v13
	v_and_b32_e32 v47, 0xffff0000, v13
	s_waitcnt vmcnt(1)
	v_lshlrev_b32_e32 v51, 16, v52
	v_and_b32_e32 v52, 0xffff0000, v52
	v_max3_f32 v3, v3, |v22|, |v26|
	v_lshlrev_b32_e32 v48, 16, v53
	v_and_b32_e32 v46, 0xffff0000, v53
	v_lshlrev_b32_e32 v43, 16, v54
	v_and_b32_e32 v40, 0xffff0000, v54
	v_max3_f32 v3, v3, |v28|, |v32|
	;; [unrolled: 11-line block ×3, first 2 shown]
	v_lshlrev_b32_e32 v13, 16, v59
	v_and_b32_e32 v8, 0xffff0000, v59
	s_delay_alu instid0(VALU_DEP_3) | instskip(NEXT) | instid1(VALU_DEP_1)
	v_max3_f32 v3, v3, |v45|, |v47|
	v_max3_f32 v3, v3, |v51|, |v52|
	s_delay_alu instid0(VALU_DEP_1) | instskip(NEXT) | instid1(VALU_DEP_1)
	v_max3_f32 v3, v3, |v48|, |v46|
	v_max3_f32 v3, v3, |v43|, |v40|
	s_delay_alu instid0(VALU_DEP_1) | instskip(NEXT) | instid1(VALU_DEP_1)
	;; [unrolled: 3-line block ×4, first 2 shown]
	v_max3_f32 v3, v3, |v13|, |v8|
	v_mul_f32_e32 v3, 0x3e800000, v3
	s_delay_alu instid0(VALU_DEP_1) | instskip(SKIP_1) | instid1(VALU_DEP_2)
	v_and_b32_e32 v4, 0x7fffff, v3
	v_bfe_u32 v3, v3, 23, 8
	v_cmp_ne_u32_e32 vcc_lo, 0, v4
	s_delay_alu instid0(VALU_DEP_2) | instskip(SKIP_1) | instid1(VALU_DEP_2)
	v_add_co_ci_u32_e32 v4, vcc_lo, 0, v3, vcc_lo
	v_cmp_ne_u32_e32 vcc_lo, 0xff, v3
	v_lshlrev_b32_e32 v4, 23, v4
	s_delay_alu instid0(VALU_DEP_1) | instskip(NEXT) | instid1(VALU_DEP_1)
	v_cndmask_b32_e32 v3, 0x7f800000, v4, vcc_lo
	v_div_scale_f32 v4, null, v3, v3, 1.0
	v_div_scale_f32 v10, vcc_lo, 1.0, v3, 1.0
	s_delay_alu instid0(VALU_DEP_2) | instskip(SKIP_2) | instid1(VALU_DEP_1)
	v_rcp_f32_e32 v5, v4
	s_waitcnt_depctr 0xfff
	v_fma_f32 v6, -v4, v5, 1.0
	v_fmac_f32_e32 v5, v6, v5
	s_delay_alu instid0(VALU_DEP_1) | instskip(NEXT) | instid1(VALU_DEP_1)
	v_mul_f32_e32 v6, v10, v5
	v_fma_f32 v11, -v4, v6, v10
	s_delay_alu instid0(VALU_DEP_1) | instskip(NEXT) | instid1(VALU_DEP_1)
	v_fmac_f32_e32 v6, v11, v5
	v_fma_f32 v4, -v4, v6, v10
	s_delay_alu instid0(VALU_DEP_1) | instskip(SKIP_3) | instid1(VALU_DEP_4)
	v_div_fmas_f32 v4, v4, v5, v6
	v_mov_b32_e32 v6, 7
	v_cmp_neq_f32_e32 vcc_lo, 0, v3
	v_mov_b32_e32 v5, 7
	v_div_fixup_f32 v4, v4, v3, 1.0
	s_delay_alu instid0(VALU_DEP_1) | instskip(NEXT) | instid1(VALU_DEP_1)
	v_cndmask_b32_e32 v12, 0, v4, vcc_lo
	v_mul_f32_e32 v4, v12, v17
	s_delay_alu instid0(VALU_DEP_1)
	v_cmpx_nle_f32_e64 0x40a00000, |v4|
	s_cbranch_execz .LBB37_17
; %bb.6:
	v_mov_b32_e32 v5, 6
	s_mov_b32 s3, exec_lo
	v_cmpx_nle_f32_e64 0x40600000, |v4|
	s_cbranch_execz .LBB37_16
; %bb.7:
	v_mov_b32_e32 v5, 5
	s_mov_b32 s5, exec_lo
	v_cmpx_nle_f32_e64 0x40200000, |v4|
	s_cbranch_execz .LBB37_15
; %bb.8:
	v_mov_b32_e32 v5, 4
	s_mov_b32 s7, exec_lo
	v_cmpx_nle_f32_e64 0x3fe00000, |v4|
	s_cbranch_execz .LBB37_14
; %bb.9:
	v_mov_b32_e32 v5, 3
	s_mov_b32 s8, exec_lo
	v_cmpx_nle_f32_e64 0x3fa00000, |v4|
	s_cbranch_execz .LBB37_13
; %bb.10:
	v_mov_b32_e32 v5, 2
	s_mov_b32 s9, exec_lo
	v_cmpx_nle_f32_e64 0x3f400000, |v4|
; %bb.11:
	v_cmp_le_f32_e64 s10, 0x3e800000, |v4|
	s_delay_alu instid0(VALU_DEP_1)
	v_cndmask_b32_e64 v5, 0, 1, s10
; %bb.12:
	s_or_b32 exec_lo, exec_lo, s9
.LBB37_13:
	s_delay_alu instid0(SALU_CYCLE_1)
	s_or_b32 exec_lo, exec_lo, s8
.LBB37_14:
	s_delay_alu instid0(SALU_CYCLE_1)
	s_or_b32 exec_lo, exec_lo, s7
.LBB37_15:
	s_delay_alu instid0(SALU_CYCLE_1)
	s_or_b32 exec_lo, exec_lo, s5
.LBB37_16:
	s_delay_alu instid0(SALU_CYCLE_1)
	s_or_b32 exec_lo, exec_lo, s3
.LBB37_17:
	s_delay_alu instid0(SALU_CYCLE_1) | instskip(SKIP_2) | instid1(VALU_DEP_1)
	s_or_b32 exec_lo, exec_lo, s2
	v_mul_f32_e32 v7, v12, v7
	s_mov_b32 s2, exec_lo
	v_cmpx_nle_f32_e64 0x40a00000, |v7|
	s_cbranch_execz .LBB37_29
; %bb.18:
	v_mov_b32_e32 v6, 6
	s_mov_b32 s3, exec_lo
	v_cmpx_nle_f32_e64 0x40600000, |v7|
	s_cbranch_execz .LBB37_28
; %bb.19:
	v_mov_b32_e32 v6, 5
	s_mov_b32 s5, exec_lo
	v_cmpx_nle_f32_e64 0x40200000, |v7|
	s_cbranch_execz .LBB37_27
; %bb.20:
	v_mov_b32_e32 v6, 4
	s_mov_b32 s7, exec_lo
	v_cmpx_nle_f32_e64 0x3fe00000, |v7|
	s_cbranch_execz .LBB37_26
; %bb.21:
	v_mov_b32_e32 v6, 3
	s_mov_b32 s8, exec_lo
	v_cmpx_nle_f32_e64 0x3fa00000, |v7|
	s_cbranch_execz .LBB37_25
; %bb.22:
	v_mov_b32_e32 v6, 2
	s_mov_b32 s9, exec_lo
	v_cmpx_nle_f32_e64 0x3f400000, |v7|
; %bb.23:
	v_cmp_le_f32_e64 s10, 0x3e800000, |v7|
	s_delay_alu instid0(VALU_DEP_1)
	v_cndmask_b32_e64 v6, 0, 1, s10
; %bb.24:
	s_or_b32 exec_lo, exec_lo, s9
.LBB37_25:
	s_delay_alu instid0(SALU_CYCLE_1)
	s_or_b32 exec_lo, exec_lo, s8
.LBB37_26:
	s_delay_alu instid0(SALU_CYCLE_1)
	s_or_b32 exec_lo, exec_lo, s7
.LBB37_27:
	s_delay_alu instid0(SALU_CYCLE_1)
	s_or_b32 exec_lo, exec_lo, s5
.LBB37_28:
	s_delay_alu instid0(SALU_CYCLE_1)
	s_or_b32 exec_lo, exec_lo, s3
.LBB37_29:
	s_delay_alu instid0(SALU_CYCLE_1) | instskip(SKIP_3) | instid1(VALU_DEP_2)
	s_or_b32 exec_lo, exec_lo, s2
	v_dual_mul_f32 v10, v12, v9 :: v_dual_mov_b32 v9, 7
	v_mov_b32_e32 v11, 7
	s_mov_b32 s2, exec_lo
	v_cmpx_nle_f32_e64 0x40a00000, |v10|
	s_cbranch_execz .LBB37_41
; %bb.30:
	v_mov_b32_e32 v11, 6
	s_mov_b32 s3, exec_lo
	v_cmpx_nle_f32_e64 0x40600000, |v10|
	s_cbranch_execz .LBB37_40
; %bb.31:
	;; [unrolled: 5-line block ×5, first 2 shown]
	v_mov_b32_e32 v11, 2
	s_mov_b32 s9, exec_lo
	v_cmpx_nle_f32_e64 0x3f400000, |v10|
; %bb.35:
	v_cmp_le_f32_e64 s10, 0x3e800000, |v10|
	s_delay_alu instid0(VALU_DEP_1)
	v_cndmask_b32_e64 v11, 0, 1, s10
; %bb.36:
	s_or_b32 exec_lo, exec_lo, s9
.LBB37_37:
	s_delay_alu instid0(SALU_CYCLE_1)
	s_or_b32 exec_lo, exec_lo, s8
.LBB37_38:
	s_delay_alu instid0(SALU_CYCLE_1)
	s_or_b32 exec_lo, exec_lo, s7
.LBB37_39:
	s_delay_alu instid0(SALU_CYCLE_1)
	s_or_b32 exec_lo, exec_lo, s5
.LBB37_40:
	s_delay_alu instid0(SALU_CYCLE_1)
	s_or_b32 exec_lo, exec_lo, s3
.LBB37_41:
	s_delay_alu instid0(SALU_CYCLE_1) | instskip(SKIP_2) | instid1(VALU_DEP_1)
	s_or_b32 exec_lo, exec_lo, s2
	v_mul_f32_e32 v14, v12, v14
	s_mov_b32 s2, exec_lo
	v_cmpx_nle_f32_e64 0x40a00000, |v14|
	s_cbranch_execz .LBB37_53
; %bb.42:
	v_mov_b32_e32 v9, 6
	s_mov_b32 s3, exec_lo
	v_cmpx_nle_f32_e64 0x40600000, |v14|
	s_cbranch_execz .LBB37_52
; %bb.43:
	v_mov_b32_e32 v9, 5
	;; [unrolled: 5-line block ×5, first 2 shown]
	s_mov_b32 s9, exec_lo
	v_cmpx_nle_f32_e64 0x3f400000, |v14|
; %bb.47:
	v_cmp_le_f32_e64 s10, 0x3e800000, |v14|
	s_delay_alu instid0(VALU_DEP_1)
	v_cndmask_b32_e64 v9, 0, 1, s10
; %bb.48:
	s_or_b32 exec_lo, exec_lo, s9
.LBB37_49:
	s_delay_alu instid0(SALU_CYCLE_1)
	s_or_b32 exec_lo, exec_lo, s8
.LBB37_50:
	s_delay_alu instid0(SALU_CYCLE_1)
	s_or_b32 exec_lo, exec_lo, s7
.LBB37_51:
	s_delay_alu instid0(SALU_CYCLE_1)
	s_or_b32 exec_lo, exec_lo, s5
.LBB37_52:
	s_delay_alu instid0(SALU_CYCLE_1)
	s_or_b32 exec_lo, exec_lo, s3
.LBB37_53:
	s_delay_alu instid0(SALU_CYCLE_1) | instskip(SKIP_3) | instid1(VALU_DEP_2)
	s_or_b32 exec_lo, exec_lo, s2
	v_dual_mul_f32 v18, v12, v16 :: v_dual_mov_b32 v17, 7
	v_mov_b32_e32 v16, 7
	s_mov_b32 s2, exec_lo
	v_cmpx_nle_f32_e64 0x40a00000, |v18|
	s_cbranch_execz .LBB37_65
; %bb.54:
	v_mov_b32_e32 v17, 6
	s_mov_b32 s3, exec_lo
	v_cmpx_nle_f32_e64 0x40600000, |v18|
	s_cbranch_execz .LBB37_64
; %bb.55:
	;; [unrolled: 5-line block ×5, first 2 shown]
	v_mov_b32_e32 v17, 2
	s_mov_b32 s9, exec_lo
	v_cmpx_nle_f32_e64 0x3f400000, |v18|
; %bb.59:
	v_cmp_le_f32_e64 s10, 0x3e800000, |v18|
	s_delay_alu instid0(VALU_DEP_1)
	v_cndmask_b32_e64 v17, 0, 1, s10
; %bb.60:
	s_or_b32 exec_lo, exec_lo, s9
.LBB37_61:
	s_delay_alu instid0(SALU_CYCLE_1)
	s_or_b32 exec_lo, exec_lo, s8
.LBB37_62:
	s_delay_alu instid0(SALU_CYCLE_1)
	s_or_b32 exec_lo, exec_lo, s7
.LBB37_63:
	s_delay_alu instid0(SALU_CYCLE_1)
	s_or_b32 exec_lo, exec_lo, s5
.LBB37_64:
	s_delay_alu instid0(SALU_CYCLE_1)
	s_or_b32 exec_lo, exec_lo, s3
.LBB37_65:
	s_delay_alu instid0(SALU_CYCLE_1) | instskip(SKIP_2) | instid1(VALU_DEP_1)
	s_or_b32 exec_lo, exec_lo, s2
	v_mul_f32_e32 v20, v12, v20
	s_mov_b32 s2, exec_lo
	v_cmpx_nle_f32_e64 0x40a00000, |v20|
	s_cbranch_execz .LBB37_77
; %bb.66:
	v_mov_b32_e32 v16, 6
	s_mov_b32 s3, exec_lo
	v_cmpx_nle_f32_e64 0x40600000, |v20|
	s_cbranch_execz .LBB37_76
; %bb.67:
	v_mov_b32_e32 v16, 5
	;; [unrolled: 5-line block ×5, first 2 shown]
	s_mov_b32 s9, exec_lo
	v_cmpx_nle_f32_e64 0x3f400000, |v20|
; %bb.71:
	v_cmp_le_f32_e64 s10, 0x3e800000, |v20|
	s_delay_alu instid0(VALU_DEP_1)
	v_cndmask_b32_e64 v16, 0, 1, s10
; %bb.72:
	s_or_b32 exec_lo, exec_lo, s9
.LBB37_73:
	s_delay_alu instid0(SALU_CYCLE_1)
	s_or_b32 exec_lo, exec_lo, s8
.LBB37_74:
	s_delay_alu instid0(SALU_CYCLE_1)
	s_or_b32 exec_lo, exec_lo, s7
.LBB37_75:
	s_delay_alu instid0(SALU_CYCLE_1)
	s_or_b32 exec_lo, exec_lo, s5
.LBB37_76:
	s_delay_alu instid0(SALU_CYCLE_1)
	s_or_b32 exec_lo, exec_lo, s3
.LBB37_77:
	s_delay_alu instid0(SALU_CYCLE_1) | instskip(SKIP_3) | instid1(VALU_DEP_2)
	s_or_b32 exec_lo, exec_lo, s2
	v_dual_mul_f32 v24, v12, v22 :: v_dual_mov_b32 v23, 7
	v_mov_b32_e32 v22, 7
	s_mov_b32 s2, exec_lo
	v_cmpx_nle_f32_e64 0x40a00000, |v24|
	s_cbranch_execz .LBB37_89
; %bb.78:
	v_mov_b32_e32 v23, 6
	s_mov_b32 s3, exec_lo
	v_cmpx_nle_f32_e64 0x40600000, |v24|
	s_cbranch_execz .LBB37_88
; %bb.79:
	;; [unrolled: 5-line block ×5, first 2 shown]
	v_mov_b32_e32 v23, 2
	s_mov_b32 s9, exec_lo
	v_cmpx_nle_f32_e64 0x3f400000, |v24|
; %bb.83:
	v_cmp_le_f32_e64 s10, 0x3e800000, |v24|
	s_delay_alu instid0(VALU_DEP_1)
	v_cndmask_b32_e64 v23, 0, 1, s10
; %bb.84:
	s_or_b32 exec_lo, exec_lo, s9
.LBB37_85:
	s_delay_alu instid0(SALU_CYCLE_1)
	s_or_b32 exec_lo, exec_lo, s8
.LBB37_86:
	s_delay_alu instid0(SALU_CYCLE_1)
	s_or_b32 exec_lo, exec_lo, s7
.LBB37_87:
	s_delay_alu instid0(SALU_CYCLE_1)
	s_or_b32 exec_lo, exec_lo, s5
.LBB37_88:
	s_delay_alu instid0(SALU_CYCLE_1)
	s_or_b32 exec_lo, exec_lo, s3
.LBB37_89:
	s_delay_alu instid0(SALU_CYCLE_1) | instskip(SKIP_2) | instid1(VALU_DEP_1)
	s_or_b32 exec_lo, exec_lo, s2
	v_mul_f32_e32 v26, v12, v26
	s_mov_b32 s2, exec_lo
	v_cmpx_nle_f32_e64 0x40a00000, |v26|
	s_cbranch_execz .LBB37_101
; %bb.90:
	v_mov_b32_e32 v22, 6
	s_mov_b32 s3, exec_lo
	v_cmpx_nle_f32_e64 0x40600000, |v26|
	s_cbranch_execz .LBB37_100
; %bb.91:
	v_mov_b32_e32 v22, 5
	;; [unrolled: 5-line block ×5, first 2 shown]
	s_mov_b32 s9, exec_lo
	v_cmpx_nle_f32_e64 0x3f400000, |v26|
; %bb.95:
	v_cmp_le_f32_e64 s10, 0x3e800000, |v26|
	s_delay_alu instid0(VALU_DEP_1)
	v_cndmask_b32_e64 v22, 0, 1, s10
; %bb.96:
	s_or_b32 exec_lo, exec_lo, s9
.LBB37_97:
	s_delay_alu instid0(SALU_CYCLE_1)
	s_or_b32 exec_lo, exec_lo, s8
.LBB37_98:
	s_delay_alu instid0(SALU_CYCLE_1)
	s_or_b32 exec_lo, exec_lo, s7
.LBB37_99:
	s_delay_alu instid0(SALU_CYCLE_1)
	s_or_b32 exec_lo, exec_lo, s5
.LBB37_100:
	s_delay_alu instid0(SALU_CYCLE_1)
	s_or_b32 exec_lo, exec_lo, s3
.LBB37_101:
	s_delay_alu instid0(SALU_CYCLE_1) | instskip(SKIP_3) | instid1(VALU_DEP_2)
	s_or_b32 exec_lo, exec_lo, s2
	v_dual_mul_f32 v29, v12, v28 :: v_dual_mov_b32 v28, 7
	v_mov_b32_e32 v30, 7
	s_mov_b32 s2, exec_lo
	v_cmpx_nle_f32_e64 0x40a00000, |v29|
	s_cbranch_execz .LBB37_113
; %bb.102:
	v_mov_b32_e32 v30, 6
	s_mov_b32 s3, exec_lo
	v_cmpx_nle_f32_e64 0x40600000, |v29|
	s_cbranch_execz .LBB37_112
; %bb.103:
	;; [unrolled: 5-line block ×5, first 2 shown]
	v_mov_b32_e32 v30, 2
	s_mov_b32 s9, exec_lo
	v_cmpx_nle_f32_e64 0x3f400000, |v29|
; %bb.107:
	v_cmp_le_f32_e64 s10, 0x3e800000, |v29|
	s_delay_alu instid0(VALU_DEP_1)
	v_cndmask_b32_e64 v30, 0, 1, s10
; %bb.108:
	s_or_b32 exec_lo, exec_lo, s9
.LBB37_109:
	s_delay_alu instid0(SALU_CYCLE_1)
	s_or_b32 exec_lo, exec_lo, s8
.LBB37_110:
	s_delay_alu instid0(SALU_CYCLE_1)
	s_or_b32 exec_lo, exec_lo, s7
.LBB37_111:
	s_delay_alu instid0(SALU_CYCLE_1)
	s_or_b32 exec_lo, exec_lo, s5
.LBB37_112:
	s_delay_alu instid0(SALU_CYCLE_1)
	s_or_b32 exec_lo, exec_lo, s3
.LBB37_113:
	s_delay_alu instid0(SALU_CYCLE_1) | instskip(SKIP_2) | instid1(VALU_DEP_1)
	s_or_b32 exec_lo, exec_lo, s2
	v_mul_f32_e32 v32, v12, v32
	s_mov_b32 s2, exec_lo
	v_cmpx_nle_f32_e64 0x40a00000, |v32|
	s_cbranch_execz .LBB37_125
; %bb.114:
	v_mov_b32_e32 v28, 6
	s_mov_b32 s3, exec_lo
	v_cmpx_nle_f32_e64 0x40600000, |v32|
	s_cbranch_execz .LBB37_124
; %bb.115:
	v_mov_b32_e32 v28, 5
	;; [unrolled: 5-line block ×5, first 2 shown]
	s_mov_b32 s9, exec_lo
	v_cmpx_nle_f32_e64 0x3f400000, |v32|
; %bb.119:
	v_cmp_le_f32_e64 s10, 0x3e800000, |v32|
	s_delay_alu instid0(VALU_DEP_1)
	v_cndmask_b32_e64 v28, 0, 1, s10
; %bb.120:
	s_or_b32 exec_lo, exec_lo, s9
.LBB37_121:
	s_delay_alu instid0(SALU_CYCLE_1)
	s_or_b32 exec_lo, exec_lo, s8
.LBB37_122:
	s_delay_alu instid0(SALU_CYCLE_1)
	s_or_b32 exec_lo, exec_lo, s7
.LBB37_123:
	s_delay_alu instid0(SALU_CYCLE_1)
	s_or_b32 exec_lo, exec_lo, s5
.LBB37_124:
	s_delay_alu instid0(SALU_CYCLE_1)
	s_or_b32 exec_lo, exec_lo, s3
.LBB37_125:
	s_delay_alu instid0(SALU_CYCLE_1) | instskip(SKIP_4) | instid1(VALU_DEP_3)
	s_or_b32 exec_lo, exec_lo, s2
	v_mul_f32_e32 v35, v12, v33
	v_mov_b32_e32 v33, 7
	v_mov_b32_e32 v37, 7
	s_mov_b32 s2, exec_lo
	v_cmpx_nle_f32_e64 0x40a00000, |v35|
	s_cbranch_execz .LBB37_137
; %bb.126:
	v_mov_b32_e32 v37, 6
	s_mov_b32 s3, exec_lo
	v_cmpx_nle_f32_e64 0x40600000, |v35|
	s_cbranch_execz .LBB37_136
; %bb.127:
	;; [unrolled: 5-line block ×5, first 2 shown]
	v_mov_b32_e32 v37, 2
	s_mov_b32 s9, exec_lo
	v_cmpx_nle_f32_e64 0x3f400000, |v35|
; %bb.131:
	v_cmp_le_f32_e64 s10, 0x3e800000, |v35|
	s_delay_alu instid0(VALU_DEP_1)
	v_cndmask_b32_e64 v37, 0, 1, s10
; %bb.132:
	s_or_b32 exec_lo, exec_lo, s9
.LBB37_133:
	s_delay_alu instid0(SALU_CYCLE_1)
	s_or_b32 exec_lo, exec_lo, s8
.LBB37_134:
	s_delay_alu instid0(SALU_CYCLE_1)
	s_or_b32 exec_lo, exec_lo, s7
.LBB37_135:
	s_delay_alu instid0(SALU_CYCLE_1)
	s_or_b32 exec_lo, exec_lo, s5
.LBB37_136:
	s_delay_alu instid0(SALU_CYCLE_1)
	s_or_b32 exec_lo, exec_lo, s3
.LBB37_137:
	s_delay_alu instid0(SALU_CYCLE_1) | instskip(SKIP_2) | instid1(VALU_DEP_1)
	s_or_b32 exec_lo, exec_lo, s2
	v_mul_f32_e32 v36, v12, v36
	s_mov_b32 s2, exec_lo
	v_cmpx_nle_f32_e64 0x40a00000, |v36|
	s_cbranch_execz .LBB37_149
; %bb.138:
	v_mov_b32_e32 v33, 6
	s_mov_b32 s3, exec_lo
	v_cmpx_nle_f32_e64 0x40600000, |v36|
	s_cbranch_execz .LBB37_148
; %bb.139:
	v_mov_b32_e32 v33, 5
	;; [unrolled: 5-line block ×5, first 2 shown]
	s_mov_b32 s9, exec_lo
	v_cmpx_nle_f32_e64 0x3f400000, |v36|
; %bb.143:
	v_cmp_le_f32_e64 s10, 0x3e800000, |v36|
	s_delay_alu instid0(VALU_DEP_1)
	v_cndmask_b32_e64 v33, 0, 1, s10
; %bb.144:
	s_or_b32 exec_lo, exec_lo, s9
.LBB37_145:
	s_delay_alu instid0(SALU_CYCLE_1)
	s_or_b32 exec_lo, exec_lo, s8
.LBB37_146:
	s_delay_alu instid0(SALU_CYCLE_1)
	s_or_b32 exec_lo, exec_lo, s7
.LBB37_147:
	s_delay_alu instid0(SALU_CYCLE_1)
	s_or_b32 exec_lo, exec_lo, s5
.LBB37_148:
	s_delay_alu instid0(SALU_CYCLE_1)
	s_or_b32 exec_lo, exec_lo, s3
.LBB37_149:
	s_delay_alu instid0(SALU_CYCLE_1) | instskip(SKIP_3) | instid1(VALU_DEP_2)
	s_or_b32 exec_lo, exec_lo, s2
	v_dual_mul_f32 v44, v12, v39 :: v_dual_mov_b32 v39, 7
	v_mov_b32_e32 v42, 7
	s_mov_b32 s2, exec_lo
	v_cmpx_nle_f32_e64 0x40a00000, |v44|
	s_cbranch_execz .LBB37_161
; %bb.150:
	v_mov_b32_e32 v42, 6
	s_mov_b32 s3, exec_lo
	v_cmpx_nle_f32_e64 0x40600000, |v44|
	s_cbranch_execz .LBB37_160
; %bb.151:
	;; [unrolled: 5-line block ×5, first 2 shown]
	v_mov_b32_e32 v42, 2
	s_mov_b32 s9, exec_lo
	v_cmpx_nle_f32_e64 0x3f400000, |v44|
; %bb.155:
	v_cmp_le_f32_e64 s10, 0x3e800000, |v44|
	s_delay_alu instid0(VALU_DEP_1)
	v_cndmask_b32_e64 v42, 0, 1, s10
; %bb.156:
	s_or_b32 exec_lo, exec_lo, s9
.LBB37_157:
	s_delay_alu instid0(SALU_CYCLE_1)
	s_or_b32 exec_lo, exec_lo, s8
.LBB37_158:
	s_delay_alu instid0(SALU_CYCLE_1)
	s_or_b32 exec_lo, exec_lo, s7
.LBB37_159:
	s_delay_alu instid0(SALU_CYCLE_1)
	s_or_b32 exec_lo, exec_lo, s5
.LBB37_160:
	s_delay_alu instid0(SALU_CYCLE_1)
	s_or_b32 exec_lo, exec_lo, s3
.LBB37_161:
	s_delay_alu instid0(SALU_CYCLE_1) | instskip(SKIP_2) | instid1(VALU_DEP_1)
	s_or_b32 exec_lo, exec_lo, s2
	v_mul_f32_e32 v41, v12, v41
	s_mov_b32 s2, exec_lo
	v_cmpx_nle_f32_e64 0x40a00000, |v41|
	s_cbranch_execz .LBB37_173
; %bb.162:
	v_mov_b32_e32 v39, 6
	s_mov_b32 s3, exec_lo
	v_cmpx_nle_f32_e64 0x40600000, |v41|
	s_cbranch_execz .LBB37_172
; %bb.163:
	v_mov_b32_e32 v39, 5
	;; [unrolled: 5-line block ×5, first 2 shown]
	s_mov_b32 s9, exec_lo
	v_cmpx_nle_f32_e64 0x3f400000, |v41|
; %bb.167:
	v_cmp_le_f32_e64 s10, 0x3e800000, |v41|
	s_delay_alu instid0(VALU_DEP_1)
	v_cndmask_b32_e64 v39, 0, 1, s10
; %bb.168:
	s_or_b32 exec_lo, exec_lo, s9
.LBB37_169:
	s_delay_alu instid0(SALU_CYCLE_1)
	s_or_b32 exec_lo, exec_lo, s8
.LBB37_170:
	s_delay_alu instid0(SALU_CYCLE_1)
	s_or_b32 exec_lo, exec_lo, s7
.LBB37_171:
	s_delay_alu instid0(SALU_CYCLE_1)
	s_or_b32 exec_lo, exec_lo, s5
.LBB37_172:
	s_delay_alu instid0(SALU_CYCLE_1)
	s_or_b32 exec_lo, exec_lo, s3
.LBB37_173:
	s_delay_alu instid0(SALU_CYCLE_1) | instskip(SKIP_3) | instid1(VALU_DEP_2)
	s_or_b32 exec_lo, exec_lo, s2
	v_dual_mul_f32 v50, v12, v45 :: v_dual_mov_b32 v45, 7
	v_mov_b32_e32 v49, 7
	s_mov_b32 s2, exec_lo
	v_cmpx_nle_f32_e64 0x40a00000, |v50|
	s_cbranch_execz .LBB37_185
; %bb.174:
	v_mov_b32_e32 v49, 6
	s_mov_b32 s3, exec_lo
	v_cmpx_nle_f32_e64 0x40600000, |v50|
	s_cbranch_execz .LBB37_184
; %bb.175:
	;; [unrolled: 5-line block ×5, first 2 shown]
	v_mov_b32_e32 v49, 2
	s_mov_b32 s9, exec_lo
	v_cmpx_nle_f32_e64 0x3f400000, |v50|
; %bb.179:
	v_cmp_le_f32_e64 s10, 0x3e800000, |v50|
	s_delay_alu instid0(VALU_DEP_1)
	v_cndmask_b32_e64 v49, 0, 1, s10
; %bb.180:
	s_or_b32 exec_lo, exec_lo, s9
.LBB37_181:
	s_delay_alu instid0(SALU_CYCLE_1)
	s_or_b32 exec_lo, exec_lo, s8
.LBB37_182:
	s_delay_alu instid0(SALU_CYCLE_1)
	s_or_b32 exec_lo, exec_lo, s7
.LBB37_183:
	s_delay_alu instid0(SALU_CYCLE_1)
	s_or_b32 exec_lo, exec_lo, s5
.LBB37_184:
	s_delay_alu instid0(SALU_CYCLE_1)
	s_or_b32 exec_lo, exec_lo, s3
.LBB37_185:
	s_delay_alu instid0(SALU_CYCLE_1) | instskip(SKIP_2) | instid1(VALU_DEP_1)
	s_or_b32 exec_lo, exec_lo, s2
	v_mul_f32_e32 v47, v12, v47
	s_mov_b32 s2, exec_lo
	v_cmpx_nle_f32_e64 0x40a00000, |v47|
	s_cbranch_execz .LBB37_197
; %bb.186:
	v_mov_b32_e32 v45, 6
	s_mov_b32 s3, exec_lo
	v_cmpx_nle_f32_e64 0x40600000, |v47|
	s_cbranch_execz .LBB37_196
; %bb.187:
	v_mov_b32_e32 v45, 5
	;; [unrolled: 5-line block ×5, first 2 shown]
	s_mov_b32 s9, exec_lo
	v_cmpx_nle_f32_e64 0x3f400000, |v47|
; %bb.191:
	v_cmp_le_f32_e64 s10, 0x3e800000, |v47|
	s_delay_alu instid0(VALU_DEP_1)
	v_cndmask_b32_e64 v45, 0, 1, s10
; %bb.192:
	s_or_b32 exec_lo, exec_lo, s9
.LBB37_193:
	s_delay_alu instid0(SALU_CYCLE_1)
	s_or_b32 exec_lo, exec_lo, s8
.LBB37_194:
	s_delay_alu instid0(SALU_CYCLE_1)
	s_or_b32 exec_lo, exec_lo, s7
.LBB37_195:
	s_delay_alu instid0(SALU_CYCLE_1)
	s_or_b32 exec_lo, exec_lo, s5
.LBB37_196:
	s_delay_alu instid0(SALU_CYCLE_1)
	s_or_b32 exec_lo, exec_lo, s3
.LBB37_197:
	s_delay_alu instid0(SALU_CYCLE_1) | instskip(SKIP_3) | instid1(VALU_DEP_2)
	s_or_b32 exec_lo, exec_lo, s2
	v_dual_mul_f32 v54, v12, v51 :: v_dual_mov_b32 v51, 7
	v_mov_b32_e32 v53, 7
	s_mov_b32 s2, exec_lo
	v_cmpx_nle_f32_e64 0x40a00000, |v54|
	s_cbranch_execz .LBB37_209
; %bb.198:
	v_mov_b32_e32 v53, 6
	s_mov_b32 s3, exec_lo
	v_cmpx_nle_f32_e64 0x40600000, |v54|
	s_cbranch_execz .LBB37_208
; %bb.199:
	;; [unrolled: 5-line block ×5, first 2 shown]
	v_mov_b32_e32 v53, 2
	s_mov_b32 s9, exec_lo
	v_cmpx_nle_f32_e64 0x3f400000, |v54|
; %bb.203:
	v_cmp_le_f32_e64 s10, 0x3e800000, |v54|
	s_delay_alu instid0(VALU_DEP_1)
	v_cndmask_b32_e64 v53, 0, 1, s10
; %bb.204:
	s_or_b32 exec_lo, exec_lo, s9
.LBB37_205:
	s_delay_alu instid0(SALU_CYCLE_1)
	s_or_b32 exec_lo, exec_lo, s8
.LBB37_206:
	s_delay_alu instid0(SALU_CYCLE_1)
	s_or_b32 exec_lo, exec_lo, s7
.LBB37_207:
	s_delay_alu instid0(SALU_CYCLE_1)
	s_or_b32 exec_lo, exec_lo, s5
.LBB37_208:
	s_delay_alu instid0(SALU_CYCLE_1)
	s_or_b32 exec_lo, exec_lo, s3
.LBB37_209:
	s_delay_alu instid0(SALU_CYCLE_1) | instskip(SKIP_2) | instid1(VALU_DEP_1)
	s_or_b32 exec_lo, exec_lo, s2
	v_mul_f32_e32 v52, v12, v52
	s_mov_b32 s2, exec_lo
	v_cmpx_nle_f32_e64 0x40a00000, |v52|
	s_cbranch_execz .LBB37_221
; %bb.210:
	v_mov_b32_e32 v51, 6
	s_mov_b32 s3, exec_lo
	v_cmpx_nle_f32_e64 0x40600000, |v52|
	s_cbranch_execz .LBB37_220
; %bb.211:
	v_mov_b32_e32 v51, 5
	;; [unrolled: 5-line block ×5, first 2 shown]
	s_mov_b32 s9, exec_lo
	v_cmpx_nle_f32_e64 0x3f400000, |v52|
; %bb.215:
	v_cmp_le_f32_e64 s10, 0x3e800000, |v52|
	s_delay_alu instid0(VALU_DEP_1)
	v_cndmask_b32_e64 v51, 0, 1, s10
; %bb.216:
	s_or_b32 exec_lo, exec_lo, s9
.LBB37_217:
	s_delay_alu instid0(SALU_CYCLE_1)
	s_or_b32 exec_lo, exec_lo, s8
.LBB37_218:
	s_delay_alu instid0(SALU_CYCLE_1)
	s_or_b32 exec_lo, exec_lo, s7
.LBB37_219:
	s_delay_alu instid0(SALU_CYCLE_1)
	s_or_b32 exec_lo, exec_lo, s5
.LBB37_220:
	s_delay_alu instid0(SALU_CYCLE_1)
	s_or_b32 exec_lo, exec_lo, s3
.LBB37_221:
	s_delay_alu instid0(SALU_CYCLE_1) | instskip(SKIP_3) | instid1(VALU_DEP_2)
	s_or_b32 exec_lo, exec_lo, s2
	v_dual_mul_f32 v55, v12, v48 :: v_dual_mov_b32 v48, 7
	v_mov_b32_e32 v56, 7
	s_mov_b32 s2, exec_lo
	v_cmpx_nle_f32_e64 0x40a00000, |v55|
	s_cbranch_execz .LBB37_233
; %bb.222:
	v_mov_b32_e32 v56, 6
	s_mov_b32 s3, exec_lo
	v_cmpx_nle_f32_e64 0x40600000, |v55|
	s_cbranch_execz .LBB37_232
; %bb.223:
	;; [unrolled: 5-line block ×5, first 2 shown]
	v_mov_b32_e32 v56, 2
	s_mov_b32 s9, exec_lo
	v_cmpx_nle_f32_e64 0x3f400000, |v55|
; %bb.227:
	v_cmp_le_f32_e64 s10, 0x3e800000, |v55|
	s_delay_alu instid0(VALU_DEP_1)
	v_cndmask_b32_e64 v56, 0, 1, s10
; %bb.228:
	s_or_b32 exec_lo, exec_lo, s9
.LBB37_229:
	s_delay_alu instid0(SALU_CYCLE_1)
	s_or_b32 exec_lo, exec_lo, s8
.LBB37_230:
	s_delay_alu instid0(SALU_CYCLE_1)
	s_or_b32 exec_lo, exec_lo, s7
.LBB37_231:
	s_delay_alu instid0(SALU_CYCLE_1)
	s_or_b32 exec_lo, exec_lo, s5
.LBB37_232:
	s_delay_alu instid0(SALU_CYCLE_1)
	s_or_b32 exec_lo, exec_lo, s3
.LBB37_233:
	s_delay_alu instid0(SALU_CYCLE_1) | instskip(SKIP_2) | instid1(VALU_DEP_1)
	s_or_b32 exec_lo, exec_lo, s2
	v_mul_f32_e32 v46, v12, v46
	s_mov_b32 s2, exec_lo
	v_cmpx_nle_f32_e64 0x40a00000, |v46|
	s_cbranch_execz .LBB37_245
; %bb.234:
	v_mov_b32_e32 v48, 6
	s_mov_b32 s3, exec_lo
	v_cmpx_nle_f32_e64 0x40600000, |v46|
	s_cbranch_execz .LBB37_244
; %bb.235:
	v_mov_b32_e32 v48, 5
	;; [unrolled: 5-line block ×5, first 2 shown]
	s_mov_b32 s9, exec_lo
	v_cmpx_nle_f32_e64 0x3f400000, |v46|
; %bb.239:
	v_cmp_le_f32_e64 s10, 0x3e800000, |v46|
	s_delay_alu instid0(VALU_DEP_1)
	v_cndmask_b32_e64 v48, 0, 1, s10
; %bb.240:
	s_or_b32 exec_lo, exec_lo, s9
.LBB37_241:
	s_delay_alu instid0(SALU_CYCLE_1)
	s_or_b32 exec_lo, exec_lo, s8
.LBB37_242:
	s_delay_alu instid0(SALU_CYCLE_1)
	s_or_b32 exec_lo, exec_lo, s7
.LBB37_243:
	s_delay_alu instid0(SALU_CYCLE_1)
	s_or_b32 exec_lo, exec_lo, s5
.LBB37_244:
	s_delay_alu instid0(SALU_CYCLE_1)
	s_or_b32 exec_lo, exec_lo, s3
.LBB37_245:
	s_delay_alu instid0(SALU_CYCLE_1) | instskip(SKIP_3) | instid1(VALU_DEP_2)
	s_or_b32 exec_lo, exec_lo, s2
	v_dual_mul_f32 v57, v12, v43 :: v_dual_mov_b32 v58, 7
	v_mov_b32_e32 v43, 7
	s_mov_b32 s2, exec_lo
	v_cmpx_nle_f32_e64 0x40a00000, |v57|
	s_cbranch_execz .LBB37_257
; %bb.246:
	v_mov_b32_e32 v58, 6
	s_mov_b32 s3, exec_lo
	v_cmpx_nle_f32_e64 0x40600000, |v57|
	s_cbranch_execz .LBB37_256
; %bb.247:
	;; [unrolled: 5-line block ×5, first 2 shown]
	v_mov_b32_e32 v58, 2
	s_mov_b32 s9, exec_lo
	v_cmpx_nle_f32_e64 0x3f400000, |v57|
; %bb.251:
	v_cmp_le_f32_e64 s10, 0x3e800000, |v57|
	s_delay_alu instid0(VALU_DEP_1)
	v_cndmask_b32_e64 v58, 0, 1, s10
; %bb.252:
	s_or_b32 exec_lo, exec_lo, s9
.LBB37_253:
	s_delay_alu instid0(SALU_CYCLE_1)
	s_or_b32 exec_lo, exec_lo, s8
.LBB37_254:
	s_delay_alu instid0(SALU_CYCLE_1)
	s_or_b32 exec_lo, exec_lo, s7
.LBB37_255:
	s_delay_alu instid0(SALU_CYCLE_1)
	s_or_b32 exec_lo, exec_lo, s5
.LBB37_256:
	s_delay_alu instid0(SALU_CYCLE_1)
	s_or_b32 exec_lo, exec_lo, s3
.LBB37_257:
	s_delay_alu instid0(SALU_CYCLE_1) | instskip(SKIP_2) | instid1(VALU_DEP_1)
	s_or_b32 exec_lo, exec_lo, s2
	v_mul_f32_e32 v40, v12, v40
	s_mov_b32 s2, exec_lo
	v_cmpx_nle_f32_e64 0x40a00000, |v40|
	s_cbranch_execz .LBB37_269
; %bb.258:
	v_mov_b32_e32 v43, 6
	s_mov_b32 s3, exec_lo
	v_cmpx_nle_f32_e64 0x40600000, |v40|
	s_cbranch_execz .LBB37_268
; %bb.259:
	v_mov_b32_e32 v43, 5
	;; [unrolled: 5-line block ×5, first 2 shown]
	s_mov_b32 s9, exec_lo
	v_cmpx_nle_f32_e64 0x3f400000, |v40|
; %bb.263:
	v_cmp_le_f32_e64 s10, 0x3e800000, |v40|
	s_delay_alu instid0(VALU_DEP_1)
	v_cndmask_b32_e64 v43, 0, 1, s10
; %bb.264:
	s_or_b32 exec_lo, exec_lo, s9
.LBB37_265:
	s_delay_alu instid0(SALU_CYCLE_1)
	s_or_b32 exec_lo, exec_lo, s8
.LBB37_266:
	s_delay_alu instid0(SALU_CYCLE_1)
	s_or_b32 exec_lo, exec_lo, s7
.LBB37_267:
	s_delay_alu instid0(SALU_CYCLE_1)
	s_or_b32 exec_lo, exec_lo, s5
.LBB37_268:
	s_delay_alu instid0(SALU_CYCLE_1)
	s_or_b32 exec_lo, exec_lo, s3
.LBB37_269:
	s_delay_alu instid0(SALU_CYCLE_1) | instskip(SKIP_3) | instid1(VALU_DEP_2)
	s_or_b32 exec_lo, exec_lo, s2
	v_dual_mul_f32 v60, v12, v38 :: v_dual_mov_b32 v59, 7
	v_mov_b32_e32 v38, 7
	s_mov_b32 s2, exec_lo
	v_cmpx_nle_f32_e64 0x40a00000, |v60|
	s_cbranch_execz .LBB37_281
; %bb.270:
	v_mov_b32_e32 v59, 6
	s_mov_b32 s3, exec_lo
	v_cmpx_nle_f32_e64 0x40600000, |v60|
	s_cbranch_execz .LBB37_280
; %bb.271:
	;; [unrolled: 5-line block ×5, first 2 shown]
	v_mov_b32_e32 v59, 2
	s_mov_b32 s9, exec_lo
	v_cmpx_nle_f32_e64 0x3f400000, |v60|
; %bb.275:
	v_cmp_le_f32_e64 s10, 0x3e800000, |v60|
	s_delay_alu instid0(VALU_DEP_1)
	v_cndmask_b32_e64 v59, 0, 1, s10
; %bb.276:
	s_or_b32 exec_lo, exec_lo, s9
.LBB37_277:
	s_delay_alu instid0(SALU_CYCLE_1)
	s_or_b32 exec_lo, exec_lo, s8
.LBB37_278:
	s_delay_alu instid0(SALU_CYCLE_1)
	s_or_b32 exec_lo, exec_lo, s7
.LBB37_279:
	s_delay_alu instid0(SALU_CYCLE_1)
	s_or_b32 exec_lo, exec_lo, s5
.LBB37_280:
	s_delay_alu instid0(SALU_CYCLE_1)
	s_or_b32 exec_lo, exec_lo, s3
.LBB37_281:
	s_delay_alu instid0(SALU_CYCLE_1) | instskip(SKIP_2) | instid1(VALU_DEP_1)
	s_or_b32 exec_lo, exec_lo, s2
	v_mul_f32_e32 v34, v12, v34
	s_mov_b32 s2, exec_lo
	v_cmpx_nle_f32_e64 0x40a00000, |v34|
	s_cbranch_execz .LBB37_293
; %bb.282:
	v_mov_b32_e32 v38, 6
	s_mov_b32 s3, exec_lo
	v_cmpx_nle_f32_e64 0x40600000, |v34|
	s_cbranch_execz .LBB37_292
; %bb.283:
	v_mov_b32_e32 v38, 5
	s_mov_b32 s5, exec_lo
	v_cmpx_nle_f32_e64 0x40200000, |v34|
	s_cbranch_execz .LBB37_291
; %bb.284:
	v_mov_b32_e32 v38, 4
	s_mov_b32 s7, exec_lo
	v_cmpx_nle_f32_e64 0x3fe00000, |v34|
	s_cbranch_execz .LBB37_290
; %bb.285:
	v_mov_b32_e32 v38, 3
	s_mov_b32 s8, exec_lo
	v_cmpx_nle_f32_e64 0x3fa00000, |v34|
	s_cbranch_execz .LBB37_289
; %bb.286:
	v_mov_b32_e32 v38, 2
	s_mov_b32 s9, exec_lo
	v_cmpx_nle_f32_e64 0x3f400000, |v34|
; %bb.287:
	v_cmp_le_f32_e64 s10, 0x3e800000, |v34|
	s_delay_alu instid0(VALU_DEP_1)
	v_cndmask_b32_e64 v38, 0, 1, s10
; %bb.288:
	s_or_b32 exec_lo, exec_lo, s9
.LBB37_289:
	s_delay_alu instid0(SALU_CYCLE_1)
	s_or_b32 exec_lo, exec_lo, s8
.LBB37_290:
	s_delay_alu instid0(SALU_CYCLE_1)
	s_or_b32 exec_lo, exec_lo, s7
.LBB37_291:
	s_delay_alu instid0(SALU_CYCLE_1)
	s_or_b32 exec_lo, exec_lo, s5
.LBB37_292:
	s_delay_alu instid0(SALU_CYCLE_1)
	s_or_b32 exec_lo, exec_lo, s3
.LBB37_293:
	s_delay_alu instid0(SALU_CYCLE_1) | instskip(SKIP_3) | instid1(VALU_DEP_2)
	s_or_b32 exec_lo, exec_lo, s2
	v_dual_mul_f32 v62, v12, v31 :: v_dual_mov_b32 v31, 7
	v_mov_b32_e32 v61, 7
	s_mov_b32 s2, exec_lo
	v_cmpx_nle_f32_e64 0x40a00000, |v62|
	s_cbranch_execz .LBB37_305
; %bb.294:
	v_mov_b32_e32 v61, 6
	s_mov_b32 s3, exec_lo
	v_cmpx_nle_f32_e64 0x40600000, |v62|
	s_cbranch_execz .LBB37_304
; %bb.295:
	;; [unrolled: 5-line block ×5, first 2 shown]
	v_mov_b32_e32 v61, 2
	s_mov_b32 s9, exec_lo
	v_cmpx_nle_f32_e64 0x3f400000, |v62|
; %bb.299:
	v_cmp_le_f32_e64 s10, 0x3e800000, |v62|
	s_delay_alu instid0(VALU_DEP_1)
	v_cndmask_b32_e64 v61, 0, 1, s10
; %bb.300:
	s_or_b32 exec_lo, exec_lo, s9
.LBB37_301:
	s_delay_alu instid0(SALU_CYCLE_1)
	s_or_b32 exec_lo, exec_lo, s8
.LBB37_302:
	s_delay_alu instid0(SALU_CYCLE_1)
	s_or_b32 exec_lo, exec_lo, s7
.LBB37_303:
	s_delay_alu instid0(SALU_CYCLE_1)
	s_or_b32 exec_lo, exec_lo, s5
.LBB37_304:
	s_delay_alu instid0(SALU_CYCLE_1)
	s_or_b32 exec_lo, exec_lo, s3
.LBB37_305:
	s_delay_alu instid0(SALU_CYCLE_1) | instskip(SKIP_2) | instid1(VALU_DEP_1)
	s_or_b32 exec_lo, exec_lo, s2
	v_mul_f32_e32 v27, v12, v27
	s_mov_b32 s2, exec_lo
	v_cmpx_nle_f32_e64 0x40a00000, |v27|
	s_cbranch_execz .LBB37_317
; %bb.306:
	v_mov_b32_e32 v31, 6
	s_mov_b32 s3, exec_lo
	v_cmpx_nle_f32_e64 0x40600000, |v27|
	s_cbranch_execz .LBB37_316
; %bb.307:
	v_mov_b32_e32 v31, 5
	;; [unrolled: 5-line block ×5, first 2 shown]
	s_mov_b32 s9, exec_lo
	v_cmpx_nle_f32_e64 0x3f400000, |v27|
; %bb.311:
	v_cmp_le_f32_e64 s10, 0x3e800000, |v27|
	s_delay_alu instid0(VALU_DEP_1)
	v_cndmask_b32_e64 v31, 0, 1, s10
; %bb.312:
	s_or_b32 exec_lo, exec_lo, s9
.LBB37_313:
	s_delay_alu instid0(SALU_CYCLE_1)
	s_or_b32 exec_lo, exec_lo, s8
.LBB37_314:
	s_delay_alu instid0(SALU_CYCLE_1)
	s_or_b32 exec_lo, exec_lo, s7
.LBB37_315:
	s_delay_alu instid0(SALU_CYCLE_1)
	s_or_b32 exec_lo, exec_lo, s5
.LBB37_316:
	s_delay_alu instid0(SALU_CYCLE_1)
	s_or_b32 exec_lo, exec_lo, s3
.LBB37_317:
	s_delay_alu instid0(SALU_CYCLE_1) | instskip(SKIP_3) | instid1(VALU_DEP_2)
	s_or_b32 exec_lo, exec_lo, s2
	v_dual_mul_f32 v64, v12, v25 :: v_dual_mov_b32 v25, 7
	v_mov_b32_e32 v63, 7
	s_mov_b32 s2, exec_lo
	v_cmpx_nle_f32_e64 0x40a00000, |v64|
	s_cbranch_execz .LBB37_329
; %bb.318:
	v_mov_b32_e32 v63, 6
	s_mov_b32 s3, exec_lo
	v_cmpx_nle_f32_e64 0x40600000, |v64|
	s_cbranch_execz .LBB37_328
; %bb.319:
	;; [unrolled: 5-line block ×5, first 2 shown]
	v_mov_b32_e32 v63, 2
	s_mov_b32 s9, exec_lo
	v_cmpx_nle_f32_e64 0x3f400000, |v64|
; %bb.323:
	v_cmp_le_f32_e64 s10, 0x3e800000, |v64|
	s_delay_alu instid0(VALU_DEP_1)
	v_cndmask_b32_e64 v63, 0, 1, s10
; %bb.324:
	s_or_b32 exec_lo, exec_lo, s9
.LBB37_325:
	s_delay_alu instid0(SALU_CYCLE_1)
	s_or_b32 exec_lo, exec_lo, s8
.LBB37_326:
	s_delay_alu instid0(SALU_CYCLE_1)
	s_or_b32 exec_lo, exec_lo, s7
.LBB37_327:
	s_delay_alu instid0(SALU_CYCLE_1)
	s_or_b32 exec_lo, exec_lo, s5
.LBB37_328:
	s_delay_alu instid0(SALU_CYCLE_1)
	s_or_b32 exec_lo, exec_lo, s3
.LBB37_329:
	s_delay_alu instid0(SALU_CYCLE_1) | instskip(SKIP_2) | instid1(VALU_DEP_1)
	s_or_b32 exec_lo, exec_lo, s2
	v_mul_f32_e32 v21, v12, v21
	s_mov_b32 s2, exec_lo
	v_cmpx_nle_f32_e64 0x40a00000, |v21|
	s_cbranch_execz .LBB37_341
; %bb.330:
	v_mov_b32_e32 v25, 6
	s_mov_b32 s3, exec_lo
	v_cmpx_nle_f32_e64 0x40600000, |v21|
	s_cbranch_execz .LBB37_340
; %bb.331:
	v_mov_b32_e32 v25, 5
	;; [unrolled: 5-line block ×5, first 2 shown]
	s_mov_b32 s9, exec_lo
	v_cmpx_nle_f32_e64 0x3f400000, |v21|
; %bb.335:
	v_cmp_le_f32_e64 s10, 0x3e800000, |v21|
	s_delay_alu instid0(VALU_DEP_1)
	v_cndmask_b32_e64 v25, 0, 1, s10
; %bb.336:
	s_or_b32 exec_lo, exec_lo, s9
.LBB37_337:
	s_delay_alu instid0(SALU_CYCLE_1)
	s_or_b32 exec_lo, exec_lo, s8
.LBB37_338:
	s_delay_alu instid0(SALU_CYCLE_1)
	s_or_b32 exec_lo, exec_lo, s7
.LBB37_339:
	s_delay_alu instid0(SALU_CYCLE_1)
	s_or_b32 exec_lo, exec_lo, s5
.LBB37_340:
	s_delay_alu instid0(SALU_CYCLE_1)
	s_or_b32 exec_lo, exec_lo, s3
.LBB37_341:
	s_delay_alu instid0(SALU_CYCLE_1) | instskip(SKIP_3) | instid1(VALU_DEP_2)
	s_or_b32 exec_lo, exec_lo, s2
	v_dual_mul_f32 v65, v12, v19 :: v_dual_mov_b32 v66, 7
	v_mov_b32_e32 v19, 7
	s_mov_b32 s2, exec_lo
	v_cmpx_nle_f32_e64 0x40a00000, |v65|
	s_cbranch_execz .LBB37_353
; %bb.342:
	v_mov_b32_e32 v66, 6
	s_mov_b32 s3, exec_lo
	v_cmpx_nle_f32_e64 0x40600000, |v65|
	s_cbranch_execz .LBB37_352
; %bb.343:
	;; [unrolled: 5-line block ×5, first 2 shown]
	v_mov_b32_e32 v66, 2
	s_mov_b32 s9, exec_lo
	v_cmpx_nle_f32_e64 0x3f400000, |v65|
; %bb.347:
	v_cmp_le_f32_e64 s10, 0x3e800000, |v65|
	s_delay_alu instid0(VALU_DEP_1)
	v_cndmask_b32_e64 v66, 0, 1, s10
; %bb.348:
	s_or_b32 exec_lo, exec_lo, s9
.LBB37_349:
	s_delay_alu instid0(SALU_CYCLE_1)
	s_or_b32 exec_lo, exec_lo, s8
.LBB37_350:
	s_delay_alu instid0(SALU_CYCLE_1)
	s_or_b32 exec_lo, exec_lo, s7
.LBB37_351:
	s_delay_alu instid0(SALU_CYCLE_1)
	s_or_b32 exec_lo, exec_lo, s5
.LBB37_352:
	s_delay_alu instid0(SALU_CYCLE_1)
	s_or_b32 exec_lo, exec_lo, s3
.LBB37_353:
	s_delay_alu instid0(SALU_CYCLE_1) | instskip(SKIP_2) | instid1(VALU_DEP_1)
	s_or_b32 exec_lo, exec_lo, s2
	v_mul_f32_e32 v15, v12, v15
	s_mov_b32 s2, exec_lo
	v_cmpx_nle_f32_e64 0x40a00000, |v15|
	s_cbranch_execz .LBB37_365
; %bb.354:
	v_mov_b32_e32 v19, 6
	s_mov_b32 s3, exec_lo
	v_cmpx_nle_f32_e64 0x40600000, |v15|
	s_cbranch_execz .LBB37_364
; %bb.355:
	v_mov_b32_e32 v19, 5
	;; [unrolled: 5-line block ×5, first 2 shown]
	s_mov_b32 s9, exec_lo
	v_cmpx_nle_f32_e64 0x3f400000, |v15|
; %bb.359:
	v_cmp_le_f32_e64 s10, 0x3e800000, |v15|
	s_delay_alu instid0(VALU_DEP_1)
	v_cndmask_b32_e64 v19, 0, 1, s10
; %bb.360:
	s_or_b32 exec_lo, exec_lo, s9
.LBB37_361:
	s_delay_alu instid0(SALU_CYCLE_1)
	s_or_b32 exec_lo, exec_lo, s8
.LBB37_362:
	s_delay_alu instid0(SALU_CYCLE_1)
	s_or_b32 exec_lo, exec_lo, s7
.LBB37_363:
	s_delay_alu instid0(SALU_CYCLE_1)
	s_or_b32 exec_lo, exec_lo, s5
.LBB37_364:
	s_delay_alu instid0(SALU_CYCLE_1)
	s_or_b32 exec_lo, exec_lo, s3
.LBB37_365:
	s_delay_alu instid0(SALU_CYCLE_1) | instskip(SKIP_4) | instid1(VALU_DEP_2)
	s_or_b32 exec_lo, exec_lo, s2
	s_load_b64 s[2:3], s[0:1], 0x10
	v_dual_mul_f32 v67, v12, v13 :: v_dual_mov_b32 v68, 7
	v_mov_b32_e32 v13, 7
	s_mov_b32 s5, exec_lo
	v_cmpx_nle_f32_e64 0x40a00000, |v67|
	s_cbranch_execz .LBB37_377
; %bb.366:
	v_mov_b32_e32 v68, 6
	s_mov_b32 s7, exec_lo
	v_cmpx_nle_f32_e64 0x40600000, |v67|
	s_cbranch_execz .LBB37_376
; %bb.367:
	;; [unrolled: 5-line block ×5, first 2 shown]
	v_mov_b32_e32 v68, 2
	s_mov_b32 s11, exec_lo
	v_cmpx_nle_f32_e64 0x3f400000, |v67|
; %bb.371:
	v_cmp_le_f32_e64 s12, 0x3e800000, |v67|
	s_delay_alu instid0(VALU_DEP_1)
	v_cndmask_b32_e64 v68, 0, 1, s12
; %bb.372:
	s_or_b32 exec_lo, exec_lo, s11
.LBB37_373:
	s_delay_alu instid0(SALU_CYCLE_1)
	s_or_b32 exec_lo, exec_lo, s10
.LBB37_374:
	s_delay_alu instid0(SALU_CYCLE_1)
	s_or_b32 exec_lo, exec_lo, s9
.LBB37_375:
	s_delay_alu instid0(SALU_CYCLE_1)
	s_or_b32 exec_lo, exec_lo, s8
.LBB37_376:
	s_delay_alu instid0(SALU_CYCLE_1)
	s_or_b32 exec_lo, exec_lo, s7
.LBB37_377:
	s_delay_alu instid0(SALU_CYCLE_1) | instskip(SKIP_3) | instid1(VALU_DEP_1)
	s_or_b32 exec_lo, exec_lo, s5
	s_load_b64 s[0:1], s[0:1], 0x8
	v_mul_f32_e32 v8, v12, v8
	s_mov_b32 s5, exec_lo
	v_cmpx_nle_f32_e64 0x40a00000, |v8|
	s_cbranch_execz .LBB37_389
; %bb.378:
	v_mov_b32_e32 v13, 6
	s_mov_b32 s7, exec_lo
	v_cmpx_nle_f32_e64 0x40600000, |v8|
	s_cbranch_execz .LBB37_388
; %bb.379:
	v_mov_b32_e32 v13, 5
	;; [unrolled: 5-line block ×5, first 2 shown]
	s_mov_b32 s11, exec_lo
	v_cmpx_nle_f32_e64 0x3f400000, |v8|
; %bb.383:
	v_cmp_le_f32_e64 s12, 0x3e800000, |v8|
	s_delay_alu instid0(VALU_DEP_1)
	v_cndmask_b32_e64 v13, 0, 1, s12
; %bb.384:
	s_or_b32 exec_lo, exec_lo, s11
.LBB37_385:
	s_delay_alu instid0(SALU_CYCLE_1)
	s_or_b32 exec_lo, exec_lo, s10
.LBB37_386:
	s_delay_alu instid0(SALU_CYCLE_1)
	s_or_b32 exec_lo, exec_lo, s9
.LBB37_387:
	s_delay_alu instid0(SALU_CYCLE_1)
	s_or_b32 exec_lo, exec_lo, s8
.LBB37_388:
	s_delay_alu instid0(SALU_CYCLE_1)
	s_or_b32 exec_lo, exec_lo, s7
.LBB37_389:
	s_delay_alu instid0(SALU_CYCLE_1)
	s_or_b32 exec_lo, exec_lo, s5
	v_cmp_gt_f32_e32 vcc_lo, 0, v67
	v_lshlrev_b16 v6, 4, v6
	v_lshlrev_b16 v25, 4, v25
	;; [unrolled: 1-line block ×4, first 2 shown]
	v_cndmask_b32_e64 v12, 0, 1, vcc_lo
	v_cmp_gt_f32_e32 vcc_lo, 0, v65
	s_lshr_b32 s5, s4, 31
	s_delay_alu instid0(SALU_CYCLE_1) | instskip(NEXT) | instid1(VALU_DEP_2)
	s_add_i32 s4, s4, s5
	v_lshlrev_b16 v12, 3, v12
	v_cndmask_b32_e64 v65, 0, 1, vcc_lo
	v_cmp_gt_f32_e32 vcc_lo, 0, v64
	s_ashr_i32 s4, s4, 1
	s_delay_alu instid0(SALU_CYCLE_1) | instskip(NEXT) | instid1(VALU_DEP_2)
	s_ashr_i32 s5, s4, 31
	v_lshlrev_b16 v65, 3, v65
	v_cndmask_b32_e64 v64, 0, 1, vcc_lo
	v_cmp_gt_f32_e32 vcc_lo, 0, v62
	v_or_b32_e32 v12, v12, v68
	v_mul_lo_u32 v1, v1, s4
	v_or_b32_e32 v65, v65, v66
	v_lshlrev_b16 v64, 3, v64
	v_cndmask_b32_e64 v62, 0, 1, vcc_lo
	v_cmp_gt_f32_e32 vcc_lo, 0, v60
	s_delay_alu instid0(VALU_DEP_3) | instskip(NEXT) | instid1(VALU_DEP_3)
	v_or_b32_e32 v63, v64, v63
	v_lshlrev_b16 v62, 3, v62
	v_cndmask_b32_e64 v60, 0, 1, vcc_lo
	v_cmp_gt_f32_e32 vcc_lo, 0, v57
	s_delay_alu instid0(VALU_DEP_3) | instskip(NEXT) | instid1(VALU_DEP_3)
	;; [unrolled: 5-line block ×11, first 2 shown]
	v_or_b32_e32 v23, v24, v23
	v_lshlrev_b16 v18, 3, v18
	v_cndmask_b32_e64 v4, 0, 1, vcc_lo
	v_cmp_gt_f32_e32 vcc_lo, 0, v7
	s_delay_alu instid0(VALU_DEP_2) | instskip(SKIP_2) | instid1(VALU_DEP_3)
	v_lshlrev_b16 v4, 3, v4
	v_cndmask_b32_e64 v7, 0, 1, vcc_lo
	v_cmp_gt_f32_e32 vcc_lo, 0, v10
	v_or_b32_e32 v4, v4, v5
	s_delay_alu instid0(VALU_DEP_3)
	v_lshlrev_b16 v7, 7, v7
	v_cndmask_b32_e64 v10, 0, 1, vcc_lo
	v_cmp_gt_f32_e32 vcc_lo, 0, v14
	v_lshlrev_b16 v14, 4, v22
	v_lshlrev_b16 v22, 4, v48
	v_or_b32_e32 v5, v7, v6
	v_lshlrev_b16 v10, 3, v10
	v_cndmask_b32_e64 v6, 0, 1, vcc_lo
	v_cmp_gt_f32_e32 vcc_lo, 0, v20
	v_or_b32_e32 v7, v18, v17
	v_or_b32_e32 v4, v5, v4
	v_lshlrev_b16 v5, 4, v9
	v_or_b32_e32 v10, v10, v11
	v_cndmask_b32_e64 v9, 0, 1, vcc_lo
	v_cmp_gt_f32_e32 vcc_lo, 0, v26
	v_lshlrev_b16 v6, 7, v6
	v_lshlrev_b16 v17, 4, v39
	;; [unrolled: 1-line block ×4, first 2 shown]
	v_cndmask_b32_e64 v11, 0, 1, vcc_lo
	v_cmp_gt_f32_e32 vcc_lo, 0, v32
	v_or_b32_e32 v5, v6, v5
	v_lshlrev_b16 v6, 4, v16
	s_delay_alu instid0(VALU_DEP_4)
	v_lshlrev_b16 v11, 7, v11
	v_cndmask_b32_e64 v16, 0, 1, vcc_lo
	v_cmp_gt_f32_e32 vcc_lo, 0, v36
	v_or_b32_e32 v10, v5, v10
	v_or_b32_e32 v5, v9, v6
	;; [unrolled: 1-line block ×3, first 2 shown]
	v_lshlrev_b16 v9, 4, v28
	v_cndmask_b32_e64 v14, 0, 1, vcc_lo
	v_cmp_gt_f32_e32 vcc_lo, 0, v41
	v_lshlrev_b16 v11, 7, v16
	v_or_b32_e32 v7, v5, v7
	v_or_b32_e32 v6, v6, v23
	v_lshlrev_b16 v14, 7, v14
	v_cndmask_b32_e64 v16, 0, 1, vcc_lo
	v_or_b32_e32 v9, v11, v9
	v_lshlrev_b16 v11, 4, v33
	v_cmp_gt_f32_e32 vcc_lo, 0, v47
	v_lshlrev_b16 v10, 8, v10
	v_lshlrev_b16 v16, 7, v16
	v_or_b32_e32 v9, v9, v29
	v_or_b32_e32 v5, v14, v11
	v_lshlrev_b16 v14, 4, v45
	v_lshlrev_b16 v6, 8, v6
	v_or_b32_e32 v11, v16, v17
	v_cndmask_b32_e64 v16, 0, 1, vcc_lo
	v_cmp_gt_f32_e32 vcc_lo, 0, v52
	v_or_b32_e32 v23, v5, v35
	v_or_b32_e32 v4, v4, v10
	;; [unrolled: 1-line block ×3, first 2 shown]
	v_lshlrev_b16 v16, 7, v16
	v_cndmask_b32_e64 v17, 0, 1, vcc_lo
	v_cmp_gt_f32_e32 vcc_lo, 0, v46
	v_or_b32_e32 v10, v7, v6
	s_delay_alu instid0(VALU_DEP_4) | instskip(NEXT) | instid1(VALU_DEP_4)
	v_or_b32_e32 v5, v16, v14
	v_lshlrev_b16 v17, 7, v17
	v_cndmask_b32_e64 v18, 0, 1, vcc_lo
	v_cmp_gt_f32_e32 vcc_lo, 0, v40
	v_lshlrev_b32_e32 v10, 16, v10
	s_delay_alu instid0(VALU_DEP_4) | instskip(NEXT) | instid1(VALU_DEP_4)
	v_or_b32_e32 v14, v17, v20
	v_lshlrev_b16 v18, 7, v18
	v_cndmask_b32_e64 v17, 0, 1, vcc_lo
	v_cmp_gt_f32_e32 vcc_lo, 0, v21
	v_lshlrev_b16 v20, 4, v38
	v_or_b32_e32 v14, v14, v53
	v_or_b32_e32 v16, v18, v22
	v_lshlrev_b16 v22, 4, v31
	v_cndmask_b32_e64 v21, 0, 1, vcc_lo
	v_cmp_gt_f32_e32 vcc_lo, 0, v27
	v_or_b32_e32 v18, v5, v49
	v_or_b32_e32 v5, v16, v55
	v_lshlrev_b16 v16, 4, v43
	v_lshlrev_b16 v21, 7, v21
	v_cndmask_b32_e64 v24, 0, 1, vcc_lo
	v_cmp_gt_f32_e32 vcc_lo, 0, v8
	v_lshlrev_b16 v17, 7, v17
	s_delay_alu instid0(VALU_DEP_4) | instskip(NEXT) | instid1(VALU_DEP_4)
	v_or_b32_e32 v21, v21, v25
	v_lshlrev_b16 v24, 7, v24
	v_cndmask_b32_e64 v8, 0, 1, vcc_lo
	v_cmp_gt_f32_e32 vcc_lo, 0, v15
	v_or_b32_e32 v16, v17, v16
	v_lshrrev_b32_e32 v17, 23, v3
	v_or_b32_e32 v22, v24, v22
	v_lshlrev_b16 v8, 7, v8
	v_cndmask_b32_e64 v15, 0, 1, vcc_lo
	v_cmp_gt_f32_e32 vcc_lo, 0, v34
	v_lshlrev_b16 v3, 8, v5
	v_or_b32_e32 v16, v16, v57
	v_or_b32_e32 v8, v8, v13
	v_lshlrev_b16 v15, 7, v15
	v_cndmask_b32_e64 v13, 0, 1, vcc_lo
	v_or_b32_e32 v3, v14, v3
	v_lshlrev_b16 v14, 8, v18
	v_or_b32_e32 v8, v8, v12
	v_or_b32_e32 v15, v15, v19
	;; [unrolled: 1-line block ×3, first 2 shown]
	v_lshlrev_b16 v12, 7, v13
	v_or_b32_e32 v13, v22, v61
	v_lshlrev_b16 v8, 8, v8
	v_or_b32_e32 v15, v15, v65
	v_lshlrev_b16 v19, 8, v19
	v_ashrrev_i32_e32 v21, 31, v0
	v_or_b32_e32 v11, v11, v14
	v_or_b32_e32 v12, v12, v20
	v_or_b32_e32 v8, v15, v8
	v_or_b32_e32 v13, v13, v19
	v_lshrrev_b32_e32 v15, 27, v21
	v_lshrrev_b32_e32 v14, 28, v21
	v_or_b32_e32 v12, v12, v59
	v_lshlrev_b32_e32 v8, 16, v8
	v_and_b32_e32 v13, 0xffff, v13
	v_add_nc_u32_e32 v15, v0, v15
	v_add_nc_u32_e32 v7, v0, v14
	v_lshlrev_b32_e32 v14, 6, v2
	v_lshlrev_b16 v12, 8, v12
	v_or_b32_e32 v5, v13, v8
	v_and_b32_e32 v8, 0xffe0, v15
	v_lshlrev_b16 v13, 8, v23
	v_and_b32_e32 v7, 0x3ffffff0, v7
	v_or_b32_e32 v12, v16, v12
	v_and_b32_e32 v3, 0xffff, v3
	v_sub_nc_u32_e32 v8, v0, v8
	v_or_b32_e32 v9, v9, v13
	v_sub_nc_u32_e32 v7, v0, v7
	v_lshlrev_b32_e32 v12, 16, v12
	v_lshlrev_b32_e32 v11, 16, v11
	v_bfe_i32 v13, v8, 0, 8
	v_and_b32_e32 v9, 0xffff, v9
	s_delay_alu instid0(VALU_DEP_2) | instskip(NEXT) | instid1(VALU_DEP_1)
	v_lshrrev_b16 v13, 11, v13
	v_and_b32_e32 v6, 15, v13
	v_lshrrev_b32_e32 v13, 5, v15
	v_lshrrev_b32_e32 v15, 1, v2
	s_delay_alu instid0(VALU_DEP_3) | instskip(NEXT) | instid1(VALU_DEP_3)
	v_add_nc_u16 v6, v8, v6
	v_mul_lo_u32 v8, v13, s6
	v_and_b32_e32 v13, 0xc0, v14
	v_and_b32_e32 v14, 0x3fffff8, v2
	s_delay_alu instid0(VALU_DEP_4) | instskip(NEXT) | instid1(VALU_DEP_3)
	v_bfe_i32 v6, v6, 0, 8
	v_lshl_add_u32 v7, v7, 2, v13
	v_mul_lo_u32 v13, v0, s5
	s_delay_alu instid0(VALU_DEP_4) | instskip(NEXT) | instid1(VALU_DEP_4)
	v_add_lshl_u32 v8, v8, v14, 5
	v_ashrrev_i16 v6, 4, v6
	s_delay_alu instid0(VALU_DEP_4) | instskip(NEXT) | instid1(VALU_DEP_2)
	v_and_or_b32 v15, v15, 2, v7
	v_bfe_i32 v14, v6, 0, 16
	s_waitcnt lgkmcnt(0)
	v_mad_u64_u32 v[6:7], null, v0, s4, s[0:1]
	v_and_b32_e32 v0, 0xffff, v4
	v_or_b32_e32 v4, v3, v12
	v_add3_u32 v8, v15, v8, v14
	v_or_b32_e32 v3, v9, v11
	v_lshlrev_b32_e32 v9, 4, v2
	v_or_b32_e32 v2, v0, v10
	v_add3_u32 v1, v1, v7, v13
	v_ashrrev_i32_e32 v7, 31, v8
	s_delay_alu instid0(VALU_DEP_4) | instskip(NEXT) | instid1(VALU_DEP_3)
	v_add_co_u32 v0, vcc_lo, v6, v9
	v_add_co_ci_u32_e32 v1, vcc_lo, 0, v1, vcc_lo
	v_add_co_u32 v6, vcc_lo, s2, v8
	s_delay_alu instid0(VALU_DEP_4)
	v_add_co_ci_u32_e32 v7, vcc_lo, s3, v7, vcc_lo
	global_store_b128 v[0:1], v[2:5], off
	global_store_b8 v[6:7], v17, off
.LBB37_390:
	s_nop 0
	s_sendmsg sendmsg(MSG_DEALLOC_VGPRS)
	s_endpgm
	.section	.rodata,"a",@progbits
	.p2align	6, 0x0
	.amdhsa_kernel _ZN5aiter18quant_mxfp4_kernelI12hip_bfloat16LNS_16MxScaleRoundModeE3ELb1ELb0ELb0EEEvPKT_PhPfliiib
		.amdhsa_group_segment_fixed_size 0
		.amdhsa_private_segment_fixed_size 0
		.amdhsa_kernarg_size 304
		.amdhsa_user_sgpr_count 15
		.amdhsa_user_sgpr_dispatch_ptr 0
		.amdhsa_user_sgpr_queue_ptr 0
		.amdhsa_user_sgpr_kernarg_segment_ptr 1
		.amdhsa_user_sgpr_dispatch_id 0
		.amdhsa_user_sgpr_private_segment_size 0
		.amdhsa_wavefront_size32 1
		.amdhsa_uses_dynamic_stack 0
		.amdhsa_enable_private_segment 0
		.amdhsa_system_sgpr_workgroup_id_x 1
		.amdhsa_system_sgpr_workgroup_id_y 0
		.amdhsa_system_sgpr_workgroup_id_z 0
		.amdhsa_system_sgpr_workgroup_info 0
		.amdhsa_system_vgpr_workitem_id 0
		.amdhsa_next_free_vgpr 69
		.amdhsa_next_free_sgpr 16
		.amdhsa_reserve_vcc 1
		.amdhsa_float_round_mode_32 0
		.amdhsa_float_round_mode_16_64 0
		.amdhsa_float_denorm_mode_32 3
		.amdhsa_float_denorm_mode_16_64 3
		.amdhsa_dx10_clamp 1
		.amdhsa_ieee_mode 1
		.amdhsa_fp16_overflow 0
		.amdhsa_workgroup_processor_mode 1
		.amdhsa_memory_ordered 1
		.amdhsa_forward_progress 0
		.amdhsa_shared_vgpr_count 0
		.amdhsa_exception_fp_ieee_invalid_op 0
		.amdhsa_exception_fp_denorm_src 0
		.amdhsa_exception_fp_ieee_div_zero 0
		.amdhsa_exception_fp_ieee_overflow 0
		.amdhsa_exception_fp_ieee_underflow 0
		.amdhsa_exception_fp_ieee_inexact 0
		.amdhsa_exception_int_div_zero 0
	.end_amdhsa_kernel
	.section	.text._ZN5aiter18quant_mxfp4_kernelI12hip_bfloat16LNS_16MxScaleRoundModeE3ELb1ELb0ELb0EEEvPKT_PhPfliiib,"axG",@progbits,_ZN5aiter18quant_mxfp4_kernelI12hip_bfloat16LNS_16MxScaleRoundModeE3ELb1ELb0ELb0EEEvPKT_PhPfliiib,comdat
.Lfunc_end37:
	.size	_ZN5aiter18quant_mxfp4_kernelI12hip_bfloat16LNS_16MxScaleRoundModeE3ELb1ELb0ELb0EEEvPKT_PhPfliiib, .Lfunc_end37-_ZN5aiter18quant_mxfp4_kernelI12hip_bfloat16LNS_16MxScaleRoundModeE3ELb1ELb0ELb0EEEvPKT_PhPfliiib
                                        ; -- End function
	.section	.AMDGPU.csdata,"",@progbits
; Kernel info:
; codeLenInByte = 10100
; NumSgprs: 18
; NumVgprs: 69
; ScratchSize: 0
; MemoryBound: 0
; FloatMode: 240
; IeeeMode: 1
; LDSByteSize: 0 bytes/workgroup (compile time only)
; SGPRBlocks: 2
; VGPRBlocks: 8
; NumSGPRsForWavesPerEU: 18
; NumVGPRsForWavesPerEU: 69
; Occupancy: 16
; WaveLimiterHint : 0
; COMPUTE_PGM_RSRC2:SCRATCH_EN: 0
; COMPUTE_PGM_RSRC2:USER_SGPR: 15
; COMPUTE_PGM_RSRC2:TRAP_HANDLER: 0
; COMPUTE_PGM_RSRC2:TGID_X_EN: 1
; COMPUTE_PGM_RSRC2:TGID_Y_EN: 0
; COMPUTE_PGM_RSRC2:TGID_Z_EN: 0
; COMPUTE_PGM_RSRC2:TIDIG_COMP_CNT: 0
	.section	.text._ZN5aiter18quant_mxfp4_kernelI12hip_bfloat16LNS_16MxScaleRoundModeE3ELb0ELb1ELb1EEEvPKT_PhPfliiib,"axG",@progbits,_ZN5aiter18quant_mxfp4_kernelI12hip_bfloat16LNS_16MxScaleRoundModeE3ELb0ELb1ELb1EEEvPKT_PhPfliiib,comdat
	.protected	_ZN5aiter18quant_mxfp4_kernelI12hip_bfloat16LNS_16MxScaleRoundModeE3ELb0ELb1ELb1EEEvPKT_PhPfliiib ; -- Begin function _ZN5aiter18quant_mxfp4_kernelI12hip_bfloat16LNS_16MxScaleRoundModeE3ELb0ELb1ELb1EEEvPKT_PhPfliiib
	.globl	_ZN5aiter18quant_mxfp4_kernelI12hip_bfloat16LNS_16MxScaleRoundModeE3ELb0ELb1ELb1EEEvPKT_PhPfliiib
	.p2align	8
	.type	_ZN5aiter18quant_mxfp4_kernelI12hip_bfloat16LNS_16MxScaleRoundModeE3ELb0ELb1ELb1EEEvPKT_PhPfliiib,@function
_ZN5aiter18quant_mxfp4_kernelI12hip_bfloat16LNS_16MxScaleRoundModeE3ELb0ELb1ELb1EEEvPKT_PhPfliiib: ; @_ZN5aiter18quant_mxfp4_kernelI12hip_bfloat16LNS_16MxScaleRoundModeE3ELb0ELb1ELb1EEEvPKT_PhPfliiib
; %bb.0:
	s_clause 0x1
	s_load_b32 s2, s[0:1], 0x3c
	s_load_b128 s[4:7], s[0:1], 0x20
	v_mov_b32_e32 v1, 0
	s_delay_alu instid0(VALU_DEP_1)
	v_mov_b32_e32 v4, v1
	s_waitcnt lgkmcnt(0)
	s_and_b32 s2, s2, 0xffff
	s_mov_b32 s3, s6
	v_mad_u64_u32 v[2:3], null, s2, s15, v[0:1]
	s_ashr_i32 s2, s6, 31
	s_mov_b32 s6, exec_lo
                                        ; implicit-def: $vgpr0_vgpr1
	s_delay_alu instid0(VALU_DEP_1) | instskip(NEXT) | instid1(VALU_DEP_1)
	v_or_b32_e32 v5, s2, v3
	v_cmpx_ne_u64_e32 0, v[4:5]
	s_xor_b32 s6, exec_lo, s6
	s_cbranch_execz .LBB38_2
; %bb.1:
	s_add_u32 s10, s3, s2
	s_mov_b32 s8, s2
	s_mov_b32 s9, s2
	s_addc_u32 s11, s2, s2
	s_delay_alu instid0(SALU_CYCLE_1) | instskip(NEXT) | instid1(SALU_CYCLE_1)
	s_xor_b64 s[10:11], s[10:11], s[8:9]
	v_cvt_f32_u32_e32 v0, s10
	v_cvt_f32_u32_e32 v1, s11
	s_sub_u32 s2, 0, s10
	s_subb_u32 s12, 0, s11
	s_delay_alu instid0(VALU_DEP_1) | instskip(NEXT) | instid1(VALU_DEP_1)
	v_fmamk_f32 v0, v1, 0x4f800000, v0
	v_rcp_f32_e32 v0, v0
	s_waitcnt_depctr 0xfff
	v_mul_f32_e32 v0, 0x5f7ffffc, v0
	s_delay_alu instid0(VALU_DEP_1) | instskip(NEXT) | instid1(VALU_DEP_1)
	v_mul_f32_e32 v1, 0x2f800000, v0
	v_trunc_f32_e32 v1, v1
	s_delay_alu instid0(VALU_DEP_1) | instskip(SKIP_1) | instid1(VALU_DEP_2)
	v_fmamk_f32 v0, v1, 0xcf800000, v0
	v_cvt_u32_f32_e32 v1, v1
	v_cvt_u32_f32_e32 v0, v0
	s_delay_alu instid0(VALU_DEP_2) | instskip(NEXT) | instid1(VALU_DEP_2)
	v_mul_lo_u32 v4, s2, v1
	v_mul_hi_u32 v5, s2, v0
	v_mul_lo_u32 v6, s12, v0
	s_delay_alu instid0(VALU_DEP_2) | instskip(SKIP_1) | instid1(VALU_DEP_2)
	v_add_nc_u32_e32 v4, v5, v4
	v_mul_lo_u32 v5, s2, v0
	v_add_nc_u32_e32 v4, v4, v6
	s_delay_alu instid0(VALU_DEP_2) | instskip(NEXT) | instid1(VALU_DEP_2)
	v_mul_hi_u32 v6, v0, v5
	v_mul_lo_u32 v7, v0, v4
	v_mul_hi_u32 v8, v0, v4
	v_mul_hi_u32 v9, v1, v5
	v_mul_lo_u32 v5, v1, v5
	v_mul_hi_u32 v10, v1, v4
	v_mul_lo_u32 v4, v1, v4
	v_add_co_u32 v6, vcc_lo, v6, v7
	v_add_co_ci_u32_e32 v7, vcc_lo, 0, v8, vcc_lo
	s_delay_alu instid0(VALU_DEP_2) | instskip(NEXT) | instid1(VALU_DEP_2)
	v_add_co_u32 v5, vcc_lo, v6, v5
	v_add_co_ci_u32_e32 v5, vcc_lo, v7, v9, vcc_lo
	v_add_co_ci_u32_e32 v6, vcc_lo, 0, v10, vcc_lo
	v_ashrrev_i32_e32 v9, 31, v3
	s_delay_alu instid0(VALU_DEP_3) | instskip(NEXT) | instid1(VALU_DEP_3)
	v_add_co_u32 v4, vcc_lo, v5, v4
	v_add_co_ci_u32_e32 v5, vcc_lo, 0, v6, vcc_lo
	s_delay_alu instid0(VALU_DEP_2) | instskip(NEXT) | instid1(VALU_DEP_2)
	v_add_co_u32 v0, vcc_lo, v0, v4
	v_add_co_ci_u32_e32 v1, vcc_lo, v1, v5, vcc_lo
	s_delay_alu instid0(VALU_DEP_2) | instskip(SKIP_1) | instid1(VALU_DEP_3)
	v_mul_hi_u32 v4, s2, v0
	v_mul_lo_u32 v6, s12, v0
	v_mul_lo_u32 v5, s2, v1
	s_delay_alu instid0(VALU_DEP_1) | instskip(SKIP_1) | instid1(VALU_DEP_2)
	v_add_nc_u32_e32 v4, v4, v5
	v_mul_lo_u32 v5, s2, v0
	v_add_nc_u32_e32 v4, v4, v6
	s_delay_alu instid0(VALU_DEP_2) | instskip(NEXT) | instid1(VALU_DEP_2)
	v_mul_hi_u32 v6, v0, v5
	v_mul_lo_u32 v7, v0, v4
	v_mul_hi_u32 v8, v0, v4
	v_mul_hi_u32 v10, v1, v5
	v_mul_lo_u32 v5, v1, v5
	v_mul_hi_u32 v11, v1, v4
	v_mul_lo_u32 v4, v1, v4
	v_add_co_u32 v6, vcc_lo, v6, v7
	v_add_co_ci_u32_e32 v7, vcc_lo, 0, v8, vcc_lo
	s_delay_alu instid0(VALU_DEP_2) | instskip(NEXT) | instid1(VALU_DEP_2)
	v_add_co_u32 v5, vcc_lo, v6, v5
	v_add_co_ci_u32_e32 v5, vcc_lo, v7, v10, vcc_lo
	v_add_co_ci_u32_e32 v6, vcc_lo, 0, v11, vcc_lo
	v_add_co_u32 v7, vcc_lo, v2, v9
	v_add_co_ci_u32_e32 v3, vcc_lo, v3, v9, vcc_lo
	s_delay_alu instid0(VALU_DEP_4) | instskip(NEXT) | instid1(VALU_DEP_4)
	v_add_co_u32 v4, vcc_lo, v5, v4
	v_add_co_ci_u32_e32 v5, vcc_lo, 0, v6, vcc_lo
	s_delay_alu instid0(VALU_DEP_4) | instskip(NEXT) | instid1(VALU_DEP_3)
	v_xor_b32_e32 v7, v7, v9
	v_add_co_u32 v6, vcc_lo, v0, v4
	s_delay_alu instid0(VALU_DEP_3) | instskip(SKIP_1) | instid1(VALU_DEP_3)
	v_add_co_ci_u32_e32 v8, vcc_lo, v1, v5, vcc_lo
	v_xor_b32_e32 v10, v3, v9
	v_mul_hi_u32 v11, v7, v6
	s_delay_alu instid0(VALU_DEP_3) | instskip(NEXT) | instid1(VALU_DEP_3)
	v_mad_u64_u32 v[0:1], null, v7, v8, 0
	v_mad_u64_u32 v[3:4], null, v10, v6, 0
	;; [unrolled: 1-line block ×3, first 2 shown]
	s_delay_alu instid0(VALU_DEP_3) | instskip(NEXT) | instid1(VALU_DEP_4)
	v_add_co_u32 v0, vcc_lo, v11, v0
	v_add_co_ci_u32_e32 v1, vcc_lo, 0, v1, vcc_lo
	s_delay_alu instid0(VALU_DEP_2) | instskip(NEXT) | instid1(VALU_DEP_2)
	v_add_co_u32 v0, vcc_lo, v0, v3
	v_add_co_ci_u32_e32 v0, vcc_lo, v1, v4, vcc_lo
	v_add_co_ci_u32_e32 v1, vcc_lo, 0, v6, vcc_lo
	s_delay_alu instid0(VALU_DEP_2) | instskip(NEXT) | instid1(VALU_DEP_2)
	v_add_co_u32 v3, vcc_lo, v0, v5
	v_add_co_ci_u32_e32 v4, vcc_lo, 0, v1, vcc_lo
	s_delay_alu instid0(VALU_DEP_2) | instskip(SKIP_1) | instid1(VALU_DEP_3)
	v_mul_lo_u32 v5, s11, v3
	v_mad_u64_u32 v[0:1], null, s10, v3, 0
	v_mul_lo_u32 v6, s10, v4
	s_delay_alu instid0(VALU_DEP_2) | instskip(NEXT) | instid1(VALU_DEP_2)
	v_sub_co_u32 v0, vcc_lo, v7, v0
	v_add3_u32 v1, v1, v6, v5
	s_delay_alu instid0(VALU_DEP_1) | instskip(NEXT) | instid1(VALU_DEP_1)
	v_sub_nc_u32_e32 v5, v10, v1
	v_subrev_co_ci_u32_e64 v5, s2, s11, v5, vcc_lo
	v_add_co_u32 v6, s2, v3, 2
	s_delay_alu instid0(VALU_DEP_1) | instskip(SKIP_3) | instid1(VALU_DEP_3)
	v_add_co_ci_u32_e64 v7, s2, 0, v4, s2
	v_sub_co_u32 v8, s2, v0, s10
	v_sub_co_ci_u32_e32 v1, vcc_lo, v10, v1, vcc_lo
	v_subrev_co_ci_u32_e64 v5, s2, 0, v5, s2
	v_cmp_le_u32_e32 vcc_lo, s10, v8
	s_delay_alu instid0(VALU_DEP_3) | instskip(SKIP_1) | instid1(VALU_DEP_4)
	v_cmp_eq_u32_e64 s2, s11, v1
	v_cndmask_b32_e64 v8, 0, -1, vcc_lo
	v_cmp_le_u32_e32 vcc_lo, s11, v5
	v_cndmask_b32_e64 v10, 0, -1, vcc_lo
	v_cmp_le_u32_e32 vcc_lo, s10, v0
	;; [unrolled: 2-line block ×3, first 2 shown]
	v_cndmask_b32_e64 v11, 0, -1, vcc_lo
	v_cmp_eq_u32_e32 vcc_lo, s11, v5
	s_delay_alu instid0(VALU_DEP_2) | instskip(SKIP_3) | instid1(VALU_DEP_3)
	v_cndmask_b32_e64 v0, v11, v0, s2
	v_cndmask_b32_e32 v5, v10, v8, vcc_lo
	v_add_co_u32 v8, vcc_lo, v3, 1
	v_add_co_ci_u32_e32 v10, vcc_lo, 0, v4, vcc_lo
	v_cmp_ne_u32_e32 vcc_lo, 0, v5
	s_delay_alu instid0(VALU_DEP_2) | instskip(NEXT) | instid1(VALU_DEP_4)
	v_cndmask_b32_e32 v1, v10, v7, vcc_lo
	v_cndmask_b32_e32 v5, v8, v6, vcc_lo
	v_cmp_ne_u32_e32 vcc_lo, 0, v0
	v_xor_b32_e32 v0, s8, v9
	s_delay_alu instid0(VALU_DEP_3) | instskip(SKIP_2) | instid1(VALU_DEP_3)
	v_cndmask_b32_e32 v3, v3, v5, vcc_lo
	v_cndmask_b32_e32 v1, v4, v1, vcc_lo
	v_xor_b32_e32 v4, s9, v9
	v_xor_b32_e32 v3, v3, v0
	s_delay_alu instid0(VALU_DEP_2) | instskip(NEXT) | instid1(VALU_DEP_2)
	v_xor_b32_e32 v1, v1, v4
	v_sub_co_u32 v0, vcc_lo, v3, v0
	s_delay_alu instid0(VALU_DEP_2)
	v_sub_co_ci_u32_e32 v1, vcc_lo, v1, v4, vcc_lo
.LBB38_2:
	s_and_not1_saveexec_b32 s2, s6
	s_cbranch_execz .LBB38_4
; %bb.3:
	v_cvt_f32_u32_e32 v0, s3
	s_sub_i32 s6, 0, s3
	s_delay_alu instid0(VALU_DEP_1) | instskip(SKIP_2) | instid1(VALU_DEP_1)
	v_rcp_iflag_f32_e32 v0, v0
	s_waitcnt_depctr 0xfff
	v_mul_f32_e32 v0, 0x4f7ffffe, v0
	v_cvt_u32_f32_e32 v0, v0
	s_delay_alu instid0(VALU_DEP_1) | instskip(NEXT) | instid1(VALU_DEP_1)
	v_mul_lo_u32 v1, s6, v0
	v_mul_hi_u32 v1, v0, v1
	s_delay_alu instid0(VALU_DEP_1) | instskip(NEXT) | instid1(VALU_DEP_1)
	v_add_nc_u32_e32 v0, v0, v1
	v_mul_hi_u32 v0, v2, v0
	s_delay_alu instid0(VALU_DEP_1) | instskip(SKIP_1) | instid1(VALU_DEP_2)
	v_mul_lo_u32 v1, v0, s3
	v_add_nc_u32_e32 v3, 1, v0
	v_sub_nc_u32_e32 v1, v2, v1
	s_delay_alu instid0(VALU_DEP_1) | instskip(SKIP_1) | instid1(VALU_DEP_2)
	v_subrev_nc_u32_e32 v4, s3, v1
	v_cmp_le_u32_e32 vcc_lo, s3, v1
	v_dual_cndmask_b32 v1, v1, v4 :: v_dual_cndmask_b32 v0, v0, v3
	s_delay_alu instid0(VALU_DEP_1) | instskip(NEXT) | instid1(VALU_DEP_2)
	v_cmp_le_u32_e32 vcc_lo, s3, v1
	v_add_nc_u32_e32 v3, 1, v0
	s_delay_alu instid0(VALU_DEP_1)
	v_dual_mov_b32 v1, 0 :: v_dual_cndmask_b32 v0, v0, v3
.LBB38_4:
	s_or_b32 exec_lo, exec_lo, s2
	s_load_b64 s[8:9], s[0:1], 0x18
	s_delay_alu instid0(VALU_DEP_1) | instskip(NEXT) | instid1(VALU_DEP_1)
	v_mad_u64_u32 v[3:4], null, v0, s3, 0
	v_sub_co_u32 v5, null, v2, v3
	s_delay_alu instid0(VALU_DEP_1) | instskip(SKIP_2) | instid1(VALU_DEP_2)
	v_cmp_gt_i32_e64 s2, s5, v5
	s_waitcnt lgkmcnt(0)
	v_cmp_gt_i64_e32 vcc_lo, s[8:9], v[0:1]
	s_and_b32 s2, vcc_lo, s2
	s_delay_alu instid0(SALU_CYCLE_1)
	s_and_saveexec_b32 s3, s2
	s_cbranch_execz .LBB38_398
; %bb.5:
	s_ashr_i32 s6, s4, 31
	s_load_b64 s[2:3], s[0:1], 0x0
	v_mul_lo_u32 v2, v1, s4
	v_mad_u64_u32 v[6:7], null, v0, s4, 0
	v_mul_lo_u32 v3, v0, s6
	s_delay_alu instid0(VALU_DEP_1) | instskip(SKIP_1) | instid1(VALU_DEP_2)
	v_add3_u32 v7, v7, v3, v2
	v_dual_mov_b32 v3, 0 :: v_dual_lshlrev_b32 v2, 5, v5
	v_lshlrev_b64 v[6:7], 1, v[6:7]
	s_delay_alu instid0(VALU_DEP_2) | instskip(SKIP_1) | instid1(VALU_DEP_2)
	v_lshlrev_b64 v[3:4], 1, v[2:3]
	s_waitcnt lgkmcnt(0)
	v_add_co_u32 v6, vcc_lo, s2, v6
	s_delay_alu instid0(VALU_DEP_3) | instskip(SKIP_1) | instid1(VALU_DEP_2)
	v_add_co_ci_u32_e32 v7, vcc_lo, s3, v7, vcc_lo
	s_mov_b32 s2, exec_lo
	v_add_co_u32 v3, vcc_lo, v6, v3
	s_delay_alu instid0(VALU_DEP_2)
	v_add_co_ci_u32_e32 v4, vcc_lo, v7, v4, vcc_lo
	s_clause 0x3
	global_load_b128 v[6:9], v[3:4], off
	global_load_b128 v[35:38], v[3:4], off offset:16
	global_load_b128 v[53:56], v[3:4], off offset:32
	;; [unrolled: 1-line block ×3, first 2 shown]
	s_waitcnt vmcnt(3)
	v_lshlrev_b32_e32 v12, 16, v6
	v_and_b32_e32 v10, 0xffff0000, v6
	v_lshlrev_b32_e32 v11, 16, v7
	v_and_b32_e32 v14, 0xffff0000, v7
	;; [unrolled: 2-line block ×3, first 2 shown]
	v_max3_f32 v3, |v12|, 0, |v10|
	v_lshlrev_b32_e32 v21, 16, v9
	v_and_b32_e32 v25, 0xffff0000, v9
	s_waitcnt vmcnt(2)
	v_lshlrev_b32_e32 v27, 16, v35
	v_and_b32_e32 v31, 0xffff0000, v35
	v_max3_f32 v3, v3, |v11|, |v14|
	v_lshlrev_b32_e32 v33, 16, v36
	v_and_b32_e32 v36, 0xffff0000, v36
	v_lshlrev_b32_e32 v39, 16, v37
	v_and_b32_e32 v41, 0xffff0000, v37
	v_max3_f32 v3, v3, |v15|, |v19|
	v_lshlrev_b32_e32 v45, 16, v38
	v_and_b32_e32 v47, 0xffff0000, v38
	s_waitcnt vmcnt(1)
	v_lshlrev_b32_e32 v51, 16, v53
	v_and_b32_e32 v53, 0xffff0000, v53
	v_max3_f32 v3, v3, |v21|, |v25|
	v_lshlrev_b32_e32 v52, 16, v54
	v_and_b32_e32 v50, 0xffff0000, v54
	v_lshlrev_b32_e32 v46, 16, v55
	v_and_b32_e32 v44, 0xffff0000, v55
	v_max3_f32 v3, v3, |v27|, |v31|
	;; [unrolled: 11-line block ×3, first 2 shown]
	v_lshlrev_b32_e32 v18, 16, v60
	s_delay_alu instid0(VALU_DEP_2) | instskip(NEXT) | instid1(VALU_DEP_1)
	v_max3_f32 v3, v3, |v45|, |v47|
	v_max3_f32 v3, v3, |v51|, |v53|
	s_delay_alu instid0(VALU_DEP_1) | instskip(NEXT) | instid1(VALU_DEP_1)
	v_max3_f32 v3, v3, |v52|, |v50|
	v_max3_f32 v3, v3, |v46|, |v44|
	s_delay_alu instid0(VALU_DEP_1) | instskip(NEXT) | instid1(VALU_DEP_1)
	v_max3_f32 v3, v3, |v40|, |v38|
	v_max3_f32 v3, v3, |v34|, |v32|
	s_delay_alu instid0(VALU_DEP_1) | instskip(SKIP_1) | instid1(VALU_DEP_2)
	v_max3_f32 v4, v3, |v28|, |v26|
	v_and_b32_e32 v3, 0xffff0000, v60
	v_max3_f32 v4, v4, |v23|, |v20|
	s_delay_alu instid0(VALU_DEP_1) | instskip(NEXT) | instid1(VALU_DEP_1)
	v_max3_f32 v4, v4, |v18|, |v3|
	v_mul_f32_e32 v4, 0x3e800000, v4
	s_delay_alu instid0(VALU_DEP_1) | instskip(SKIP_1) | instid1(VALU_DEP_2)
	v_and_b32_e32 v6, 0x7fffff, v4
	v_bfe_u32 v4, v4, 23, 8
	v_cmp_ne_u32_e32 vcc_lo, 0, v6
	s_delay_alu instid0(VALU_DEP_2) | instskip(SKIP_1) | instid1(VALU_DEP_2)
	v_add_co_ci_u32_e32 v6, vcc_lo, 0, v4, vcc_lo
	v_cmp_ne_u32_e32 vcc_lo, 0xff, v4
	v_lshlrev_b32_e32 v6, 23, v6
	s_delay_alu instid0(VALU_DEP_1) | instskip(NEXT) | instid1(VALU_DEP_1)
	v_cndmask_b32_e32 v6, 0x7f800000, v6, vcc_lo
	v_div_scale_f32 v4, null, v6, v6, 1.0
	v_div_scale_f32 v9, vcc_lo, 1.0, v6, 1.0
	s_delay_alu instid0(VALU_DEP_2) | instskip(SKIP_2) | instid1(VALU_DEP_1)
	v_rcp_f32_e32 v7, v4
	s_waitcnt_depctr 0xfff
	v_fma_f32 v8, -v4, v7, 1.0
	v_fmac_f32_e32 v7, v8, v7
	s_delay_alu instid0(VALU_DEP_1) | instskip(NEXT) | instid1(VALU_DEP_1)
	v_mul_f32_e32 v8, v9, v7
	v_fma_f32 v13, -v4, v8, v9
	s_delay_alu instid0(VALU_DEP_1) | instskip(NEXT) | instid1(VALU_DEP_1)
	v_fmac_f32_e32 v8, v13, v7
	v_fma_f32 v4, -v4, v8, v9
	v_mov_b32_e32 v9, 7
	s_delay_alu instid0(VALU_DEP_2) | instskip(SKIP_2) | instid1(VALU_DEP_3)
	v_div_fmas_f32 v4, v4, v7, v8
	v_mov_b32_e32 v8, 7
	v_cmp_neq_f32_e32 vcc_lo, 0, v6
	v_div_fixup_f32 v4, v4, v6, 1.0
	s_delay_alu instid0(VALU_DEP_1) | instskip(NEXT) | instid1(VALU_DEP_1)
	v_cndmask_b32_e32 v4, 0, v4, vcc_lo
	v_mul_f32_e32 v7, v4, v12
	s_delay_alu instid0(VALU_DEP_1)
	v_cmpx_nle_f32_e64 0x40a00000, |v7|
	s_cbranch_execz .LBB38_17
; %bb.6:
	v_mov_b32_e32 v8, 6
	s_mov_b32 s3, exec_lo
	v_cmpx_nle_f32_e64 0x40600000, |v7|
	s_cbranch_execz .LBB38_16
; %bb.7:
	v_mov_b32_e32 v8, 5
	s_mov_b32 s6, exec_lo
	;; [unrolled: 5-line block ×5, first 2 shown]
	v_cmpx_nle_f32_e64 0x3f400000, |v7|
; %bb.11:
	v_cmp_le_f32_e64 s12, 0x3e800000, |v7|
	s_delay_alu instid0(VALU_DEP_1)
	v_cndmask_b32_e64 v8, 0, 1, s12
; %bb.12:
	s_or_b32 exec_lo, exec_lo, s11
.LBB38_13:
	s_delay_alu instid0(SALU_CYCLE_1)
	s_or_b32 exec_lo, exec_lo, s10
.LBB38_14:
	s_delay_alu instid0(SALU_CYCLE_1)
	s_or_b32 exec_lo, exec_lo, s9
.LBB38_15:
	s_delay_alu instid0(SALU_CYCLE_1)
	s_or_b32 exec_lo, exec_lo, s6
.LBB38_16:
	s_delay_alu instid0(SALU_CYCLE_1)
	s_or_b32 exec_lo, exec_lo, s3
.LBB38_17:
	s_delay_alu instid0(SALU_CYCLE_1) | instskip(SKIP_2) | instid1(VALU_DEP_1)
	s_or_b32 exec_lo, exec_lo, s2
	v_mul_f32_e32 v10, v4, v10
	s_mov_b32 s2, exec_lo
	v_cmpx_nle_f32_e64 0x40a00000, |v10|
	s_cbranch_execz .LBB38_29
; %bb.18:
	v_mov_b32_e32 v9, 6
	s_mov_b32 s3, exec_lo
	v_cmpx_nle_f32_e64 0x40600000, |v10|
	s_cbranch_execz .LBB38_28
; %bb.19:
	v_mov_b32_e32 v9, 5
	;; [unrolled: 5-line block ×5, first 2 shown]
	s_mov_b32 s11, exec_lo
	v_cmpx_nle_f32_e64 0x3f400000, |v10|
; %bb.23:
	v_cmp_le_f32_e64 s12, 0x3e800000, |v10|
	s_delay_alu instid0(VALU_DEP_1)
	v_cndmask_b32_e64 v9, 0, 1, s12
; %bb.24:
	s_or_b32 exec_lo, exec_lo, s11
.LBB38_25:
	s_delay_alu instid0(SALU_CYCLE_1)
	s_or_b32 exec_lo, exec_lo, s10
.LBB38_26:
	s_delay_alu instid0(SALU_CYCLE_1)
	s_or_b32 exec_lo, exec_lo, s9
.LBB38_27:
	s_delay_alu instid0(SALU_CYCLE_1)
	s_or_b32 exec_lo, exec_lo, s6
.LBB38_28:
	s_delay_alu instid0(SALU_CYCLE_1)
	s_or_b32 exec_lo, exec_lo, s3
.LBB38_29:
	s_delay_alu instid0(SALU_CYCLE_1) | instskip(SKIP_3) | instid1(VALU_DEP_2)
	s_or_b32 exec_lo, exec_lo, s2
	v_dual_mul_f32 v12, v4, v11 :: v_dual_mov_b32 v11, 7
	v_mov_b32_e32 v13, 7
	s_mov_b32 s2, exec_lo
	v_cmpx_nle_f32_e64 0x40a00000, |v12|
	s_cbranch_execz .LBB38_41
; %bb.30:
	v_mov_b32_e32 v13, 6
	s_mov_b32 s3, exec_lo
	v_cmpx_nle_f32_e64 0x40600000, |v12|
	s_cbranch_execz .LBB38_40
; %bb.31:
	;; [unrolled: 5-line block ×5, first 2 shown]
	v_mov_b32_e32 v13, 2
	s_mov_b32 s11, exec_lo
	v_cmpx_nle_f32_e64 0x3f400000, |v12|
; %bb.35:
	v_cmp_le_f32_e64 s12, 0x3e800000, |v12|
	s_delay_alu instid0(VALU_DEP_1)
	v_cndmask_b32_e64 v13, 0, 1, s12
; %bb.36:
	s_or_b32 exec_lo, exec_lo, s11
.LBB38_37:
	s_delay_alu instid0(SALU_CYCLE_1)
	s_or_b32 exec_lo, exec_lo, s10
.LBB38_38:
	s_delay_alu instid0(SALU_CYCLE_1)
	s_or_b32 exec_lo, exec_lo, s9
.LBB38_39:
	s_delay_alu instid0(SALU_CYCLE_1)
	s_or_b32 exec_lo, exec_lo, s6
.LBB38_40:
	s_delay_alu instid0(SALU_CYCLE_1)
	s_or_b32 exec_lo, exec_lo, s3
.LBB38_41:
	s_delay_alu instid0(SALU_CYCLE_1) | instskip(SKIP_2) | instid1(VALU_DEP_1)
	s_or_b32 exec_lo, exec_lo, s2
	v_mul_f32_e32 v14, v4, v14
	s_mov_b32 s2, exec_lo
	v_cmpx_nle_f32_e64 0x40a00000, |v14|
	s_cbranch_execz .LBB38_53
; %bb.42:
	v_mov_b32_e32 v11, 6
	s_mov_b32 s3, exec_lo
	v_cmpx_nle_f32_e64 0x40600000, |v14|
	s_cbranch_execz .LBB38_52
; %bb.43:
	v_mov_b32_e32 v11, 5
	;; [unrolled: 5-line block ×5, first 2 shown]
	s_mov_b32 s11, exec_lo
	v_cmpx_nle_f32_e64 0x3f400000, |v14|
; %bb.47:
	v_cmp_le_f32_e64 s12, 0x3e800000, |v14|
	s_delay_alu instid0(VALU_DEP_1)
	v_cndmask_b32_e64 v11, 0, 1, s12
; %bb.48:
	s_or_b32 exec_lo, exec_lo, s11
.LBB38_49:
	s_delay_alu instid0(SALU_CYCLE_1)
	s_or_b32 exec_lo, exec_lo, s10
.LBB38_50:
	s_delay_alu instid0(SALU_CYCLE_1)
	s_or_b32 exec_lo, exec_lo, s9
.LBB38_51:
	s_delay_alu instid0(SALU_CYCLE_1)
	s_or_b32 exec_lo, exec_lo, s6
.LBB38_52:
	s_delay_alu instid0(SALU_CYCLE_1)
	s_or_b32 exec_lo, exec_lo, s3
.LBB38_53:
	s_delay_alu instid0(SALU_CYCLE_1) | instskip(SKIP_3) | instid1(VALU_DEP_2)
	s_or_b32 exec_lo, exec_lo, s2
	v_dual_mul_f32 v17, v4, v15 :: v_dual_mov_b32 v16, 7
	v_mov_b32_e32 v15, 7
	s_mov_b32 s2, exec_lo
	v_cmpx_nle_f32_e64 0x40a00000, |v17|
	s_cbranch_execz .LBB38_65
; %bb.54:
	v_mov_b32_e32 v16, 6
	s_mov_b32 s3, exec_lo
	v_cmpx_nle_f32_e64 0x40600000, |v17|
	s_cbranch_execz .LBB38_64
; %bb.55:
	;; [unrolled: 5-line block ×5, first 2 shown]
	v_mov_b32_e32 v16, 2
	s_mov_b32 s11, exec_lo
	v_cmpx_nle_f32_e64 0x3f400000, |v17|
; %bb.59:
	v_cmp_le_f32_e64 s12, 0x3e800000, |v17|
	s_delay_alu instid0(VALU_DEP_1)
	v_cndmask_b32_e64 v16, 0, 1, s12
; %bb.60:
	s_or_b32 exec_lo, exec_lo, s11
.LBB38_61:
	s_delay_alu instid0(SALU_CYCLE_1)
	s_or_b32 exec_lo, exec_lo, s10
.LBB38_62:
	s_delay_alu instid0(SALU_CYCLE_1)
	s_or_b32 exec_lo, exec_lo, s9
.LBB38_63:
	s_delay_alu instid0(SALU_CYCLE_1)
	s_or_b32 exec_lo, exec_lo, s6
.LBB38_64:
	s_delay_alu instid0(SALU_CYCLE_1)
	s_or_b32 exec_lo, exec_lo, s3
.LBB38_65:
	s_delay_alu instid0(SALU_CYCLE_1) | instskip(SKIP_2) | instid1(VALU_DEP_1)
	s_or_b32 exec_lo, exec_lo, s2
	v_mul_f32_e32 v19, v4, v19
	s_mov_b32 s2, exec_lo
	v_cmpx_nle_f32_e64 0x40a00000, |v19|
	s_cbranch_execz .LBB38_77
; %bb.66:
	v_mov_b32_e32 v15, 6
	s_mov_b32 s3, exec_lo
	v_cmpx_nle_f32_e64 0x40600000, |v19|
	s_cbranch_execz .LBB38_76
; %bb.67:
	v_mov_b32_e32 v15, 5
	s_mov_b32 s6, exec_lo
	v_cmpx_nle_f32_e64 0x40200000, |v19|
	s_cbranch_execz .LBB38_75
; %bb.68:
	v_mov_b32_e32 v15, 4
	s_mov_b32 s9, exec_lo
	v_cmpx_nle_f32_e64 0x3fe00000, |v19|
	s_cbranch_execz .LBB38_74
; %bb.69:
	v_mov_b32_e32 v15, 3
	s_mov_b32 s10, exec_lo
	v_cmpx_nle_f32_e64 0x3fa00000, |v19|
	s_cbranch_execz .LBB38_73
; %bb.70:
	v_mov_b32_e32 v15, 2
	s_mov_b32 s11, exec_lo
	v_cmpx_nle_f32_e64 0x3f400000, |v19|
; %bb.71:
	v_cmp_le_f32_e64 s12, 0x3e800000, |v19|
	s_delay_alu instid0(VALU_DEP_1)
	v_cndmask_b32_e64 v15, 0, 1, s12
; %bb.72:
	s_or_b32 exec_lo, exec_lo, s11
.LBB38_73:
	s_delay_alu instid0(SALU_CYCLE_1)
	s_or_b32 exec_lo, exec_lo, s10
.LBB38_74:
	s_delay_alu instid0(SALU_CYCLE_1)
	s_or_b32 exec_lo, exec_lo, s9
.LBB38_75:
	s_delay_alu instid0(SALU_CYCLE_1)
	s_or_b32 exec_lo, exec_lo, s6
.LBB38_76:
	s_delay_alu instid0(SALU_CYCLE_1)
	s_or_b32 exec_lo, exec_lo, s3
.LBB38_77:
	s_delay_alu instid0(SALU_CYCLE_1) | instskip(SKIP_3) | instid1(VALU_DEP_2)
	s_or_b32 exec_lo, exec_lo, s2
	v_dual_mul_f32 v24, v4, v21 :: v_dual_mov_b32 v21, 7
	v_mov_b32_e32 v22, 7
	s_mov_b32 s2, exec_lo
	v_cmpx_nle_f32_e64 0x40a00000, |v24|
	s_cbranch_execz .LBB38_89
; %bb.78:
	v_mov_b32_e32 v22, 6
	s_mov_b32 s3, exec_lo
	v_cmpx_nle_f32_e64 0x40600000, |v24|
	s_cbranch_execz .LBB38_88
; %bb.79:
	;; [unrolled: 5-line block ×5, first 2 shown]
	v_mov_b32_e32 v22, 2
	s_mov_b32 s11, exec_lo
	v_cmpx_nle_f32_e64 0x3f400000, |v24|
; %bb.83:
	v_cmp_le_f32_e64 s12, 0x3e800000, |v24|
	s_delay_alu instid0(VALU_DEP_1)
	v_cndmask_b32_e64 v22, 0, 1, s12
; %bb.84:
	s_or_b32 exec_lo, exec_lo, s11
.LBB38_85:
	s_delay_alu instid0(SALU_CYCLE_1)
	s_or_b32 exec_lo, exec_lo, s10
.LBB38_86:
	s_delay_alu instid0(SALU_CYCLE_1)
	s_or_b32 exec_lo, exec_lo, s9
.LBB38_87:
	s_delay_alu instid0(SALU_CYCLE_1)
	s_or_b32 exec_lo, exec_lo, s6
.LBB38_88:
	s_delay_alu instid0(SALU_CYCLE_1)
	s_or_b32 exec_lo, exec_lo, s3
.LBB38_89:
	s_delay_alu instid0(SALU_CYCLE_1) | instskip(SKIP_2) | instid1(VALU_DEP_1)
	s_or_b32 exec_lo, exec_lo, s2
	v_mul_f32_e32 v25, v4, v25
	s_mov_b32 s2, exec_lo
	v_cmpx_nle_f32_e64 0x40a00000, |v25|
	s_cbranch_execz .LBB38_101
; %bb.90:
	v_mov_b32_e32 v21, 6
	s_mov_b32 s3, exec_lo
	v_cmpx_nle_f32_e64 0x40600000, |v25|
	s_cbranch_execz .LBB38_100
; %bb.91:
	v_mov_b32_e32 v21, 5
	;; [unrolled: 5-line block ×5, first 2 shown]
	s_mov_b32 s11, exec_lo
	v_cmpx_nle_f32_e64 0x3f400000, |v25|
; %bb.95:
	v_cmp_le_f32_e64 s12, 0x3e800000, |v25|
	s_delay_alu instid0(VALU_DEP_1)
	v_cndmask_b32_e64 v21, 0, 1, s12
; %bb.96:
	s_or_b32 exec_lo, exec_lo, s11
.LBB38_97:
	s_delay_alu instid0(SALU_CYCLE_1)
	s_or_b32 exec_lo, exec_lo, s10
.LBB38_98:
	s_delay_alu instid0(SALU_CYCLE_1)
	s_or_b32 exec_lo, exec_lo, s9
.LBB38_99:
	s_delay_alu instid0(SALU_CYCLE_1)
	s_or_b32 exec_lo, exec_lo, s6
.LBB38_100:
	s_delay_alu instid0(SALU_CYCLE_1)
	s_or_b32 exec_lo, exec_lo, s3
.LBB38_101:
	s_delay_alu instid0(SALU_CYCLE_1) | instskip(SKIP_3) | instid1(VALU_DEP_2)
	s_or_b32 exec_lo, exec_lo, s2
	v_dual_mul_f32 v29, v4, v27 :: v_dual_mov_b32 v30, 7
	v_mov_b32_e32 v27, 7
	s_mov_b32 s2, exec_lo
	v_cmpx_nle_f32_e64 0x40a00000, |v29|
	s_cbranch_execz .LBB38_113
; %bb.102:
	v_mov_b32_e32 v30, 6
	s_mov_b32 s3, exec_lo
	v_cmpx_nle_f32_e64 0x40600000, |v29|
	s_cbranch_execz .LBB38_112
; %bb.103:
	;; [unrolled: 5-line block ×5, first 2 shown]
	v_mov_b32_e32 v30, 2
	s_mov_b32 s11, exec_lo
	v_cmpx_nle_f32_e64 0x3f400000, |v29|
; %bb.107:
	v_cmp_le_f32_e64 s12, 0x3e800000, |v29|
	s_delay_alu instid0(VALU_DEP_1)
	v_cndmask_b32_e64 v30, 0, 1, s12
; %bb.108:
	s_or_b32 exec_lo, exec_lo, s11
.LBB38_109:
	s_delay_alu instid0(SALU_CYCLE_1)
	s_or_b32 exec_lo, exec_lo, s10
.LBB38_110:
	s_delay_alu instid0(SALU_CYCLE_1)
	s_or_b32 exec_lo, exec_lo, s9
.LBB38_111:
	s_delay_alu instid0(SALU_CYCLE_1)
	s_or_b32 exec_lo, exec_lo, s6
.LBB38_112:
	s_delay_alu instid0(SALU_CYCLE_1)
	s_or_b32 exec_lo, exec_lo, s3
.LBB38_113:
	s_delay_alu instid0(SALU_CYCLE_1) | instskip(SKIP_2) | instid1(VALU_DEP_1)
	s_or_b32 exec_lo, exec_lo, s2
	v_mul_f32_e32 v31, v4, v31
	s_mov_b32 s2, exec_lo
	v_cmpx_nle_f32_e64 0x40a00000, |v31|
	s_cbranch_execz .LBB38_125
; %bb.114:
	v_mov_b32_e32 v27, 6
	s_mov_b32 s3, exec_lo
	v_cmpx_nle_f32_e64 0x40600000, |v31|
	s_cbranch_execz .LBB38_124
; %bb.115:
	v_mov_b32_e32 v27, 5
	;; [unrolled: 5-line block ×5, first 2 shown]
	s_mov_b32 s11, exec_lo
	v_cmpx_nle_f32_e64 0x3f400000, |v31|
; %bb.119:
	v_cmp_le_f32_e64 s12, 0x3e800000, |v31|
	s_delay_alu instid0(VALU_DEP_1)
	v_cndmask_b32_e64 v27, 0, 1, s12
; %bb.120:
	s_or_b32 exec_lo, exec_lo, s11
.LBB38_121:
	s_delay_alu instid0(SALU_CYCLE_1)
	s_or_b32 exec_lo, exec_lo, s10
.LBB38_122:
	s_delay_alu instid0(SALU_CYCLE_1)
	s_or_b32 exec_lo, exec_lo, s9
.LBB38_123:
	s_delay_alu instid0(SALU_CYCLE_1)
	s_or_b32 exec_lo, exec_lo, s6
.LBB38_124:
	s_delay_alu instid0(SALU_CYCLE_1)
	s_or_b32 exec_lo, exec_lo, s3
.LBB38_125:
	s_delay_alu instid0(SALU_CYCLE_1) | instskip(SKIP_4) | instid1(VALU_DEP_3)
	s_or_b32 exec_lo, exec_lo, s2
	v_mul_f32_e32 v35, v4, v33
	v_mov_b32_e32 v33, 7
	v_mov_b32_e32 v37, 7
	s_mov_b32 s2, exec_lo
	v_cmpx_nle_f32_e64 0x40a00000, |v35|
	s_cbranch_execz .LBB38_137
; %bb.126:
	v_mov_b32_e32 v37, 6
	s_mov_b32 s3, exec_lo
	v_cmpx_nle_f32_e64 0x40600000, |v35|
	s_cbranch_execz .LBB38_136
; %bb.127:
	;; [unrolled: 5-line block ×5, first 2 shown]
	v_mov_b32_e32 v37, 2
	s_mov_b32 s11, exec_lo
	v_cmpx_nle_f32_e64 0x3f400000, |v35|
; %bb.131:
	v_cmp_le_f32_e64 s12, 0x3e800000, |v35|
	s_delay_alu instid0(VALU_DEP_1)
	v_cndmask_b32_e64 v37, 0, 1, s12
; %bb.132:
	s_or_b32 exec_lo, exec_lo, s11
.LBB38_133:
	s_delay_alu instid0(SALU_CYCLE_1)
	s_or_b32 exec_lo, exec_lo, s10
.LBB38_134:
	s_delay_alu instid0(SALU_CYCLE_1)
	s_or_b32 exec_lo, exec_lo, s9
.LBB38_135:
	s_delay_alu instid0(SALU_CYCLE_1)
	s_or_b32 exec_lo, exec_lo, s6
.LBB38_136:
	s_delay_alu instid0(SALU_CYCLE_1)
	s_or_b32 exec_lo, exec_lo, s3
.LBB38_137:
	s_delay_alu instid0(SALU_CYCLE_1) | instskip(SKIP_2) | instid1(VALU_DEP_1)
	s_or_b32 exec_lo, exec_lo, s2
	v_mul_f32_e32 v36, v4, v36
	s_mov_b32 s2, exec_lo
	v_cmpx_nle_f32_e64 0x40a00000, |v36|
	s_cbranch_execz .LBB38_149
; %bb.138:
	v_mov_b32_e32 v33, 6
	s_mov_b32 s3, exec_lo
	v_cmpx_nle_f32_e64 0x40600000, |v36|
	s_cbranch_execz .LBB38_148
; %bb.139:
	v_mov_b32_e32 v33, 5
	;; [unrolled: 5-line block ×5, first 2 shown]
	s_mov_b32 s11, exec_lo
	v_cmpx_nle_f32_e64 0x3f400000, |v36|
; %bb.143:
	v_cmp_le_f32_e64 s12, 0x3e800000, |v36|
	s_delay_alu instid0(VALU_DEP_1)
	v_cndmask_b32_e64 v33, 0, 1, s12
; %bb.144:
	s_or_b32 exec_lo, exec_lo, s11
.LBB38_145:
	s_delay_alu instid0(SALU_CYCLE_1)
	s_or_b32 exec_lo, exec_lo, s10
.LBB38_146:
	s_delay_alu instid0(SALU_CYCLE_1)
	s_or_b32 exec_lo, exec_lo, s9
.LBB38_147:
	s_delay_alu instid0(SALU_CYCLE_1)
	s_or_b32 exec_lo, exec_lo, s6
.LBB38_148:
	s_delay_alu instid0(SALU_CYCLE_1)
	s_or_b32 exec_lo, exec_lo, s3
.LBB38_149:
	s_delay_alu instid0(SALU_CYCLE_1) | instskip(SKIP_3) | instid1(VALU_DEP_2)
	s_or_b32 exec_lo, exec_lo, s2
	v_dual_mul_f32 v43, v4, v39 :: v_dual_mov_b32 v42, 7
	v_mov_b32_e32 v39, 7
	s_mov_b32 s2, exec_lo
	v_cmpx_nle_f32_e64 0x40a00000, |v43|
	s_cbranch_execz .LBB38_161
; %bb.150:
	v_mov_b32_e32 v42, 6
	s_mov_b32 s3, exec_lo
	v_cmpx_nle_f32_e64 0x40600000, |v43|
	s_cbranch_execz .LBB38_160
; %bb.151:
	;; [unrolled: 5-line block ×5, first 2 shown]
	v_mov_b32_e32 v42, 2
	s_mov_b32 s11, exec_lo
	v_cmpx_nle_f32_e64 0x3f400000, |v43|
; %bb.155:
	v_cmp_le_f32_e64 s12, 0x3e800000, |v43|
	s_delay_alu instid0(VALU_DEP_1)
	v_cndmask_b32_e64 v42, 0, 1, s12
; %bb.156:
	s_or_b32 exec_lo, exec_lo, s11
.LBB38_157:
	s_delay_alu instid0(SALU_CYCLE_1)
	s_or_b32 exec_lo, exec_lo, s10
.LBB38_158:
	s_delay_alu instid0(SALU_CYCLE_1)
	s_or_b32 exec_lo, exec_lo, s9
.LBB38_159:
	s_delay_alu instid0(SALU_CYCLE_1)
	s_or_b32 exec_lo, exec_lo, s6
.LBB38_160:
	s_delay_alu instid0(SALU_CYCLE_1)
	s_or_b32 exec_lo, exec_lo, s3
.LBB38_161:
	s_delay_alu instid0(SALU_CYCLE_1) | instskip(SKIP_2) | instid1(VALU_DEP_1)
	s_or_b32 exec_lo, exec_lo, s2
	v_mul_f32_e32 v41, v4, v41
	s_mov_b32 s2, exec_lo
	v_cmpx_nle_f32_e64 0x40a00000, |v41|
	s_cbranch_execz .LBB38_173
; %bb.162:
	v_mov_b32_e32 v39, 6
	s_mov_b32 s3, exec_lo
	v_cmpx_nle_f32_e64 0x40600000, |v41|
	s_cbranch_execz .LBB38_172
; %bb.163:
	v_mov_b32_e32 v39, 5
	s_mov_b32 s6, exec_lo
	v_cmpx_nle_f32_e64 0x40200000, |v41|
	s_cbranch_execz .LBB38_171
; %bb.164:
	v_mov_b32_e32 v39, 4
	s_mov_b32 s9, exec_lo
	v_cmpx_nle_f32_e64 0x3fe00000, |v41|
	s_cbranch_execz .LBB38_170
; %bb.165:
	v_mov_b32_e32 v39, 3
	s_mov_b32 s10, exec_lo
	v_cmpx_nle_f32_e64 0x3fa00000, |v41|
	s_cbranch_execz .LBB38_169
; %bb.166:
	v_mov_b32_e32 v39, 2
	s_mov_b32 s11, exec_lo
	v_cmpx_nle_f32_e64 0x3f400000, |v41|
; %bb.167:
	v_cmp_le_f32_e64 s12, 0x3e800000, |v41|
	s_delay_alu instid0(VALU_DEP_1)
	v_cndmask_b32_e64 v39, 0, 1, s12
; %bb.168:
	s_or_b32 exec_lo, exec_lo, s11
.LBB38_169:
	s_delay_alu instid0(SALU_CYCLE_1)
	s_or_b32 exec_lo, exec_lo, s10
.LBB38_170:
	s_delay_alu instid0(SALU_CYCLE_1)
	s_or_b32 exec_lo, exec_lo, s9
.LBB38_171:
	s_delay_alu instid0(SALU_CYCLE_1)
	s_or_b32 exec_lo, exec_lo, s6
.LBB38_172:
	s_delay_alu instid0(SALU_CYCLE_1)
	s_or_b32 exec_lo, exec_lo, s3
.LBB38_173:
	s_delay_alu instid0(SALU_CYCLE_1) | instskip(SKIP_3) | instid1(VALU_DEP_2)
	s_or_b32 exec_lo, exec_lo, s2
	v_dual_mul_f32 v49, v4, v45 :: v_dual_mov_b32 v48, 7
	v_mov_b32_e32 v45, 7
	s_mov_b32 s2, exec_lo
	v_cmpx_nle_f32_e64 0x40a00000, |v49|
	s_cbranch_execz .LBB38_185
; %bb.174:
	v_mov_b32_e32 v48, 6
	s_mov_b32 s3, exec_lo
	v_cmpx_nle_f32_e64 0x40600000, |v49|
	s_cbranch_execz .LBB38_184
; %bb.175:
	;; [unrolled: 5-line block ×5, first 2 shown]
	v_mov_b32_e32 v48, 2
	s_mov_b32 s11, exec_lo
	v_cmpx_nle_f32_e64 0x3f400000, |v49|
; %bb.179:
	v_cmp_le_f32_e64 s12, 0x3e800000, |v49|
	s_delay_alu instid0(VALU_DEP_1)
	v_cndmask_b32_e64 v48, 0, 1, s12
; %bb.180:
	s_or_b32 exec_lo, exec_lo, s11
.LBB38_181:
	s_delay_alu instid0(SALU_CYCLE_1)
	s_or_b32 exec_lo, exec_lo, s10
.LBB38_182:
	s_delay_alu instid0(SALU_CYCLE_1)
	s_or_b32 exec_lo, exec_lo, s9
.LBB38_183:
	s_delay_alu instid0(SALU_CYCLE_1)
	s_or_b32 exec_lo, exec_lo, s6
.LBB38_184:
	s_delay_alu instid0(SALU_CYCLE_1)
	s_or_b32 exec_lo, exec_lo, s3
.LBB38_185:
	s_delay_alu instid0(SALU_CYCLE_1) | instskip(SKIP_2) | instid1(VALU_DEP_1)
	s_or_b32 exec_lo, exec_lo, s2
	v_mul_f32_e32 v47, v4, v47
	s_mov_b32 s2, exec_lo
	v_cmpx_nle_f32_e64 0x40a00000, |v47|
	s_cbranch_execz .LBB38_197
; %bb.186:
	v_mov_b32_e32 v45, 6
	s_mov_b32 s3, exec_lo
	v_cmpx_nle_f32_e64 0x40600000, |v47|
	s_cbranch_execz .LBB38_196
; %bb.187:
	v_mov_b32_e32 v45, 5
	;; [unrolled: 5-line block ×5, first 2 shown]
	s_mov_b32 s11, exec_lo
	v_cmpx_nle_f32_e64 0x3f400000, |v47|
; %bb.191:
	v_cmp_le_f32_e64 s12, 0x3e800000, |v47|
	s_delay_alu instid0(VALU_DEP_1)
	v_cndmask_b32_e64 v45, 0, 1, s12
; %bb.192:
	s_or_b32 exec_lo, exec_lo, s11
.LBB38_193:
	s_delay_alu instid0(SALU_CYCLE_1)
	s_or_b32 exec_lo, exec_lo, s10
.LBB38_194:
	s_delay_alu instid0(SALU_CYCLE_1)
	s_or_b32 exec_lo, exec_lo, s9
.LBB38_195:
	s_delay_alu instid0(SALU_CYCLE_1)
	s_or_b32 exec_lo, exec_lo, s6
.LBB38_196:
	s_delay_alu instid0(SALU_CYCLE_1)
	s_or_b32 exec_lo, exec_lo, s3
.LBB38_197:
	s_delay_alu instid0(SALU_CYCLE_1) | instskip(SKIP_3) | instid1(VALU_DEP_2)
	s_or_b32 exec_lo, exec_lo, s2
	v_dual_mul_f32 v55, v4, v51 :: v_dual_mov_b32 v54, 7
	v_mov_b32_e32 v51, 7
	s_mov_b32 s2, exec_lo
	v_cmpx_nle_f32_e64 0x40a00000, |v55|
	s_cbranch_execz .LBB38_209
; %bb.198:
	v_mov_b32_e32 v54, 6
	s_mov_b32 s3, exec_lo
	v_cmpx_nle_f32_e64 0x40600000, |v55|
	s_cbranch_execz .LBB38_208
; %bb.199:
	;; [unrolled: 5-line block ×5, first 2 shown]
	v_mov_b32_e32 v54, 2
	s_mov_b32 s11, exec_lo
	v_cmpx_nle_f32_e64 0x3f400000, |v55|
; %bb.203:
	v_cmp_le_f32_e64 s12, 0x3e800000, |v55|
	s_delay_alu instid0(VALU_DEP_1)
	v_cndmask_b32_e64 v54, 0, 1, s12
; %bb.204:
	s_or_b32 exec_lo, exec_lo, s11
.LBB38_205:
	s_delay_alu instid0(SALU_CYCLE_1)
	s_or_b32 exec_lo, exec_lo, s10
.LBB38_206:
	s_delay_alu instid0(SALU_CYCLE_1)
	s_or_b32 exec_lo, exec_lo, s9
.LBB38_207:
	s_delay_alu instid0(SALU_CYCLE_1)
	s_or_b32 exec_lo, exec_lo, s6
.LBB38_208:
	s_delay_alu instid0(SALU_CYCLE_1)
	s_or_b32 exec_lo, exec_lo, s3
.LBB38_209:
	s_delay_alu instid0(SALU_CYCLE_1) | instskip(SKIP_2) | instid1(VALU_DEP_1)
	s_or_b32 exec_lo, exec_lo, s2
	v_mul_f32_e32 v53, v4, v53
	s_mov_b32 s2, exec_lo
	v_cmpx_nle_f32_e64 0x40a00000, |v53|
	s_cbranch_execz .LBB38_221
; %bb.210:
	v_mov_b32_e32 v51, 6
	s_mov_b32 s3, exec_lo
	v_cmpx_nle_f32_e64 0x40600000, |v53|
	s_cbranch_execz .LBB38_220
; %bb.211:
	v_mov_b32_e32 v51, 5
	;; [unrolled: 5-line block ×5, first 2 shown]
	s_mov_b32 s11, exec_lo
	v_cmpx_nle_f32_e64 0x3f400000, |v53|
; %bb.215:
	v_cmp_le_f32_e64 s12, 0x3e800000, |v53|
	s_delay_alu instid0(VALU_DEP_1)
	v_cndmask_b32_e64 v51, 0, 1, s12
; %bb.216:
	s_or_b32 exec_lo, exec_lo, s11
.LBB38_217:
	s_delay_alu instid0(SALU_CYCLE_1)
	s_or_b32 exec_lo, exec_lo, s10
.LBB38_218:
	s_delay_alu instid0(SALU_CYCLE_1)
	s_or_b32 exec_lo, exec_lo, s9
.LBB38_219:
	s_delay_alu instid0(SALU_CYCLE_1)
	s_or_b32 exec_lo, exec_lo, s6
.LBB38_220:
	s_delay_alu instid0(SALU_CYCLE_1)
	s_or_b32 exec_lo, exec_lo, s3
.LBB38_221:
	s_delay_alu instid0(SALU_CYCLE_1) | instskip(SKIP_3) | instid1(VALU_DEP_2)
	s_or_b32 exec_lo, exec_lo, s2
	v_dual_mul_f32 v56, v4, v52 :: v_dual_mov_b32 v57, 7
	v_mov_b32_e32 v52, 7
	s_mov_b32 s2, exec_lo
	v_cmpx_nle_f32_e64 0x40a00000, |v56|
	s_cbranch_execz .LBB38_233
; %bb.222:
	v_mov_b32_e32 v57, 6
	s_mov_b32 s3, exec_lo
	v_cmpx_nle_f32_e64 0x40600000, |v56|
	s_cbranch_execz .LBB38_232
; %bb.223:
	;; [unrolled: 5-line block ×5, first 2 shown]
	v_mov_b32_e32 v57, 2
	s_mov_b32 s11, exec_lo
	v_cmpx_nle_f32_e64 0x3f400000, |v56|
; %bb.227:
	v_cmp_le_f32_e64 s12, 0x3e800000, |v56|
	s_delay_alu instid0(VALU_DEP_1)
	v_cndmask_b32_e64 v57, 0, 1, s12
; %bb.228:
	s_or_b32 exec_lo, exec_lo, s11
.LBB38_229:
	s_delay_alu instid0(SALU_CYCLE_1)
	s_or_b32 exec_lo, exec_lo, s10
.LBB38_230:
	s_delay_alu instid0(SALU_CYCLE_1)
	s_or_b32 exec_lo, exec_lo, s9
.LBB38_231:
	s_delay_alu instid0(SALU_CYCLE_1)
	s_or_b32 exec_lo, exec_lo, s6
.LBB38_232:
	s_delay_alu instid0(SALU_CYCLE_1)
	s_or_b32 exec_lo, exec_lo, s3
.LBB38_233:
	s_delay_alu instid0(SALU_CYCLE_1) | instskip(SKIP_2) | instid1(VALU_DEP_1)
	s_or_b32 exec_lo, exec_lo, s2
	v_mul_f32_e32 v50, v4, v50
	s_mov_b32 s2, exec_lo
	v_cmpx_nle_f32_e64 0x40a00000, |v50|
	s_cbranch_execz .LBB38_245
; %bb.234:
	v_mov_b32_e32 v52, 6
	s_mov_b32 s3, exec_lo
	v_cmpx_nle_f32_e64 0x40600000, |v50|
	s_cbranch_execz .LBB38_244
; %bb.235:
	v_mov_b32_e32 v52, 5
	;; [unrolled: 5-line block ×5, first 2 shown]
	s_mov_b32 s11, exec_lo
	v_cmpx_nle_f32_e64 0x3f400000, |v50|
; %bb.239:
	v_cmp_le_f32_e64 s12, 0x3e800000, |v50|
	s_delay_alu instid0(VALU_DEP_1)
	v_cndmask_b32_e64 v52, 0, 1, s12
; %bb.240:
	s_or_b32 exec_lo, exec_lo, s11
.LBB38_241:
	s_delay_alu instid0(SALU_CYCLE_1)
	s_or_b32 exec_lo, exec_lo, s10
.LBB38_242:
	s_delay_alu instid0(SALU_CYCLE_1)
	s_or_b32 exec_lo, exec_lo, s9
.LBB38_243:
	s_delay_alu instid0(SALU_CYCLE_1)
	s_or_b32 exec_lo, exec_lo, s6
.LBB38_244:
	s_delay_alu instid0(SALU_CYCLE_1)
	s_or_b32 exec_lo, exec_lo, s3
.LBB38_245:
	s_delay_alu instid0(SALU_CYCLE_1) | instskip(SKIP_3) | instid1(VALU_DEP_2)
	s_or_b32 exec_lo, exec_lo, s2
	v_dual_mul_f32 v58, v4, v46 :: v_dual_mov_b32 v59, 7
	v_mov_b32_e32 v46, 7
	s_mov_b32 s2, exec_lo
	v_cmpx_nle_f32_e64 0x40a00000, |v58|
	s_cbranch_execz .LBB38_257
; %bb.246:
	v_mov_b32_e32 v59, 6
	s_mov_b32 s3, exec_lo
	v_cmpx_nle_f32_e64 0x40600000, |v58|
	s_cbranch_execz .LBB38_256
; %bb.247:
	;; [unrolled: 5-line block ×5, first 2 shown]
	v_mov_b32_e32 v59, 2
	s_mov_b32 s11, exec_lo
	v_cmpx_nle_f32_e64 0x3f400000, |v58|
; %bb.251:
	v_cmp_le_f32_e64 s12, 0x3e800000, |v58|
	s_delay_alu instid0(VALU_DEP_1)
	v_cndmask_b32_e64 v59, 0, 1, s12
; %bb.252:
	s_or_b32 exec_lo, exec_lo, s11
.LBB38_253:
	s_delay_alu instid0(SALU_CYCLE_1)
	s_or_b32 exec_lo, exec_lo, s10
.LBB38_254:
	s_delay_alu instid0(SALU_CYCLE_1)
	s_or_b32 exec_lo, exec_lo, s9
.LBB38_255:
	s_delay_alu instid0(SALU_CYCLE_1)
	s_or_b32 exec_lo, exec_lo, s6
.LBB38_256:
	s_delay_alu instid0(SALU_CYCLE_1)
	s_or_b32 exec_lo, exec_lo, s3
.LBB38_257:
	s_delay_alu instid0(SALU_CYCLE_1) | instskip(SKIP_2) | instid1(VALU_DEP_1)
	s_or_b32 exec_lo, exec_lo, s2
	v_mul_f32_e32 v44, v4, v44
	s_mov_b32 s2, exec_lo
	v_cmpx_nle_f32_e64 0x40a00000, |v44|
	s_cbranch_execz .LBB38_269
; %bb.258:
	v_mov_b32_e32 v46, 6
	s_mov_b32 s3, exec_lo
	v_cmpx_nle_f32_e64 0x40600000, |v44|
	s_cbranch_execz .LBB38_268
; %bb.259:
	v_mov_b32_e32 v46, 5
	;; [unrolled: 5-line block ×5, first 2 shown]
	s_mov_b32 s11, exec_lo
	v_cmpx_nle_f32_e64 0x3f400000, |v44|
; %bb.263:
	v_cmp_le_f32_e64 s12, 0x3e800000, |v44|
	s_delay_alu instid0(VALU_DEP_1)
	v_cndmask_b32_e64 v46, 0, 1, s12
; %bb.264:
	s_or_b32 exec_lo, exec_lo, s11
.LBB38_265:
	s_delay_alu instid0(SALU_CYCLE_1)
	s_or_b32 exec_lo, exec_lo, s10
.LBB38_266:
	s_delay_alu instid0(SALU_CYCLE_1)
	s_or_b32 exec_lo, exec_lo, s9
.LBB38_267:
	s_delay_alu instid0(SALU_CYCLE_1)
	s_or_b32 exec_lo, exec_lo, s6
.LBB38_268:
	s_delay_alu instid0(SALU_CYCLE_1)
	s_or_b32 exec_lo, exec_lo, s3
.LBB38_269:
	s_delay_alu instid0(SALU_CYCLE_1) | instskip(SKIP_3) | instid1(VALU_DEP_2)
	s_or_b32 exec_lo, exec_lo, s2
	v_dual_mul_f32 v61, v4, v40 :: v_dual_mov_b32 v40, 7
	v_mov_b32_e32 v60, 7
	s_mov_b32 s2, exec_lo
	v_cmpx_nle_f32_e64 0x40a00000, |v61|
	s_cbranch_execz .LBB38_281
; %bb.270:
	v_mov_b32_e32 v60, 6
	s_mov_b32 s3, exec_lo
	v_cmpx_nle_f32_e64 0x40600000, |v61|
	s_cbranch_execz .LBB38_280
; %bb.271:
	;; [unrolled: 5-line block ×5, first 2 shown]
	v_mov_b32_e32 v60, 2
	s_mov_b32 s11, exec_lo
	v_cmpx_nle_f32_e64 0x3f400000, |v61|
; %bb.275:
	v_cmp_le_f32_e64 s12, 0x3e800000, |v61|
	s_delay_alu instid0(VALU_DEP_1)
	v_cndmask_b32_e64 v60, 0, 1, s12
; %bb.276:
	s_or_b32 exec_lo, exec_lo, s11
.LBB38_277:
	s_delay_alu instid0(SALU_CYCLE_1)
	s_or_b32 exec_lo, exec_lo, s10
.LBB38_278:
	s_delay_alu instid0(SALU_CYCLE_1)
	s_or_b32 exec_lo, exec_lo, s9
.LBB38_279:
	s_delay_alu instid0(SALU_CYCLE_1)
	s_or_b32 exec_lo, exec_lo, s6
.LBB38_280:
	s_delay_alu instid0(SALU_CYCLE_1)
	s_or_b32 exec_lo, exec_lo, s3
.LBB38_281:
	s_delay_alu instid0(SALU_CYCLE_1) | instskip(SKIP_2) | instid1(VALU_DEP_1)
	s_or_b32 exec_lo, exec_lo, s2
	v_mul_f32_e32 v38, v4, v38
	s_mov_b32 s2, exec_lo
	v_cmpx_nle_f32_e64 0x40a00000, |v38|
	s_cbranch_execz .LBB38_293
; %bb.282:
	v_mov_b32_e32 v40, 6
	s_mov_b32 s3, exec_lo
	v_cmpx_nle_f32_e64 0x40600000, |v38|
	s_cbranch_execz .LBB38_292
; %bb.283:
	v_mov_b32_e32 v40, 5
	;; [unrolled: 5-line block ×5, first 2 shown]
	s_mov_b32 s11, exec_lo
	v_cmpx_nle_f32_e64 0x3f400000, |v38|
; %bb.287:
	v_cmp_le_f32_e64 s12, 0x3e800000, |v38|
	s_delay_alu instid0(VALU_DEP_1)
	v_cndmask_b32_e64 v40, 0, 1, s12
; %bb.288:
	s_or_b32 exec_lo, exec_lo, s11
.LBB38_289:
	s_delay_alu instid0(SALU_CYCLE_1)
	s_or_b32 exec_lo, exec_lo, s10
.LBB38_290:
	s_delay_alu instid0(SALU_CYCLE_1)
	s_or_b32 exec_lo, exec_lo, s9
.LBB38_291:
	s_delay_alu instid0(SALU_CYCLE_1)
	s_or_b32 exec_lo, exec_lo, s6
.LBB38_292:
	s_delay_alu instid0(SALU_CYCLE_1)
	s_or_b32 exec_lo, exec_lo, s3
.LBB38_293:
	s_delay_alu instid0(SALU_CYCLE_1) | instskip(SKIP_3) | instid1(VALU_DEP_2)
	s_or_b32 exec_lo, exec_lo, s2
	v_dual_mul_f32 v63, v4, v34 :: v_dual_mov_b32 v34, 7
	v_mov_b32_e32 v62, 7
	s_mov_b32 s2, exec_lo
	v_cmpx_nle_f32_e64 0x40a00000, |v63|
	s_cbranch_execz .LBB38_305
; %bb.294:
	v_mov_b32_e32 v62, 6
	s_mov_b32 s3, exec_lo
	v_cmpx_nle_f32_e64 0x40600000, |v63|
	s_cbranch_execz .LBB38_304
; %bb.295:
	;; [unrolled: 5-line block ×5, first 2 shown]
	v_mov_b32_e32 v62, 2
	s_mov_b32 s11, exec_lo
	v_cmpx_nle_f32_e64 0x3f400000, |v63|
; %bb.299:
	v_cmp_le_f32_e64 s12, 0x3e800000, |v63|
	s_delay_alu instid0(VALU_DEP_1)
	v_cndmask_b32_e64 v62, 0, 1, s12
; %bb.300:
	s_or_b32 exec_lo, exec_lo, s11
.LBB38_301:
	s_delay_alu instid0(SALU_CYCLE_1)
	s_or_b32 exec_lo, exec_lo, s10
.LBB38_302:
	s_delay_alu instid0(SALU_CYCLE_1)
	s_or_b32 exec_lo, exec_lo, s9
.LBB38_303:
	s_delay_alu instid0(SALU_CYCLE_1)
	s_or_b32 exec_lo, exec_lo, s6
.LBB38_304:
	s_delay_alu instid0(SALU_CYCLE_1)
	s_or_b32 exec_lo, exec_lo, s3
.LBB38_305:
	s_delay_alu instid0(SALU_CYCLE_1) | instskip(SKIP_2) | instid1(VALU_DEP_1)
	s_or_b32 exec_lo, exec_lo, s2
	v_mul_f32_e32 v32, v4, v32
	s_mov_b32 s2, exec_lo
	v_cmpx_nle_f32_e64 0x40a00000, |v32|
	s_cbranch_execz .LBB38_317
; %bb.306:
	v_mov_b32_e32 v34, 6
	s_mov_b32 s3, exec_lo
	v_cmpx_nle_f32_e64 0x40600000, |v32|
	s_cbranch_execz .LBB38_316
; %bb.307:
	v_mov_b32_e32 v34, 5
	s_mov_b32 s6, exec_lo
	v_cmpx_nle_f32_e64 0x40200000, |v32|
	s_cbranch_execz .LBB38_315
; %bb.308:
	v_mov_b32_e32 v34, 4
	s_mov_b32 s9, exec_lo
	v_cmpx_nle_f32_e64 0x3fe00000, |v32|
	s_cbranch_execz .LBB38_314
; %bb.309:
	v_mov_b32_e32 v34, 3
	s_mov_b32 s10, exec_lo
	v_cmpx_nle_f32_e64 0x3fa00000, |v32|
	s_cbranch_execz .LBB38_313
; %bb.310:
	v_mov_b32_e32 v34, 2
	s_mov_b32 s11, exec_lo
	v_cmpx_nle_f32_e64 0x3f400000, |v32|
; %bb.311:
	v_cmp_le_f32_e64 s12, 0x3e800000, |v32|
	s_delay_alu instid0(VALU_DEP_1)
	v_cndmask_b32_e64 v34, 0, 1, s12
; %bb.312:
	s_or_b32 exec_lo, exec_lo, s11
.LBB38_313:
	s_delay_alu instid0(SALU_CYCLE_1)
	s_or_b32 exec_lo, exec_lo, s10
.LBB38_314:
	s_delay_alu instid0(SALU_CYCLE_1)
	s_or_b32 exec_lo, exec_lo, s9
.LBB38_315:
	s_delay_alu instid0(SALU_CYCLE_1)
	s_or_b32 exec_lo, exec_lo, s6
.LBB38_316:
	s_delay_alu instid0(SALU_CYCLE_1)
	s_or_b32 exec_lo, exec_lo, s3
.LBB38_317:
	s_delay_alu instid0(SALU_CYCLE_1) | instskip(SKIP_3) | instid1(VALU_DEP_2)
	s_or_b32 exec_lo, exec_lo, s2
	v_dual_mul_f32 v65, v4, v28 :: v_dual_mov_b32 v28, 7
	v_mov_b32_e32 v64, 7
	s_mov_b32 s2, exec_lo
	v_cmpx_nle_f32_e64 0x40a00000, |v65|
	s_cbranch_execz .LBB38_329
; %bb.318:
	v_mov_b32_e32 v64, 6
	s_mov_b32 s3, exec_lo
	v_cmpx_nle_f32_e64 0x40600000, |v65|
	s_cbranch_execz .LBB38_328
; %bb.319:
	;; [unrolled: 5-line block ×5, first 2 shown]
	v_mov_b32_e32 v64, 2
	s_mov_b32 s11, exec_lo
	v_cmpx_nle_f32_e64 0x3f400000, |v65|
; %bb.323:
	v_cmp_le_f32_e64 s12, 0x3e800000, |v65|
	s_delay_alu instid0(VALU_DEP_1)
	v_cndmask_b32_e64 v64, 0, 1, s12
; %bb.324:
	s_or_b32 exec_lo, exec_lo, s11
.LBB38_325:
	s_delay_alu instid0(SALU_CYCLE_1)
	s_or_b32 exec_lo, exec_lo, s10
.LBB38_326:
	s_delay_alu instid0(SALU_CYCLE_1)
	s_or_b32 exec_lo, exec_lo, s9
.LBB38_327:
	s_delay_alu instid0(SALU_CYCLE_1)
	s_or_b32 exec_lo, exec_lo, s6
.LBB38_328:
	s_delay_alu instid0(SALU_CYCLE_1)
	s_or_b32 exec_lo, exec_lo, s3
.LBB38_329:
	s_delay_alu instid0(SALU_CYCLE_1) | instskip(SKIP_2) | instid1(VALU_DEP_1)
	s_or_b32 exec_lo, exec_lo, s2
	v_mul_f32_e32 v26, v4, v26
	s_mov_b32 s2, exec_lo
	v_cmpx_nle_f32_e64 0x40a00000, |v26|
	s_cbranch_execz .LBB38_341
; %bb.330:
	v_mov_b32_e32 v28, 6
	s_mov_b32 s3, exec_lo
	v_cmpx_nle_f32_e64 0x40600000, |v26|
	s_cbranch_execz .LBB38_340
; %bb.331:
	v_mov_b32_e32 v28, 5
	;; [unrolled: 5-line block ×5, first 2 shown]
	s_mov_b32 s11, exec_lo
	v_cmpx_nle_f32_e64 0x3f400000, |v26|
; %bb.335:
	v_cmp_le_f32_e64 s12, 0x3e800000, |v26|
	s_delay_alu instid0(VALU_DEP_1)
	v_cndmask_b32_e64 v28, 0, 1, s12
; %bb.336:
	s_or_b32 exec_lo, exec_lo, s11
.LBB38_337:
	s_delay_alu instid0(SALU_CYCLE_1)
	s_or_b32 exec_lo, exec_lo, s10
.LBB38_338:
	s_delay_alu instid0(SALU_CYCLE_1)
	s_or_b32 exec_lo, exec_lo, s9
.LBB38_339:
	s_delay_alu instid0(SALU_CYCLE_1)
	s_or_b32 exec_lo, exec_lo, s6
.LBB38_340:
	s_delay_alu instid0(SALU_CYCLE_1)
	s_or_b32 exec_lo, exec_lo, s3
.LBB38_341:
	s_delay_alu instid0(SALU_CYCLE_1) | instskip(SKIP_3) | instid1(VALU_DEP_2)
	s_or_b32 exec_lo, exec_lo, s2
	v_dual_mul_f32 v66, v4, v23 :: v_dual_mov_b32 v23, 7
	v_mov_b32_e32 v67, 7
	s_mov_b32 s2, exec_lo
	v_cmpx_nle_f32_e64 0x40a00000, |v66|
	s_cbranch_execz .LBB38_353
; %bb.342:
	v_mov_b32_e32 v67, 6
	s_mov_b32 s3, exec_lo
	v_cmpx_nle_f32_e64 0x40600000, |v66|
	s_cbranch_execz .LBB38_352
; %bb.343:
	;; [unrolled: 5-line block ×5, first 2 shown]
	v_mov_b32_e32 v67, 2
	s_mov_b32 s11, exec_lo
	v_cmpx_nle_f32_e64 0x3f400000, |v66|
; %bb.347:
	v_cmp_le_f32_e64 s12, 0x3e800000, |v66|
	s_delay_alu instid0(VALU_DEP_1)
	v_cndmask_b32_e64 v67, 0, 1, s12
; %bb.348:
	s_or_b32 exec_lo, exec_lo, s11
.LBB38_349:
	s_delay_alu instid0(SALU_CYCLE_1)
	s_or_b32 exec_lo, exec_lo, s10
.LBB38_350:
	s_delay_alu instid0(SALU_CYCLE_1)
	s_or_b32 exec_lo, exec_lo, s9
.LBB38_351:
	s_delay_alu instid0(SALU_CYCLE_1)
	s_or_b32 exec_lo, exec_lo, s6
.LBB38_352:
	s_delay_alu instid0(SALU_CYCLE_1)
	s_or_b32 exec_lo, exec_lo, s3
.LBB38_353:
	s_delay_alu instid0(SALU_CYCLE_1) | instskip(SKIP_2) | instid1(VALU_DEP_1)
	s_or_b32 exec_lo, exec_lo, s2
	v_mul_f32_e32 v20, v4, v20
	s_mov_b32 s2, exec_lo
	v_cmpx_nle_f32_e64 0x40a00000, |v20|
	s_cbranch_execz .LBB38_365
; %bb.354:
	v_mov_b32_e32 v23, 6
	s_mov_b32 s3, exec_lo
	v_cmpx_nle_f32_e64 0x40600000, |v20|
	s_cbranch_execz .LBB38_364
; %bb.355:
	v_mov_b32_e32 v23, 5
	;; [unrolled: 5-line block ×5, first 2 shown]
	s_mov_b32 s11, exec_lo
	v_cmpx_nle_f32_e64 0x3f400000, |v20|
; %bb.359:
	v_cmp_le_f32_e64 s12, 0x3e800000, |v20|
	s_delay_alu instid0(VALU_DEP_1)
	v_cndmask_b32_e64 v23, 0, 1, s12
; %bb.360:
	s_or_b32 exec_lo, exec_lo, s11
.LBB38_361:
	s_delay_alu instid0(SALU_CYCLE_1)
	s_or_b32 exec_lo, exec_lo, s10
.LBB38_362:
	s_delay_alu instid0(SALU_CYCLE_1)
	s_or_b32 exec_lo, exec_lo, s9
.LBB38_363:
	s_delay_alu instid0(SALU_CYCLE_1)
	s_or_b32 exec_lo, exec_lo, s6
.LBB38_364:
	s_delay_alu instid0(SALU_CYCLE_1)
	s_or_b32 exec_lo, exec_lo, s3
.LBB38_365:
	s_delay_alu instid0(SALU_CYCLE_1) | instskip(SKIP_3) | instid1(VALU_DEP_2)
	s_or_b32 exec_lo, exec_lo, s2
	v_dual_mul_f32 v69, v4, v18 :: v_dual_mov_b32 v18, 7
	v_mov_b32_e32 v70, 7
	s_mov_b32 s2, exec_lo
	v_cmpx_nle_f32_e64 0x40a00000, |v69|
	s_cbranch_execz .LBB38_377
; %bb.366:
	v_mov_b32_e32 v70, 6
	s_mov_b32 s3, exec_lo
	v_cmpx_nle_f32_e64 0x40600000, |v69|
	s_cbranch_execz .LBB38_376
; %bb.367:
	;; [unrolled: 5-line block ×5, first 2 shown]
	v_mov_b32_e32 v70, 2
	s_mov_b32 s11, exec_lo
	v_cmpx_nle_f32_e64 0x3f400000, |v69|
; %bb.371:
	v_cmp_le_f32_e64 s12, 0x3e800000, |v69|
	s_delay_alu instid0(VALU_DEP_1)
	v_cndmask_b32_e64 v70, 0, 1, s12
; %bb.372:
	s_or_b32 exec_lo, exec_lo, s11
.LBB38_373:
	s_delay_alu instid0(SALU_CYCLE_1)
	s_or_b32 exec_lo, exec_lo, s10
.LBB38_374:
	s_delay_alu instid0(SALU_CYCLE_1)
	s_or_b32 exec_lo, exec_lo, s9
.LBB38_375:
	s_delay_alu instid0(SALU_CYCLE_1)
	s_or_b32 exec_lo, exec_lo, s6
.LBB38_376:
	s_delay_alu instid0(SALU_CYCLE_1)
	s_or_b32 exec_lo, exec_lo, s3
.LBB38_377:
	s_delay_alu instid0(SALU_CYCLE_1) | instskip(SKIP_2) | instid1(VALU_DEP_1)
	s_or_b32 exec_lo, exec_lo, s2
	v_mul_f32_e32 v68, v4, v3
	s_mov_b32 s2, exec_lo
	v_cmpx_nle_f32_e64 0x40a00000, |v68|
	s_cbranch_execz .LBB38_389
; %bb.378:
	v_mov_b32_e32 v18, 6
	s_mov_b32 s3, exec_lo
	v_cmpx_nle_f32_e64 0x40600000, |v68|
	s_cbranch_execz .LBB38_388
; %bb.379:
	v_mov_b32_e32 v18, 5
	;; [unrolled: 5-line block ×5, first 2 shown]
	s_mov_b32 s11, exec_lo
	v_cmpx_nle_f32_e64 0x3f400000, |v68|
; %bb.383:
	v_cmp_le_f32_e64 s12, 0x3e800000, |v68|
	s_delay_alu instid0(VALU_DEP_1)
	v_cndmask_b32_e64 v18, 0, 1, s12
; %bb.384:
	s_or_b32 exec_lo, exec_lo, s11
.LBB38_385:
	s_delay_alu instid0(SALU_CYCLE_1)
	s_or_b32 exec_lo, exec_lo, s10
.LBB38_386:
	s_delay_alu instid0(SALU_CYCLE_1)
	s_or_b32 exec_lo, exec_lo, s9
.LBB38_387:
	s_delay_alu instid0(SALU_CYCLE_1)
	s_or_b32 exec_lo, exec_lo, s6
.LBB38_388:
	s_delay_alu instid0(SALU_CYCLE_1)
	s_or_b32 exec_lo, exec_lo, s3
.LBB38_389:
	s_delay_alu instid0(SALU_CYCLE_1)
	s_or_b32 exec_lo, exec_lo, s2
	s_load_b64 s[2:3], s[0:1], 0x8
	v_lshrrev_b32_e32 v3, 2, v5
	s_bitcmp1_b32 s7, 0
	v_and_b32_e32 v71, 3, v5
	s_cselect_b32 s6, -1, 0
	s_lshr_b32 s9, s4, 31
	v_lshlrev_b32_e32 v72, 10, v3
	s_xor_b32 s6, s6, -1
	s_add_i32 s4, s4, s9
	s_mov_b32 s7, -1
	s_and_b32 vcc_lo, exec_lo, s6
	s_ashr_i32 s4, s4, 1
	s_cbranch_vccz .LBB38_391
; %bb.390:
	v_dual_mov_b32 v4, 0 :: v_dual_lshlrev_b32 v3, 4, v0
	v_and_b32_e32 v75, -16, v0
	s_ashr_i32 s7, s4, 31
	v_mul_lo_u32 v1, v1, s4
	s_delay_alu instid0(VALU_DEP_3) | instskip(NEXT) | instid1(VALU_DEP_3)
	v_and_b32_e32 v3, 0xf0, v3
	v_mul_lo_u32 v76, v75, s7
	s_delay_alu instid0(VALU_DEP_2) | instskip(SKIP_1) | instid1(VALU_DEP_2)
	v_mad_u64_u32 v[73:74], null, v75, s4, v[3:4]
	v_lshlrev_b32_e32 v3, 8, v71
	v_add3_u32 v1, v1, v74, v76
	s_delay_alu instid0(VALU_DEP_3) | instskip(NEXT) | instid1(VALU_DEP_2)
	v_add_co_u32 v4, vcc_lo, v73, v72
	v_add_co_ci_u32_e32 v1, vcc_lo, 0, v1, vcc_lo
	s_delay_alu instid0(VALU_DEP_2) | instskip(NEXT) | instid1(VALU_DEP_2)
	v_add_co_u32 v3, vcc_lo, v4, v3
	v_add_co_ci_u32_e32 v4, vcc_lo, 0, v1, vcc_lo
	s_cbranch_execz .LBB38_392
	s_branch .LBB38_393
.LBB38_391:
                                        ; implicit-def: $vgpr3_vgpr4
	s_and_not1_b32 vcc_lo, exec_lo, s7
	s_cbranch_vccnz .LBB38_393
.LBB38_392:
	s_ashr_i32 s7, s8, 1
	v_sub_nc_u32_e32 v4, 0, v0
	s_abs_i32 s9, s7
	s_ashr_i32 s4, s4, 6
	v_cvt_f32_u32_e32 v1, s9
	s_sub_i32 s10, 0, s9
	v_max_i32_e32 v4, v0, v4
	s_delay_alu instid0(VALU_DEP_2) | instskip(SKIP_2) | instid1(VALU_DEP_1)
	v_rcp_iflag_f32_e32 v1, v1
	s_waitcnt_depctr 0xfff
	v_mul_f32_e32 v1, 0x4f7ffffe, v1
	v_cvt_u32_f32_e32 v1, v1
	s_delay_alu instid0(VALU_DEP_1) | instskip(NEXT) | instid1(VALU_DEP_1)
	v_mul_lo_u32 v3, s10, v1
	v_mul_hi_u32 v3, v1, v3
	s_delay_alu instid0(VALU_DEP_1) | instskip(NEXT) | instid1(VALU_DEP_1)
	v_add_nc_u32_e32 v1, v1, v3
	v_mul_hi_u32 v1, v4, v1
	s_delay_alu instid0(VALU_DEP_1) | instskip(NEXT) | instid1(VALU_DEP_1)
	v_mul_lo_u32 v3, v1, s9
	v_sub_nc_u32_e32 v3, v4, v3
	v_add_nc_u32_e32 v4, 1, v1
	s_delay_alu instid0(VALU_DEP_2) | instskip(SKIP_1) | instid1(VALU_DEP_3)
	v_subrev_nc_u32_e32 v73, s9, v3
	v_cmp_le_u32_e32 vcc_lo, s9, v3
	v_cndmask_b32_e32 v1, v1, v4, vcc_lo
	s_delay_alu instid0(VALU_DEP_3) | instskip(SKIP_1) | instid1(VALU_DEP_3)
	v_cndmask_b32_e32 v3, v3, v73, vcc_lo
	v_xor_b32_e32 v4, s7, v0
	v_add_nc_u32_e32 v73, 1, v1
	s_delay_alu instid0(VALU_DEP_3) | instskip(NEXT) | instid1(VALU_DEP_3)
	v_cmp_le_u32_e32 vcc_lo, s9, v3
	v_ashrrev_i32_e32 v4, 31, v4
	v_lshl_or_b32 v3, v71, 8, v72
	s_delay_alu instid0(VALU_DEP_4) | instskip(NEXT) | instid1(VALU_DEP_1)
	v_cndmask_b32_e32 v1, v1, v73, vcc_lo
	v_xor_b32_e32 v1, v1, v4
	s_delay_alu instid0(VALU_DEP_1) | instskip(SKIP_1) | instid1(VALU_DEP_2)
	v_sub_nc_u32_e32 v1, v1, v4
	v_mov_b32_e32 v4, 0
	v_mul_lo_u32 v73, v1, s7
	s_lshl_b32 s7, s4, 10
	s_lshl_b32 s4, s4, 11
	s_delay_alu instid0(VALU_DEP_2) | instskip(NEXT) | instid1(VALU_DEP_2)
	v_mad_i64_i32 v[71:72], null, v1, s7, v[3:4]
	v_sub_nc_u32_e32 v73, v0, v73
	s_delay_alu instid0(VALU_DEP_1) | instskip(NEXT) | instid1(VALU_DEP_1)
	v_ashrrev_i32_e32 v1, 4, v73
	v_mad_i64_i32 v[3:4], null, v1, s4, v[71:72]
	v_lshlrev_b32_e32 v1, 4, v73
	s_delay_alu instid0(VALU_DEP_1)
	v_and_or_b32 v3, 0xf0, v1, v3
.LBB38_393:
	v_cmp_gt_f32_e32 vcc_lo, 0, v69
	v_lshlrev_b16 v9, 4, v9
	v_lshlrev_b16 v18, 4, v18
	;; [unrolled: 1-line block ×3, first 2 shown]
	s_load_b64 s[0:1], s[0:1], 0x10
	v_cndmask_b32_e64 v1, 0, 1, vcc_lo
	v_cmp_gt_f32_e32 vcc_lo, 0, v66
	s_delay_alu instid0(VALU_DEP_2) | instskip(SKIP_2) | instid1(VALU_DEP_3)
	v_lshlrev_b16 v1, 3, v1
	v_cndmask_b32_e64 v66, 0, 1, vcc_lo
	v_cmp_gt_f32_e32 vcc_lo, 0, v65
	v_or_b32_e32 v1, v1, v70
	s_delay_alu instid0(VALU_DEP_3) | instskip(SKIP_2) | instid1(VALU_DEP_3)
	v_lshlrev_b16 v66, 3, v66
	v_cndmask_b32_e64 v65, 0, 1, vcc_lo
	v_cmp_gt_f32_e32 vcc_lo, 0, v63
	v_or_b32_e32 v66, v66, v67
	s_delay_alu instid0(VALU_DEP_3) | instskip(SKIP_2) | instid1(VALU_DEP_3)
	;; [unrolled: 5-line block ×12, first 2 shown]
	v_lshlrev_b16 v24, 3, v24
	v_cndmask_b32_e64 v17, 0, 1, vcc_lo
	v_cmp_gt_f32_e32 vcc_lo, 0, v7
	v_or_b32_e32 v22, v24, v22
	s_delay_alu instid0(VALU_DEP_3) | instskip(SKIP_2) | instid1(VALU_DEP_2)
	v_lshlrev_b16 v17, 3, v17
	v_cndmask_b32_e64 v7, 0, 1, vcc_lo
	v_cmp_gt_f32_e32 vcc_lo, 0, v10
	v_lshlrev_b16 v7, 3, v7
	v_cndmask_b32_e64 v10, 0, 1, vcc_lo
	v_cmp_gt_f32_e32 vcc_lo, 0, v12
	s_delay_alu instid0(VALU_DEP_3) | instskip(NEXT) | instid1(VALU_DEP_3)
	v_or_b32_e32 v7, v7, v8
	v_lshlrev_b16 v10, 7, v10
	v_cndmask_b32_e64 v12, 0, 1, vcc_lo
	v_cmp_gt_f32_e32 vcc_lo, 0, v14
	v_lshlrev_b16 v14, 4, v21
	v_lshlrev_b16 v21, 4, v52
	v_or_b32_e32 v8, v10, v9
	v_lshlrev_b16 v12, 3, v12
	v_cndmask_b32_e64 v9, 0, 1, vcc_lo
	v_cmp_gt_f32_e32 vcc_lo, 0, v19
	v_or_b32_e32 v10, v17, v16
	v_or_b32_e32 v7, v8, v7
	v_lshlrev_b16 v8, 4, v11
	v_or_b32_e32 v12, v12, v13
	v_cndmask_b32_e64 v11, 0, 1, vcc_lo
	v_cmp_gt_f32_e32 vcc_lo, 0, v25
	v_lshlrev_b16 v9, 7, v9
	v_lshlrev_b16 v16, 4, v39
	v_lshlrev_b16 v19, 4, v51
	v_lshlrev_b16 v11, 7, v11
	v_cndmask_b32_e64 v13, 0, 1, vcc_lo
	v_cmp_gt_f32_e32 vcc_lo, 0, v31
	v_or_b32_e32 v8, v9, v8
	v_lshlrev_b16 v9, 4, v15
	s_delay_alu instid0(VALU_DEP_4) | instskip(SKIP_2) | instid1(VALU_DEP_4)
	v_lshlrev_b16 v13, 7, v13
	v_cndmask_b32_e64 v15, 0, 1, vcc_lo
	v_cmp_gt_f32_e32 vcc_lo, 0, v36
	v_or_b32_e32 v9, v11, v9
	v_or_b32_e32 v8, v8, v12
	;; [unrolled: 1-line block ×3, first 2 shown]
	v_lshlrev_b16 v12, 4, v27
	v_cndmask_b32_e64 v14, 0, 1, vcc_lo
	v_cmp_gt_f32_e32 vcc_lo, 0, v41
	v_lshlrev_b16 v13, 7, v15
	v_or_b32_e32 v9, v9, v10
	v_or_b32_e32 v10, v11, v22
	v_lshlrev_b16 v14, 7, v14
	v_cndmask_b32_e64 v15, 0, 1, vcc_lo
	v_or_b32_e32 v12, v13, v12
	v_lshlrev_b16 v13, 4, v33
	v_cmp_gt_f32_e32 vcc_lo, 0, v47
	v_lshlrev_b16 v22, 4, v34
	v_lshlrev_b16 v15, 7, v15
	v_or_b32_e32 v11, v12, v29
	v_or_b32_e32 v12, v14, v13
	v_lshlrev_b16 v14, 4, v45
	v_lshlrev_b16 v8, 8, v8
	v_or_b32_e32 v13, v15, v16
	v_cndmask_b32_e64 v15, 0, 1, vcc_lo
	v_cmp_gt_f32_e32 vcc_lo, 0, v53
	v_or_b32_e32 v12, v12, v35
	v_lshlrev_b16 v10, 8, v10
	v_or_b32_e32 v13, v13, v42
	v_lshlrev_b16 v15, 7, v15
	v_cndmask_b32_e64 v16, 0, 1, vcc_lo
	v_cmp_gt_f32_e32 vcc_lo, 0, v50
	v_lshlrev_b16 v12, 8, v12
	v_or_b32_e32 v7, v7, v8
	v_or_b32_e32 v14, v15, v14
	v_lshlrev_b16 v16, 7, v16
	v_cndmask_b32_e64 v17, 0, 1, vcc_lo
	v_cmp_gt_f32_e32 vcc_lo, 0, v44
	v_or_b32_e32 v11, v11, v12
	v_or_b32_e32 v14, v14, v48
	;; [unrolled: 1-line block ×3, first 2 shown]
	v_lshlrev_b16 v17, 7, v17
	v_lshlrev_b16 v19, 4, v46
	v_or_b32_e32 v8, v9, v10
	v_lshlrev_b16 v14, 8, v14
	v_or_b32_e32 v15, v15, v54
	v_or_b32_e32 v16, v17, v21
	v_cndmask_b32_e64 v17, 0, 1, vcc_lo
	v_cmp_gt_f32_e32 vcc_lo, 0, v26
	v_lshlrev_b16 v26, 4, v28
	v_lshlrev_b16 v21, 4, v40
	v_or_b32_e32 v16, v16, v56
	v_lshlrev_b16 v17, 7, v17
	v_cndmask_b32_e64 v24, 0, 1, vcc_lo
	v_cmp_gt_f32_e32 vcc_lo, 0, v32
	v_or_b32_e32 v12, v13, v14
	v_lshlrev_b16 v16, 8, v16
	v_or_b32_e32 v17, v17, v19
	v_lshlrev_b16 v24, 7, v24
	v_cndmask_b32_e64 v25, 0, 1, vcc_lo
	v_cmp_gt_f32_e32 vcc_lo, 0, v68
	v_or_b32_e32 v15, v15, v16
	v_or_b32_e32 v17, v17, v58
	;; [unrolled: 1-line block ×3, first 2 shown]
	v_lshlrev_b16 v25, 7, v25
	v_cndmask_b32_e64 v27, 0, 1, vcc_lo
	v_cmp_gt_f32_e32 vcc_lo, 0, v20
	v_and_b32_e32 v15, 0xffff, v15
	v_and_b32_e32 v11, 0xffff, v11
	v_or_b32_e32 v22, v25, v22
	v_lshlrev_b16 v27, 7, v27
	v_cndmask_b32_e64 v20, 0, 1, vcc_lo
	v_cmp_gt_f32_e32 vcc_lo, 0, v38
	v_lshlrev_b32_e32 v12, 16, v12
	v_or_b32_e32 v22, v22, v62
	v_or_b32_e32 v18, v27, v18
	v_lshlrev_b16 v20, 7, v20
	v_cndmask_b32_e64 v26, 0, 1, vcc_lo
	v_and_b32_e32 v7, 0xffff, v7
	v_lshlrev_b32_e32 v13, 16, v8
	v_or_b32_e32 v1, v18, v1
	v_or_b32_e32 v20, v20, v23
	v_lshlrev_b16 v18, 7, v26
	v_or_b32_e32 v23, v24, v64
	s_waitcnt lgkmcnt(0)
	v_add_co_u32 v3, vcc_lo, s2, v3
	v_or_b32_e32 v20, v20, v66
	v_or_b32_e32 v18, v18, v21
	v_lshlrev_b16 v23, 8, v23
	v_lshlrev_b16 v1, 8, v1
	v_or_b32_e32 v8, v11, v12
	v_or_b32_e32 v7, v7, v13
	;; [unrolled: 1-line block ×5, first 2 shown]
	v_add_co_ci_u32_e32 v4, vcc_lo, s3, v4, vcc_lo
	s_delay_alu instid0(VALU_DEP_4) | instskip(NEXT) | instid1(VALU_DEP_4)
	v_lshlrev_b16 v16, 8, v16
	v_and_b32_e32 v18, 0xffff, v19
	s_delay_alu instid0(VALU_DEP_4) | instskip(SKIP_3) | instid1(VALU_DEP_2)
	v_lshlrev_b32_e32 v1, 16, v1
	s_mov_b32 s2, 0
	s_and_b32 vcc_lo, exec_lo, s6
	v_or_b32_e32 v16, v17, v16
	v_or_b32_e32 v10, v18, v1
	s_delay_alu instid0(VALU_DEP_2) | instskip(NEXT) | instid1(VALU_DEP_1)
	v_lshlrev_b32_e32 v9, 16, v16
	v_or_b32_e32 v9, v15, v9
	global_store_b128 v[3:4], v[7:10], off
	s_cbranch_vccz .LBB38_395
; %bb.394:
	v_ashrrev_i32_e32 v1, 31, v0
	s_delay_alu instid0(VALU_DEP_1) | instskip(NEXT) | instid1(VALU_DEP_1)
	v_lshrrev_b32_e32 v1, 27, v1
	v_add_nc_u32_e32 v1, v0, v1
	s_delay_alu instid0(VALU_DEP_1) | instskip(NEXT) | instid1(VALU_DEP_1)
	v_and_b32_e32 v3, 0xffe0, v1
	v_sub_nc_u32_e32 v3, v0, v3
	s_delay_alu instid0(VALU_DEP_1) | instskip(NEXT) | instid1(VALU_DEP_1)
	v_bfe_i32 v4, v3, 0, 8
	v_lshrrev_b16 v4, 11, v4
	s_delay_alu instid0(VALU_DEP_1) | instskip(NEXT) | instid1(VALU_DEP_1)
	v_and_b32_e32 v4, 15, v4
	v_add_nc_u16 v3, v3, v4
	s_delay_alu instid0(VALU_DEP_1) | instskip(NEXT) | instid1(VALU_DEP_1)
	v_bfe_i32 v3, v3, 0, 8
	v_ashrrev_i16 v4, 4, v3
	v_ashrrev_i32_e32 v3, 5, v1
	s_delay_alu instid0(VALU_DEP_2)
	v_bfe_i32 v1, v4, 0, 16
	s_and_not1_b32 vcc_lo, exec_lo, s2
	s_cbranch_vccz .LBB38_396
	s_branch .LBB38_397
.LBB38_395:
                                        ; implicit-def: $vgpr3
                                        ; implicit-def: $vgpr1
.LBB38_396:
	s_lshr_b32 s2, s8, 31
	v_sub_nc_u32_e32 v4, 0, v0
	s_add_i32 s2, s8, s2
	s_delay_alu instid0(SALU_CYCLE_1) | instskip(NEXT) | instid1(VALU_DEP_1)
	s_ashr_i32 s2, s2, 1
	v_max_i32_e32 v4, v0, v4
	s_abs_i32 s3, s2
	s_delay_alu instid0(SALU_CYCLE_1) | instskip(SKIP_1) | instid1(VALU_DEP_1)
	v_cvt_f32_u32_e32 v1, s3
	s_sub_i32 s4, 0, s3
	v_rcp_iflag_f32_e32 v1, v1
	s_waitcnt_depctr 0xfff
	v_mul_f32_e32 v1, 0x4f7ffffe, v1
	s_delay_alu instid0(VALU_DEP_1) | instskip(NEXT) | instid1(VALU_DEP_1)
	v_cvt_u32_f32_e32 v1, v1
	v_mul_lo_u32 v3, s4, v1
	s_delay_alu instid0(VALU_DEP_1) | instskip(NEXT) | instid1(VALU_DEP_1)
	v_mul_hi_u32 v3, v1, v3
	v_add_nc_u32_e32 v1, v1, v3
	s_delay_alu instid0(VALU_DEP_1) | instskip(NEXT) | instid1(VALU_DEP_1)
	v_mul_hi_u32 v1, v4, v1
	v_mul_lo_u32 v3, v1, s3
	s_delay_alu instid0(VALU_DEP_1) | instskip(NEXT) | instid1(VALU_DEP_1)
	v_sub_nc_u32_e32 v3, v4, v3
	v_subrev_nc_u32_e32 v7, s3, v3
	v_cmp_le_u32_e32 vcc_lo, s3, v3
	s_delay_alu instid0(VALU_DEP_2) | instskip(NEXT) | instid1(VALU_DEP_1)
	v_dual_cndmask_b32 v3, v3, v7 :: v_dual_add_nc_u32 v4, 1, v1
	v_cndmask_b32_e32 v1, v1, v4, vcc_lo
	v_xor_b32_e32 v4, s2, v0
	s_delay_alu instid0(VALU_DEP_3) | instskip(NEXT) | instid1(VALU_DEP_3)
	v_cmp_le_u32_e32 vcc_lo, s3, v3
	v_add_nc_u32_e32 v7, 1, v1
	s_delay_alu instid0(VALU_DEP_3) | instskip(NEXT) | instid1(VALU_DEP_2)
	v_ashrrev_i32_e32 v4, 31, v4
	v_cndmask_b32_e32 v1, v1, v7, vcc_lo
	s_delay_alu instid0(VALU_DEP_1) | instskip(NEXT) | instid1(VALU_DEP_1)
	v_xor_b32_e32 v1, v1, v4
	v_sub_nc_u32_e32 v1, v1, v4
	s_delay_alu instid0(VALU_DEP_1) | instskip(NEXT) | instid1(VALU_DEP_1)
	v_mul_lo_u32 v3, v1, s2
	v_sub_nc_u32_e32 v0, v0, v3
	s_delay_alu instid0(VALU_DEP_1) | instskip(NEXT) | instid1(VALU_DEP_1)
	v_ashrrev_i32_e32 v3, 31, v0
	v_lshrrev_b32_e32 v3, 28, v3
	s_delay_alu instid0(VALU_DEP_1) | instskip(NEXT) | instid1(VALU_DEP_1)
	v_add_nc_u32_e32 v3, v0, v3
	v_ashrrev_i32_e32 v3, 4, v3
.LBB38_397:
	v_ashrrev_i32_e32 v4, 31, v0
	v_lshlrev_b32_e32 v7, 6, v5
	v_lshrrev_b32_e32 v5, 1, v5
	v_and_b32_e32 v2, 0x7fffff00, v2
	s_lshl_b32 s2, s5, 5
	v_lshrrev_b32_e32 v4, 28, v4
	v_and_b32_e32 v7, 0xc0, v7
	v_and_b32_e32 v5, 2, v5
	s_and_b32 s2, s2, 0x7fffff00
	s_delay_alu instid0(SALU_CYCLE_1) | instskip(SKIP_1) | instid1(VALU_DEP_3)
	v_mul_lo_u32 v3, v3, s2
	v_add_nc_u32_e32 v4, v0, v4
	v_or3_b32 v2, v7, v2, v5
	s_delay_alu instid0(VALU_DEP_2) | instskip(NEXT) | instid1(VALU_DEP_2)
	v_and_b32_e32 v4, 0x3ffffff0, v4
	v_add_nc_u32_e32 v1, v2, v1
	v_lshrrev_b32_e32 v2, 23, v6
	s_delay_alu instid0(VALU_DEP_3) | instskip(NEXT) | instid1(VALU_DEP_1)
	v_sub_nc_u32_e32 v0, v0, v4
	v_lshlrev_b32_e32 v0, 2, v0
	s_delay_alu instid0(VALU_DEP_1) | instskip(NEXT) | instid1(VALU_DEP_1)
	v_add3_u32 v0, v1, v0, v3
	v_ashrrev_i32_e32 v1, 31, v0
	v_add_co_u32 v0, vcc_lo, s0, v0
	s_delay_alu instid0(VALU_DEP_2)
	v_add_co_ci_u32_e32 v1, vcc_lo, s1, v1, vcc_lo
	global_store_b8 v[0:1], v2, off
.LBB38_398:
	s_nop 0
	s_sendmsg sendmsg(MSG_DEALLOC_VGPRS)
	s_endpgm
	.section	.rodata,"a",@progbits
	.p2align	6, 0x0
	.amdhsa_kernel _ZN5aiter18quant_mxfp4_kernelI12hip_bfloat16LNS_16MxScaleRoundModeE3ELb0ELb1ELb1EEEvPKT_PhPfliiib
		.amdhsa_group_segment_fixed_size 0
		.amdhsa_private_segment_fixed_size 0
		.amdhsa_kernarg_size 304
		.amdhsa_user_sgpr_count 15
		.amdhsa_user_sgpr_dispatch_ptr 0
		.amdhsa_user_sgpr_queue_ptr 0
		.amdhsa_user_sgpr_kernarg_segment_ptr 1
		.amdhsa_user_sgpr_dispatch_id 0
		.amdhsa_user_sgpr_private_segment_size 0
		.amdhsa_wavefront_size32 1
		.amdhsa_uses_dynamic_stack 0
		.amdhsa_enable_private_segment 0
		.amdhsa_system_sgpr_workgroup_id_x 1
		.amdhsa_system_sgpr_workgroup_id_y 0
		.amdhsa_system_sgpr_workgroup_id_z 0
		.amdhsa_system_sgpr_workgroup_info 0
		.amdhsa_system_vgpr_workitem_id 0
		.amdhsa_next_free_vgpr 77
		.amdhsa_next_free_sgpr 16
		.amdhsa_reserve_vcc 1
		.amdhsa_float_round_mode_32 0
		.amdhsa_float_round_mode_16_64 0
		.amdhsa_float_denorm_mode_32 3
		.amdhsa_float_denorm_mode_16_64 3
		.amdhsa_dx10_clamp 1
		.amdhsa_ieee_mode 1
		.amdhsa_fp16_overflow 0
		.amdhsa_workgroup_processor_mode 1
		.amdhsa_memory_ordered 1
		.amdhsa_forward_progress 0
		.amdhsa_shared_vgpr_count 0
		.amdhsa_exception_fp_ieee_invalid_op 0
		.amdhsa_exception_fp_denorm_src 0
		.amdhsa_exception_fp_ieee_div_zero 0
		.amdhsa_exception_fp_ieee_overflow 0
		.amdhsa_exception_fp_ieee_underflow 0
		.amdhsa_exception_fp_ieee_inexact 0
		.amdhsa_exception_int_div_zero 0
	.end_amdhsa_kernel
	.section	.text._ZN5aiter18quant_mxfp4_kernelI12hip_bfloat16LNS_16MxScaleRoundModeE3ELb0ELb1ELb1EEEvPKT_PhPfliiib,"axG",@progbits,_ZN5aiter18quant_mxfp4_kernelI12hip_bfloat16LNS_16MxScaleRoundModeE3ELb0ELb1ELb1EEEvPKT_PhPfliiib,comdat
.Lfunc_end38:
	.size	_ZN5aiter18quant_mxfp4_kernelI12hip_bfloat16LNS_16MxScaleRoundModeE3ELb0ELb1ELb1EEEvPKT_PhPfliiib, .Lfunc_end38-_ZN5aiter18quant_mxfp4_kernelI12hip_bfloat16LNS_16MxScaleRoundModeE3ELb0ELb1ELb1EEEvPKT_PhPfliiib
                                        ; -- End function
	.section	.AMDGPU.csdata,"",@progbits
; Kernel info:
; codeLenInByte = 10736
; NumSgprs: 18
; NumVgprs: 77
; ScratchSize: 0
; MemoryBound: 0
; FloatMode: 240
; IeeeMode: 1
; LDSByteSize: 0 bytes/workgroup (compile time only)
; SGPRBlocks: 2
; VGPRBlocks: 9
; NumSGPRsForWavesPerEU: 18
; NumVGPRsForWavesPerEU: 77
; Occupancy: 16
; WaveLimiterHint : 0
; COMPUTE_PGM_RSRC2:SCRATCH_EN: 0
; COMPUTE_PGM_RSRC2:USER_SGPR: 15
; COMPUTE_PGM_RSRC2:TRAP_HANDLER: 0
; COMPUTE_PGM_RSRC2:TGID_X_EN: 1
; COMPUTE_PGM_RSRC2:TGID_Y_EN: 0
; COMPUTE_PGM_RSRC2:TGID_Z_EN: 0
; COMPUTE_PGM_RSRC2:TIDIG_COMP_CNT: 0
	.section	.text._ZN5aiter18quant_mxfp4_kernelI12hip_bfloat16LNS_16MxScaleRoundModeE3ELb0ELb1ELb0EEEvPKT_PhPfliiib,"axG",@progbits,_ZN5aiter18quant_mxfp4_kernelI12hip_bfloat16LNS_16MxScaleRoundModeE3ELb0ELb1ELb0EEEvPKT_PhPfliiib,comdat
	.protected	_ZN5aiter18quant_mxfp4_kernelI12hip_bfloat16LNS_16MxScaleRoundModeE3ELb0ELb1ELb0EEEvPKT_PhPfliiib ; -- Begin function _ZN5aiter18quant_mxfp4_kernelI12hip_bfloat16LNS_16MxScaleRoundModeE3ELb0ELb1ELb0EEEvPKT_PhPfliiib
	.globl	_ZN5aiter18quant_mxfp4_kernelI12hip_bfloat16LNS_16MxScaleRoundModeE3ELb0ELb1ELb0EEEvPKT_PhPfliiib
	.p2align	8
	.type	_ZN5aiter18quant_mxfp4_kernelI12hip_bfloat16LNS_16MxScaleRoundModeE3ELb0ELb1ELb0EEEvPKT_PhPfliiib,@function
_ZN5aiter18quant_mxfp4_kernelI12hip_bfloat16LNS_16MxScaleRoundModeE3ELb0ELb1ELb0EEEvPKT_PhPfliiib: ; @_ZN5aiter18quant_mxfp4_kernelI12hip_bfloat16LNS_16MxScaleRoundModeE3ELb0ELb1ELb0EEEvPKT_PhPfliiib
; %bb.0:
	s_clause 0x1
	s_load_b32 s2, s[0:1], 0x3c
	s_load_b128 s[4:7], s[0:1], 0x20
	v_mov_b32_e32 v1, 0
	s_delay_alu instid0(VALU_DEP_1)
	v_mov_b32_e32 v4, v1
	s_waitcnt lgkmcnt(0)
	s_and_b32 s2, s2, 0xffff
	s_mov_b32 s3, s6
	v_mad_u64_u32 v[2:3], null, s2, s15, v[0:1]
	s_ashr_i32 s2, s6, 31
	s_mov_b32 s6, exec_lo
                                        ; implicit-def: $vgpr0_vgpr1
	s_delay_alu instid0(VALU_DEP_1) | instskip(NEXT) | instid1(VALU_DEP_1)
	v_or_b32_e32 v5, s2, v3
	v_cmpx_ne_u64_e32 0, v[4:5]
	s_xor_b32 s6, exec_lo, s6
	s_cbranch_execz .LBB39_2
; %bb.1:
	s_add_u32 s10, s3, s2
	s_mov_b32 s8, s2
	s_mov_b32 s9, s2
	s_addc_u32 s11, s2, s2
	s_delay_alu instid0(SALU_CYCLE_1) | instskip(NEXT) | instid1(SALU_CYCLE_1)
	s_xor_b64 s[10:11], s[10:11], s[8:9]
	v_cvt_f32_u32_e32 v0, s10
	v_cvt_f32_u32_e32 v1, s11
	s_sub_u32 s2, 0, s10
	s_subb_u32 s12, 0, s11
	s_delay_alu instid0(VALU_DEP_1) | instskip(NEXT) | instid1(VALU_DEP_1)
	v_fmamk_f32 v0, v1, 0x4f800000, v0
	v_rcp_f32_e32 v0, v0
	s_waitcnt_depctr 0xfff
	v_mul_f32_e32 v0, 0x5f7ffffc, v0
	s_delay_alu instid0(VALU_DEP_1) | instskip(NEXT) | instid1(VALU_DEP_1)
	v_mul_f32_e32 v1, 0x2f800000, v0
	v_trunc_f32_e32 v1, v1
	s_delay_alu instid0(VALU_DEP_1) | instskip(SKIP_1) | instid1(VALU_DEP_2)
	v_fmamk_f32 v0, v1, 0xcf800000, v0
	v_cvt_u32_f32_e32 v1, v1
	v_cvt_u32_f32_e32 v0, v0
	s_delay_alu instid0(VALU_DEP_2) | instskip(NEXT) | instid1(VALU_DEP_2)
	v_mul_lo_u32 v4, s2, v1
	v_mul_hi_u32 v5, s2, v0
	v_mul_lo_u32 v6, s12, v0
	s_delay_alu instid0(VALU_DEP_2) | instskip(SKIP_1) | instid1(VALU_DEP_2)
	v_add_nc_u32_e32 v4, v5, v4
	v_mul_lo_u32 v5, s2, v0
	v_add_nc_u32_e32 v4, v4, v6
	s_delay_alu instid0(VALU_DEP_2) | instskip(NEXT) | instid1(VALU_DEP_2)
	v_mul_hi_u32 v6, v0, v5
	v_mul_lo_u32 v7, v0, v4
	v_mul_hi_u32 v8, v0, v4
	v_mul_hi_u32 v9, v1, v5
	v_mul_lo_u32 v5, v1, v5
	v_mul_hi_u32 v10, v1, v4
	v_mul_lo_u32 v4, v1, v4
	v_add_co_u32 v6, vcc_lo, v6, v7
	v_add_co_ci_u32_e32 v7, vcc_lo, 0, v8, vcc_lo
	s_delay_alu instid0(VALU_DEP_2) | instskip(NEXT) | instid1(VALU_DEP_2)
	v_add_co_u32 v5, vcc_lo, v6, v5
	v_add_co_ci_u32_e32 v5, vcc_lo, v7, v9, vcc_lo
	v_add_co_ci_u32_e32 v6, vcc_lo, 0, v10, vcc_lo
	v_ashrrev_i32_e32 v9, 31, v3
	s_delay_alu instid0(VALU_DEP_3) | instskip(NEXT) | instid1(VALU_DEP_3)
	v_add_co_u32 v4, vcc_lo, v5, v4
	v_add_co_ci_u32_e32 v5, vcc_lo, 0, v6, vcc_lo
	s_delay_alu instid0(VALU_DEP_2) | instskip(NEXT) | instid1(VALU_DEP_2)
	v_add_co_u32 v0, vcc_lo, v0, v4
	v_add_co_ci_u32_e32 v1, vcc_lo, v1, v5, vcc_lo
	s_delay_alu instid0(VALU_DEP_2) | instskip(SKIP_1) | instid1(VALU_DEP_3)
	v_mul_hi_u32 v4, s2, v0
	v_mul_lo_u32 v6, s12, v0
	v_mul_lo_u32 v5, s2, v1
	s_delay_alu instid0(VALU_DEP_1) | instskip(SKIP_1) | instid1(VALU_DEP_2)
	v_add_nc_u32_e32 v4, v4, v5
	v_mul_lo_u32 v5, s2, v0
	v_add_nc_u32_e32 v4, v4, v6
	s_delay_alu instid0(VALU_DEP_2) | instskip(NEXT) | instid1(VALU_DEP_2)
	v_mul_hi_u32 v6, v0, v5
	v_mul_lo_u32 v7, v0, v4
	v_mul_hi_u32 v8, v0, v4
	v_mul_hi_u32 v10, v1, v5
	v_mul_lo_u32 v5, v1, v5
	v_mul_hi_u32 v11, v1, v4
	v_mul_lo_u32 v4, v1, v4
	v_add_co_u32 v6, vcc_lo, v6, v7
	v_add_co_ci_u32_e32 v7, vcc_lo, 0, v8, vcc_lo
	s_delay_alu instid0(VALU_DEP_2) | instskip(NEXT) | instid1(VALU_DEP_2)
	v_add_co_u32 v5, vcc_lo, v6, v5
	v_add_co_ci_u32_e32 v5, vcc_lo, v7, v10, vcc_lo
	v_add_co_ci_u32_e32 v6, vcc_lo, 0, v11, vcc_lo
	v_add_co_u32 v7, vcc_lo, v2, v9
	v_add_co_ci_u32_e32 v3, vcc_lo, v3, v9, vcc_lo
	s_delay_alu instid0(VALU_DEP_4) | instskip(NEXT) | instid1(VALU_DEP_4)
	v_add_co_u32 v4, vcc_lo, v5, v4
	v_add_co_ci_u32_e32 v5, vcc_lo, 0, v6, vcc_lo
	s_delay_alu instid0(VALU_DEP_4) | instskip(NEXT) | instid1(VALU_DEP_3)
	v_xor_b32_e32 v7, v7, v9
	v_add_co_u32 v6, vcc_lo, v0, v4
	s_delay_alu instid0(VALU_DEP_3) | instskip(SKIP_1) | instid1(VALU_DEP_3)
	v_add_co_ci_u32_e32 v8, vcc_lo, v1, v5, vcc_lo
	v_xor_b32_e32 v10, v3, v9
	v_mul_hi_u32 v11, v7, v6
	s_delay_alu instid0(VALU_DEP_3) | instskip(NEXT) | instid1(VALU_DEP_3)
	v_mad_u64_u32 v[0:1], null, v7, v8, 0
	v_mad_u64_u32 v[3:4], null, v10, v6, 0
	v_mad_u64_u32 v[5:6], null, v10, v8, 0
	s_delay_alu instid0(VALU_DEP_3) | instskip(NEXT) | instid1(VALU_DEP_4)
	v_add_co_u32 v0, vcc_lo, v11, v0
	v_add_co_ci_u32_e32 v1, vcc_lo, 0, v1, vcc_lo
	s_delay_alu instid0(VALU_DEP_2) | instskip(NEXT) | instid1(VALU_DEP_2)
	v_add_co_u32 v0, vcc_lo, v0, v3
	v_add_co_ci_u32_e32 v0, vcc_lo, v1, v4, vcc_lo
	v_add_co_ci_u32_e32 v1, vcc_lo, 0, v6, vcc_lo
	s_delay_alu instid0(VALU_DEP_2) | instskip(NEXT) | instid1(VALU_DEP_2)
	v_add_co_u32 v3, vcc_lo, v0, v5
	v_add_co_ci_u32_e32 v4, vcc_lo, 0, v1, vcc_lo
	s_delay_alu instid0(VALU_DEP_2) | instskip(SKIP_1) | instid1(VALU_DEP_3)
	v_mul_lo_u32 v5, s11, v3
	v_mad_u64_u32 v[0:1], null, s10, v3, 0
	v_mul_lo_u32 v6, s10, v4
	s_delay_alu instid0(VALU_DEP_2) | instskip(NEXT) | instid1(VALU_DEP_2)
	v_sub_co_u32 v0, vcc_lo, v7, v0
	v_add3_u32 v1, v1, v6, v5
	s_delay_alu instid0(VALU_DEP_1) | instskip(NEXT) | instid1(VALU_DEP_1)
	v_sub_nc_u32_e32 v5, v10, v1
	v_subrev_co_ci_u32_e64 v5, s2, s11, v5, vcc_lo
	v_add_co_u32 v6, s2, v3, 2
	s_delay_alu instid0(VALU_DEP_1) | instskip(SKIP_3) | instid1(VALU_DEP_3)
	v_add_co_ci_u32_e64 v7, s2, 0, v4, s2
	v_sub_co_u32 v8, s2, v0, s10
	v_sub_co_ci_u32_e32 v1, vcc_lo, v10, v1, vcc_lo
	v_subrev_co_ci_u32_e64 v5, s2, 0, v5, s2
	v_cmp_le_u32_e32 vcc_lo, s10, v8
	s_delay_alu instid0(VALU_DEP_3) | instskip(SKIP_1) | instid1(VALU_DEP_4)
	v_cmp_eq_u32_e64 s2, s11, v1
	v_cndmask_b32_e64 v8, 0, -1, vcc_lo
	v_cmp_le_u32_e32 vcc_lo, s11, v5
	v_cndmask_b32_e64 v10, 0, -1, vcc_lo
	v_cmp_le_u32_e32 vcc_lo, s10, v0
	v_cndmask_b32_e64 v0, 0, -1, vcc_lo
	v_cmp_le_u32_e32 vcc_lo, s11, v1
	v_cndmask_b32_e64 v11, 0, -1, vcc_lo
	v_cmp_eq_u32_e32 vcc_lo, s11, v5
	s_delay_alu instid0(VALU_DEP_2) | instskip(SKIP_3) | instid1(VALU_DEP_3)
	v_cndmask_b32_e64 v0, v11, v0, s2
	v_cndmask_b32_e32 v5, v10, v8, vcc_lo
	v_add_co_u32 v8, vcc_lo, v3, 1
	v_add_co_ci_u32_e32 v10, vcc_lo, 0, v4, vcc_lo
	v_cmp_ne_u32_e32 vcc_lo, 0, v5
	s_delay_alu instid0(VALU_DEP_2) | instskip(NEXT) | instid1(VALU_DEP_4)
	v_cndmask_b32_e32 v1, v10, v7, vcc_lo
	v_cndmask_b32_e32 v5, v8, v6, vcc_lo
	v_cmp_ne_u32_e32 vcc_lo, 0, v0
	v_xor_b32_e32 v0, s8, v9
	s_delay_alu instid0(VALU_DEP_3) | instskip(SKIP_2) | instid1(VALU_DEP_3)
	v_cndmask_b32_e32 v3, v3, v5, vcc_lo
	v_cndmask_b32_e32 v1, v4, v1, vcc_lo
	v_xor_b32_e32 v4, s9, v9
	v_xor_b32_e32 v3, v3, v0
	s_delay_alu instid0(VALU_DEP_2) | instskip(NEXT) | instid1(VALU_DEP_2)
	v_xor_b32_e32 v1, v1, v4
	v_sub_co_u32 v0, vcc_lo, v3, v0
	s_delay_alu instid0(VALU_DEP_2)
	v_sub_co_ci_u32_e32 v1, vcc_lo, v1, v4, vcc_lo
.LBB39_2:
	s_and_not1_saveexec_b32 s2, s6
	s_cbranch_execz .LBB39_4
; %bb.3:
	v_cvt_f32_u32_e32 v0, s3
	s_sub_i32 s6, 0, s3
	s_delay_alu instid0(VALU_DEP_1) | instskip(SKIP_2) | instid1(VALU_DEP_1)
	v_rcp_iflag_f32_e32 v0, v0
	s_waitcnt_depctr 0xfff
	v_mul_f32_e32 v0, 0x4f7ffffe, v0
	v_cvt_u32_f32_e32 v0, v0
	s_delay_alu instid0(VALU_DEP_1) | instskip(NEXT) | instid1(VALU_DEP_1)
	v_mul_lo_u32 v1, s6, v0
	v_mul_hi_u32 v1, v0, v1
	s_delay_alu instid0(VALU_DEP_1) | instskip(NEXT) | instid1(VALU_DEP_1)
	v_add_nc_u32_e32 v0, v0, v1
	v_mul_hi_u32 v0, v2, v0
	s_delay_alu instid0(VALU_DEP_1) | instskip(SKIP_1) | instid1(VALU_DEP_2)
	v_mul_lo_u32 v1, v0, s3
	v_add_nc_u32_e32 v3, 1, v0
	v_sub_nc_u32_e32 v1, v2, v1
	s_delay_alu instid0(VALU_DEP_1) | instskip(SKIP_1) | instid1(VALU_DEP_2)
	v_subrev_nc_u32_e32 v4, s3, v1
	v_cmp_le_u32_e32 vcc_lo, s3, v1
	v_dual_cndmask_b32 v1, v1, v4 :: v_dual_cndmask_b32 v0, v0, v3
	s_delay_alu instid0(VALU_DEP_1) | instskip(NEXT) | instid1(VALU_DEP_2)
	v_cmp_le_u32_e32 vcc_lo, s3, v1
	v_add_nc_u32_e32 v3, 1, v0
	s_delay_alu instid0(VALU_DEP_1)
	v_dual_mov_b32 v1, 0 :: v_dual_cndmask_b32 v0, v0, v3
.LBB39_4:
	s_or_b32 exec_lo, exec_lo, s2
	s_load_b64 s[8:9], s[0:1], 0x18
	s_delay_alu instid0(VALU_DEP_1) | instskip(NEXT) | instid1(VALU_DEP_1)
	v_mad_u64_u32 v[3:4], null, v0, s3, 0
	v_sub_co_u32 v4, null, v2, v3
	s_delay_alu instid0(VALU_DEP_1) | instskip(SKIP_2) | instid1(VALU_DEP_2)
	v_cmp_gt_i32_e64 s2, s5, v4
	s_waitcnt lgkmcnt(0)
	v_cmp_gt_i64_e32 vcc_lo, s[8:9], v[0:1]
	s_and_b32 s2, vcc_lo, s2
	s_delay_alu instid0(SALU_CYCLE_1)
	s_and_saveexec_b32 s3, s2
	s_cbranch_execz .LBB39_394
; %bb.5:
	s_ashr_i32 s6, s4, 31
	s_load_b64 s[2:3], s[0:1], 0x0
	v_mul_lo_u32 v2, v1, s4
	v_mad_u64_u32 v[5:6], null, v0, s4, 0
	v_mul_lo_u32 v3, v0, s6
	s_delay_alu instid0(VALU_DEP_1) | instskip(SKIP_1) | instid1(VALU_DEP_2)
	v_add3_u32 v6, v6, v3, v2
	v_dual_mov_b32 v3, 0 :: v_dual_lshlrev_b32 v2, 5, v4
	v_lshlrev_b64 v[5:6], 1, v[5:6]
	s_delay_alu instid0(VALU_DEP_2) | instskip(SKIP_1) | instid1(VALU_DEP_2)
	v_lshlrev_b64 v[7:8], 1, v[2:3]
	s_waitcnt lgkmcnt(0)
	v_add_co_u32 v3, vcc_lo, s2, v5
	s_delay_alu instid0(VALU_DEP_3) | instskip(SKIP_1) | instid1(VALU_DEP_2)
	v_add_co_ci_u32_e32 v6, vcc_lo, s3, v6, vcc_lo
	s_mov_b32 s2, exec_lo
	v_add_co_u32 v5, vcc_lo, v3, v7
	s_delay_alu instid0(VALU_DEP_2)
	v_add_co_ci_u32_e32 v6, vcc_lo, v6, v8, vcc_lo
	s_clause 0x3
	global_load_b128 v[10:13], v[5:6], off
	global_load_b128 v[34:37], v[5:6], off offset:16
	global_load_b128 v[53:56], v[5:6], off offset:32
	;; [unrolled: 1-line block ×3, first 2 shown]
	s_waitcnt vmcnt(3)
	v_lshlrev_b32_e32 v5, 16, v10
	v_and_b32_e32 v8, 0xffff0000, v10
	v_lshlrev_b32_e32 v10, 16, v11
	v_and_b32_e32 v15, 0xffff0000, v11
	;; [unrolled: 2-line block ×3, first 2 shown]
	v_max3_f32 v3, |v5|, 0, |v8|
	v_lshlrev_b32_e32 v23, 16, v13
	v_and_b32_e32 v26, 0xffff0000, v13
	s_waitcnt vmcnt(2)
	v_lshlrev_b32_e32 v28, 16, v34
	v_and_b32_e32 v32, 0xffff0000, v34
	v_max3_f32 v3, v3, |v10|, |v15|
	v_lshlrev_b32_e32 v34, 16, v35
	v_and_b32_e32 v38, 0xffff0000, v35
	v_lshlrev_b32_e32 v40, 16, v36
	v_and_b32_e32 v42, 0xffff0000, v36
	v_max3_f32 v3, v3, |v17|, |v21|
	v_lshlrev_b32_e32 v46, 16, v37
	v_and_b32_e32 v48, 0xffff0000, v37
	s_waitcnt vmcnt(1)
	v_lshlrev_b32_e32 v52, 16, v53
	v_and_b32_e32 v53, 0xffff0000, v53
	v_max3_f32 v3, v3, |v23|, |v26|
	v_lshlrev_b32_e32 v49, 16, v54
	v_and_b32_e32 v47, 0xffff0000, v54
	v_lshlrev_b32_e32 v43, 16, v55
	v_and_b32_e32 v41, 0xffff0000, v55
	v_max3_f32 v3, v3, |v28|, |v32|
	;; [unrolled: 11-line block ×3, first 2 shown]
	v_lshlrev_b32_e32 v14, 16, v60
	v_and_b32_e32 v9, 0xffff0000, v60
	s_delay_alu instid0(VALU_DEP_3) | instskip(NEXT) | instid1(VALU_DEP_1)
	v_max3_f32 v3, v3, |v46|, |v48|
	v_max3_f32 v3, v3, |v52|, |v53|
	s_delay_alu instid0(VALU_DEP_1) | instskip(NEXT) | instid1(VALU_DEP_1)
	v_max3_f32 v3, v3, |v49|, |v47|
	v_max3_f32 v3, v3, |v43|, |v41|
	s_delay_alu instid0(VALU_DEP_1) | instskip(NEXT) | instid1(VALU_DEP_1)
	;; [unrolled: 3-line block ×4, first 2 shown]
	v_max3_f32 v3, v3, |v14|, |v9|
	v_mul_f32_e32 v3, 0x3e800000, v3
	s_delay_alu instid0(VALU_DEP_1) | instskip(SKIP_1) | instid1(VALU_DEP_2)
	v_and_b32_e32 v6, 0x7fffff, v3
	v_bfe_u32 v3, v3, 23, 8
	v_cmp_ne_u32_e32 vcc_lo, 0, v6
	s_delay_alu instid0(VALU_DEP_2) | instskip(SKIP_1) | instid1(VALU_DEP_2)
	v_add_co_ci_u32_e32 v6, vcc_lo, 0, v3, vcc_lo
	v_cmp_ne_u32_e32 vcc_lo, 0xff, v3
	v_lshlrev_b32_e32 v6, 23, v6
	s_delay_alu instid0(VALU_DEP_1) | instskip(NEXT) | instid1(VALU_DEP_1)
	v_cndmask_b32_e32 v3, 0x7f800000, v6, vcc_lo
	v_div_scale_f32 v6, null, v3, v3, 1.0
	v_div_scale_f32 v12, vcc_lo, 1.0, v3, 1.0
	s_delay_alu instid0(VALU_DEP_2) | instskip(SKIP_2) | instid1(VALU_DEP_1)
	v_rcp_f32_e32 v7, v6
	s_waitcnt_depctr 0xfff
	v_fma_f32 v11, -v6, v7, 1.0
	v_fmac_f32_e32 v7, v11, v7
	s_delay_alu instid0(VALU_DEP_1) | instskip(NEXT) | instid1(VALU_DEP_1)
	v_mul_f32_e32 v11, v12, v7
	v_fma_f32 v13, -v6, v11, v12
	s_delay_alu instid0(VALU_DEP_1) | instskip(NEXT) | instid1(VALU_DEP_1)
	v_fmac_f32_e32 v11, v13, v7
	v_fma_f32 v6, -v6, v11, v12
	s_delay_alu instid0(VALU_DEP_1) | instskip(SKIP_2) | instid1(VALU_DEP_3)
	v_div_fmas_f32 v6, v6, v7, v11
	v_cmp_neq_f32_e32 vcc_lo, 0, v3
	v_mov_b32_e32 v7, 7
	v_div_fixup_f32 v6, v6, v3, 1.0
	s_delay_alu instid0(VALU_DEP_1) | instskip(NEXT) | instid1(VALU_DEP_1)
	v_cndmask_b32_e32 v11, 0, v6, vcc_lo
	v_dual_mul_f32 v6, v11, v5 :: v_dual_mov_b32 v5, 7
	s_delay_alu instid0(VALU_DEP_1)
	v_cmpx_nle_f32_e64 0x40a00000, |v6|
	s_cbranch_execz .LBB39_17
; %bb.6:
	v_mov_b32_e32 v5, 6
	s_mov_b32 s3, exec_lo
	v_cmpx_nle_f32_e64 0x40600000, |v6|
	s_cbranch_execz .LBB39_16
; %bb.7:
	v_mov_b32_e32 v5, 5
	s_mov_b32 s6, exec_lo
	;; [unrolled: 5-line block ×5, first 2 shown]
	v_cmpx_nle_f32_e64 0x3f400000, |v6|
; %bb.11:
	v_cmp_le_f32_e64 s12, 0x3e800000, |v6|
	s_delay_alu instid0(VALU_DEP_1)
	v_cndmask_b32_e64 v5, 0, 1, s12
; %bb.12:
	s_or_b32 exec_lo, exec_lo, s11
.LBB39_13:
	s_delay_alu instid0(SALU_CYCLE_1)
	s_or_b32 exec_lo, exec_lo, s10
.LBB39_14:
	s_delay_alu instid0(SALU_CYCLE_1)
	s_or_b32 exec_lo, exec_lo, s9
.LBB39_15:
	s_delay_alu instid0(SALU_CYCLE_1)
	s_or_b32 exec_lo, exec_lo, s6
.LBB39_16:
	s_delay_alu instid0(SALU_CYCLE_1)
	s_or_b32 exec_lo, exec_lo, s3
.LBB39_17:
	s_delay_alu instid0(SALU_CYCLE_1) | instskip(SKIP_2) | instid1(VALU_DEP_1)
	s_or_b32 exec_lo, exec_lo, s2
	v_mul_f32_e32 v8, v11, v8
	s_mov_b32 s2, exec_lo
	v_cmpx_nle_f32_e64 0x40a00000, |v8|
	s_cbranch_execz .LBB39_29
; %bb.18:
	v_mov_b32_e32 v7, 6
	s_mov_b32 s3, exec_lo
	v_cmpx_nle_f32_e64 0x40600000, |v8|
	s_cbranch_execz .LBB39_28
; %bb.19:
	v_mov_b32_e32 v7, 5
	;; [unrolled: 5-line block ×5, first 2 shown]
	s_mov_b32 s11, exec_lo
	v_cmpx_nle_f32_e64 0x3f400000, |v8|
; %bb.23:
	v_cmp_le_f32_e64 s12, 0x3e800000, |v8|
	s_delay_alu instid0(VALU_DEP_1)
	v_cndmask_b32_e64 v7, 0, 1, s12
; %bb.24:
	s_or_b32 exec_lo, exec_lo, s11
.LBB39_25:
	s_delay_alu instid0(SALU_CYCLE_1)
	s_or_b32 exec_lo, exec_lo, s10
.LBB39_26:
	s_delay_alu instid0(SALU_CYCLE_1)
	s_or_b32 exec_lo, exec_lo, s9
.LBB39_27:
	s_delay_alu instid0(SALU_CYCLE_1)
	s_or_b32 exec_lo, exec_lo, s6
.LBB39_28:
	s_delay_alu instid0(SALU_CYCLE_1)
	s_or_b32 exec_lo, exec_lo, s3
.LBB39_29:
	s_delay_alu instid0(SALU_CYCLE_1) | instskip(SKIP_3) | instid1(VALU_DEP_2)
	s_or_b32 exec_lo, exec_lo, s2
	v_dual_mul_f32 v12, v11, v10 :: v_dual_mov_b32 v13, 7
	v_mov_b32_e32 v10, 7
	s_mov_b32 s2, exec_lo
	v_cmpx_nle_f32_e64 0x40a00000, |v12|
	s_cbranch_execz .LBB39_41
; %bb.30:
	v_mov_b32_e32 v13, 6
	s_mov_b32 s3, exec_lo
	v_cmpx_nle_f32_e64 0x40600000, |v12|
	s_cbranch_execz .LBB39_40
; %bb.31:
	;; [unrolled: 5-line block ×5, first 2 shown]
	v_mov_b32_e32 v13, 2
	s_mov_b32 s11, exec_lo
	v_cmpx_nle_f32_e64 0x3f400000, |v12|
; %bb.35:
	v_cmp_le_f32_e64 s12, 0x3e800000, |v12|
	s_delay_alu instid0(VALU_DEP_1)
	v_cndmask_b32_e64 v13, 0, 1, s12
; %bb.36:
	s_or_b32 exec_lo, exec_lo, s11
.LBB39_37:
	s_delay_alu instid0(SALU_CYCLE_1)
	s_or_b32 exec_lo, exec_lo, s10
.LBB39_38:
	s_delay_alu instid0(SALU_CYCLE_1)
	s_or_b32 exec_lo, exec_lo, s9
.LBB39_39:
	s_delay_alu instid0(SALU_CYCLE_1)
	s_or_b32 exec_lo, exec_lo, s6
.LBB39_40:
	s_delay_alu instid0(SALU_CYCLE_1)
	s_or_b32 exec_lo, exec_lo, s3
.LBB39_41:
	s_delay_alu instid0(SALU_CYCLE_1) | instskip(SKIP_2) | instid1(VALU_DEP_1)
	s_or_b32 exec_lo, exec_lo, s2
	v_mul_f32_e32 v15, v11, v15
	s_mov_b32 s2, exec_lo
	v_cmpx_nle_f32_e64 0x40a00000, |v15|
	s_cbranch_execz .LBB39_53
; %bb.42:
	v_mov_b32_e32 v10, 6
	s_mov_b32 s3, exec_lo
	v_cmpx_nle_f32_e64 0x40600000, |v15|
	s_cbranch_execz .LBB39_52
; %bb.43:
	v_mov_b32_e32 v10, 5
	;; [unrolled: 5-line block ×5, first 2 shown]
	s_mov_b32 s11, exec_lo
	v_cmpx_nle_f32_e64 0x3f400000, |v15|
; %bb.47:
	v_cmp_le_f32_e64 s12, 0x3e800000, |v15|
	s_delay_alu instid0(VALU_DEP_1)
	v_cndmask_b32_e64 v10, 0, 1, s12
; %bb.48:
	s_or_b32 exec_lo, exec_lo, s11
.LBB39_49:
	s_delay_alu instid0(SALU_CYCLE_1)
	s_or_b32 exec_lo, exec_lo, s10
.LBB39_50:
	s_delay_alu instid0(SALU_CYCLE_1)
	s_or_b32 exec_lo, exec_lo, s9
.LBB39_51:
	s_delay_alu instid0(SALU_CYCLE_1)
	s_or_b32 exec_lo, exec_lo, s6
.LBB39_52:
	s_delay_alu instid0(SALU_CYCLE_1)
	s_or_b32 exec_lo, exec_lo, s3
.LBB39_53:
	s_delay_alu instid0(SALU_CYCLE_1) | instskip(SKIP_3) | instid1(VALU_DEP_2)
	s_or_b32 exec_lo, exec_lo, s2
	v_dual_mul_f32 v19, v11, v17 :: v_dual_mov_b32 v18, 7
	v_mov_b32_e32 v17, 7
	s_mov_b32 s2, exec_lo
	v_cmpx_nle_f32_e64 0x40a00000, |v19|
	s_cbranch_execz .LBB39_65
; %bb.54:
	v_mov_b32_e32 v17, 6
	s_mov_b32 s3, exec_lo
	v_cmpx_nle_f32_e64 0x40600000, |v19|
	s_cbranch_execz .LBB39_64
; %bb.55:
	;; [unrolled: 5-line block ×5, first 2 shown]
	v_mov_b32_e32 v17, 2
	s_mov_b32 s11, exec_lo
	v_cmpx_nle_f32_e64 0x3f400000, |v19|
; %bb.59:
	v_cmp_le_f32_e64 s12, 0x3e800000, |v19|
	s_delay_alu instid0(VALU_DEP_1)
	v_cndmask_b32_e64 v17, 0, 1, s12
; %bb.60:
	s_or_b32 exec_lo, exec_lo, s11
.LBB39_61:
	s_delay_alu instid0(SALU_CYCLE_1)
	s_or_b32 exec_lo, exec_lo, s10
.LBB39_62:
	s_delay_alu instid0(SALU_CYCLE_1)
	s_or_b32 exec_lo, exec_lo, s9
.LBB39_63:
	s_delay_alu instid0(SALU_CYCLE_1)
	s_or_b32 exec_lo, exec_lo, s6
.LBB39_64:
	s_delay_alu instid0(SALU_CYCLE_1)
	s_or_b32 exec_lo, exec_lo, s3
.LBB39_65:
	s_delay_alu instid0(SALU_CYCLE_1) | instskip(SKIP_2) | instid1(VALU_DEP_1)
	s_or_b32 exec_lo, exec_lo, s2
	v_mul_f32_e32 v21, v11, v21
	s_mov_b32 s2, exec_lo
	v_cmpx_nle_f32_e64 0x40a00000, |v21|
	s_cbranch_execz .LBB39_77
; %bb.66:
	v_mov_b32_e32 v18, 6
	s_mov_b32 s3, exec_lo
	v_cmpx_nle_f32_e64 0x40600000, |v21|
	s_cbranch_execz .LBB39_76
; %bb.67:
	v_mov_b32_e32 v18, 5
	;; [unrolled: 5-line block ×5, first 2 shown]
	s_mov_b32 s11, exec_lo
	v_cmpx_nle_f32_e64 0x3f400000, |v21|
; %bb.71:
	v_cmp_le_f32_e64 s12, 0x3e800000, |v21|
	s_delay_alu instid0(VALU_DEP_1)
	v_cndmask_b32_e64 v18, 0, 1, s12
; %bb.72:
	s_or_b32 exec_lo, exec_lo, s11
.LBB39_73:
	s_delay_alu instid0(SALU_CYCLE_1)
	s_or_b32 exec_lo, exec_lo, s10
.LBB39_74:
	s_delay_alu instid0(SALU_CYCLE_1)
	s_or_b32 exec_lo, exec_lo, s9
.LBB39_75:
	s_delay_alu instid0(SALU_CYCLE_1)
	s_or_b32 exec_lo, exec_lo, s6
.LBB39_76:
	s_delay_alu instid0(SALU_CYCLE_1)
	s_or_b32 exec_lo, exec_lo, s3
.LBB39_77:
	s_delay_alu instid0(SALU_CYCLE_1) | instskip(SKIP_3) | instid1(VALU_DEP_2)
	s_or_b32 exec_lo, exec_lo, s2
	v_dual_mul_f32 v25, v11, v23 :: v_dual_mov_b32 v24, 7
	v_mov_b32_e32 v23, 7
	s_mov_b32 s2, exec_lo
	v_cmpx_nle_f32_e64 0x40a00000, |v25|
	s_cbranch_execz .LBB39_89
; %bb.78:
	v_mov_b32_e32 v24, 6
	s_mov_b32 s3, exec_lo
	v_cmpx_nle_f32_e64 0x40600000, |v25|
	s_cbranch_execz .LBB39_88
; %bb.79:
	;; [unrolled: 5-line block ×5, first 2 shown]
	v_mov_b32_e32 v24, 2
	s_mov_b32 s11, exec_lo
	v_cmpx_nle_f32_e64 0x3f400000, |v25|
; %bb.83:
	v_cmp_le_f32_e64 s12, 0x3e800000, |v25|
	s_delay_alu instid0(VALU_DEP_1)
	v_cndmask_b32_e64 v24, 0, 1, s12
; %bb.84:
	s_or_b32 exec_lo, exec_lo, s11
.LBB39_85:
	s_delay_alu instid0(SALU_CYCLE_1)
	s_or_b32 exec_lo, exec_lo, s10
.LBB39_86:
	s_delay_alu instid0(SALU_CYCLE_1)
	s_or_b32 exec_lo, exec_lo, s9
.LBB39_87:
	s_delay_alu instid0(SALU_CYCLE_1)
	s_or_b32 exec_lo, exec_lo, s6
.LBB39_88:
	s_delay_alu instid0(SALU_CYCLE_1)
	s_or_b32 exec_lo, exec_lo, s3
.LBB39_89:
	s_delay_alu instid0(SALU_CYCLE_1) | instskip(SKIP_2) | instid1(VALU_DEP_1)
	s_or_b32 exec_lo, exec_lo, s2
	v_mul_f32_e32 v26, v11, v26
	s_mov_b32 s2, exec_lo
	v_cmpx_nle_f32_e64 0x40a00000, |v26|
	s_cbranch_execz .LBB39_101
; %bb.90:
	v_mov_b32_e32 v23, 6
	s_mov_b32 s3, exec_lo
	v_cmpx_nle_f32_e64 0x40600000, |v26|
	s_cbranch_execz .LBB39_100
; %bb.91:
	v_mov_b32_e32 v23, 5
	;; [unrolled: 5-line block ×5, first 2 shown]
	s_mov_b32 s11, exec_lo
	v_cmpx_nle_f32_e64 0x3f400000, |v26|
; %bb.95:
	v_cmp_le_f32_e64 s12, 0x3e800000, |v26|
	s_delay_alu instid0(VALU_DEP_1)
	v_cndmask_b32_e64 v23, 0, 1, s12
; %bb.96:
	s_or_b32 exec_lo, exec_lo, s11
.LBB39_97:
	s_delay_alu instid0(SALU_CYCLE_1)
	s_or_b32 exec_lo, exec_lo, s10
.LBB39_98:
	s_delay_alu instid0(SALU_CYCLE_1)
	s_or_b32 exec_lo, exec_lo, s9
.LBB39_99:
	s_delay_alu instid0(SALU_CYCLE_1)
	s_or_b32 exec_lo, exec_lo, s6
.LBB39_100:
	s_delay_alu instid0(SALU_CYCLE_1)
	s_or_b32 exec_lo, exec_lo, s3
.LBB39_101:
	s_delay_alu instid0(SALU_CYCLE_1) | instskip(SKIP_3) | instid1(VALU_DEP_2)
	s_or_b32 exec_lo, exec_lo, s2
	v_dual_mul_f32 v31, v11, v28 :: v_dual_mov_b32 v28, 7
	v_mov_b32_e32 v30, 7
	s_mov_b32 s2, exec_lo
	v_cmpx_nle_f32_e64 0x40a00000, |v31|
	s_cbranch_execz .LBB39_113
; %bb.102:
	v_mov_b32_e32 v30, 6
	s_mov_b32 s3, exec_lo
	v_cmpx_nle_f32_e64 0x40600000, |v31|
	s_cbranch_execz .LBB39_112
; %bb.103:
	;; [unrolled: 5-line block ×5, first 2 shown]
	v_mov_b32_e32 v30, 2
	s_mov_b32 s11, exec_lo
	v_cmpx_nle_f32_e64 0x3f400000, |v31|
; %bb.107:
	v_cmp_le_f32_e64 s12, 0x3e800000, |v31|
	s_delay_alu instid0(VALU_DEP_1)
	v_cndmask_b32_e64 v30, 0, 1, s12
; %bb.108:
	s_or_b32 exec_lo, exec_lo, s11
.LBB39_109:
	s_delay_alu instid0(SALU_CYCLE_1)
	s_or_b32 exec_lo, exec_lo, s10
.LBB39_110:
	s_delay_alu instid0(SALU_CYCLE_1)
	s_or_b32 exec_lo, exec_lo, s9
.LBB39_111:
	s_delay_alu instid0(SALU_CYCLE_1)
	s_or_b32 exec_lo, exec_lo, s6
.LBB39_112:
	s_delay_alu instid0(SALU_CYCLE_1)
	s_or_b32 exec_lo, exec_lo, s3
.LBB39_113:
	s_delay_alu instid0(SALU_CYCLE_1) | instskip(SKIP_2) | instid1(VALU_DEP_1)
	s_or_b32 exec_lo, exec_lo, s2
	v_mul_f32_e32 v32, v11, v32
	s_mov_b32 s2, exec_lo
	v_cmpx_nle_f32_e64 0x40a00000, |v32|
	s_cbranch_execz .LBB39_125
; %bb.114:
	v_mov_b32_e32 v28, 6
	s_mov_b32 s3, exec_lo
	v_cmpx_nle_f32_e64 0x40600000, |v32|
	s_cbranch_execz .LBB39_124
; %bb.115:
	v_mov_b32_e32 v28, 5
	;; [unrolled: 5-line block ×5, first 2 shown]
	s_mov_b32 s11, exec_lo
	v_cmpx_nle_f32_e64 0x3f400000, |v32|
; %bb.119:
	v_cmp_le_f32_e64 s12, 0x3e800000, |v32|
	s_delay_alu instid0(VALU_DEP_1)
	v_cndmask_b32_e64 v28, 0, 1, s12
; %bb.120:
	s_or_b32 exec_lo, exec_lo, s11
.LBB39_121:
	s_delay_alu instid0(SALU_CYCLE_1)
	s_or_b32 exec_lo, exec_lo, s10
.LBB39_122:
	s_delay_alu instid0(SALU_CYCLE_1)
	s_or_b32 exec_lo, exec_lo, s9
.LBB39_123:
	s_delay_alu instid0(SALU_CYCLE_1)
	s_or_b32 exec_lo, exec_lo, s6
.LBB39_124:
	s_delay_alu instid0(SALU_CYCLE_1)
	s_or_b32 exec_lo, exec_lo, s3
.LBB39_125:
	s_delay_alu instid0(SALU_CYCLE_1) | instskip(SKIP_3) | instid1(VALU_DEP_2)
	s_or_b32 exec_lo, exec_lo, s2
	v_dual_mul_f32 v37, v11, v34 :: v_dual_mov_b32 v34, 7
	v_mov_b32_e32 v36, 7
	s_mov_b32 s2, exec_lo
	v_cmpx_nle_f32_e64 0x40a00000, |v37|
	s_cbranch_execz .LBB39_137
; %bb.126:
	v_mov_b32_e32 v36, 6
	s_mov_b32 s3, exec_lo
	v_cmpx_nle_f32_e64 0x40600000, |v37|
	s_cbranch_execz .LBB39_136
; %bb.127:
	;; [unrolled: 5-line block ×5, first 2 shown]
	v_mov_b32_e32 v36, 2
	s_mov_b32 s11, exec_lo
	v_cmpx_nle_f32_e64 0x3f400000, |v37|
; %bb.131:
	v_cmp_le_f32_e64 s12, 0x3e800000, |v37|
	s_delay_alu instid0(VALU_DEP_1)
	v_cndmask_b32_e64 v36, 0, 1, s12
; %bb.132:
	s_or_b32 exec_lo, exec_lo, s11
.LBB39_133:
	s_delay_alu instid0(SALU_CYCLE_1)
	s_or_b32 exec_lo, exec_lo, s10
.LBB39_134:
	s_delay_alu instid0(SALU_CYCLE_1)
	s_or_b32 exec_lo, exec_lo, s9
.LBB39_135:
	s_delay_alu instid0(SALU_CYCLE_1)
	s_or_b32 exec_lo, exec_lo, s6
.LBB39_136:
	s_delay_alu instid0(SALU_CYCLE_1)
	s_or_b32 exec_lo, exec_lo, s3
.LBB39_137:
	s_delay_alu instid0(SALU_CYCLE_1) | instskip(SKIP_2) | instid1(VALU_DEP_1)
	s_or_b32 exec_lo, exec_lo, s2
	v_mul_f32_e32 v38, v11, v38
	s_mov_b32 s2, exec_lo
	v_cmpx_nle_f32_e64 0x40a00000, |v38|
	s_cbranch_execz .LBB39_149
; %bb.138:
	v_mov_b32_e32 v34, 6
	s_mov_b32 s3, exec_lo
	v_cmpx_nle_f32_e64 0x40600000, |v38|
	s_cbranch_execz .LBB39_148
; %bb.139:
	v_mov_b32_e32 v34, 5
	;; [unrolled: 5-line block ×5, first 2 shown]
	s_mov_b32 s11, exec_lo
	v_cmpx_nle_f32_e64 0x3f400000, |v38|
; %bb.143:
	v_cmp_le_f32_e64 s12, 0x3e800000, |v38|
	s_delay_alu instid0(VALU_DEP_1)
	v_cndmask_b32_e64 v34, 0, 1, s12
; %bb.144:
	s_or_b32 exec_lo, exec_lo, s11
.LBB39_145:
	s_delay_alu instid0(SALU_CYCLE_1)
	s_or_b32 exec_lo, exec_lo, s10
.LBB39_146:
	s_delay_alu instid0(SALU_CYCLE_1)
	s_or_b32 exec_lo, exec_lo, s9
.LBB39_147:
	s_delay_alu instid0(SALU_CYCLE_1)
	s_or_b32 exec_lo, exec_lo, s6
.LBB39_148:
	s_delay_alu instid0(SALU_CYCLE_1)
	s_or_b32 exec_lo, exec_lo, s3
.LBB39_149:
	s_delay_alu instid0(SALU_CYCLE_1) | instskip(SKIP_3) | instid1(VALU_DEP_2)
	s_or_b32 exec_lo, exec_lo, s2
	v_dual_mul_f32 v44, v11, v40 :: v_dual_mov_b32 v45, 7
	v_mov_b32_e32 v40, 7
	s_mov_b32 s2, exec_lo
	v_cmpx_nle_f32_e64 0x40a00000, |v44|
	s_cbranch_execz .LBB39_161
; %bb.150:
	v_mov_b32_e32 v45, 6
	s_mov_b32 s3, exec_lo
	v_cmpx_nle_f32_e64 0x40600000, |v44|
	s_cbranch_execz .LBB39_160
; %bb.151:
	;; [unrolled: 5-line block ×5, first 2 shown]
	v_mov_b32_e32 v45, 2
	s_mov_b32 s11, exec_lo
	v_cmpx_nle_f32_e64 0x3f400000, |v44|
; %bb.155:
	v_cmp_le_f32_e64 s12, 0x3e800000, |v44|
	s_delay_alu instid0(VALU_DEP_1)
	v_cndmask_b32_e64 v45, 0, 1, s12
; %bb.156:
	s_or_b32 exec_lo, exec_lo, s11
.LBB39_157:
	s_delay_alu instid0(SALU_CYCLE_1)
	s_or_b32 exec_lo, exec_lo, s10
.LBB39_158:
	s_delay_alu instid0(SALU_CYCLE_1)
	s_or_b32 exec_lo, exec_lo, s9
.LBB39_159:
	s_delay_alu instid0(SALU_CYCLE_1)
	s_or_b32 exec_lo, exec_lo, s6
.LBB39_160:
	s_delay_alu instid0(SALU_CYCLE_1)
	s_or_b32 exec_lo, exec_lo, s3
.LBB39_161:
	s_delay_alu instid0(SALU_CYCLE_1) | instskip(SKIP_2) | instid1(VALU_DEP_1)
	s_or_b32 exec_lo, exec_lo, s2
	v_mul_f32_e32 v42, v11, v42
	s_mov_b32 s2, exec_lo
	v_cmpx_nle_f32_e64 0x40a00000, |v42|
	s_cbranch_execz .LBB39_173
; %bb.162:
	v_mov_b32_e32 v40, 6
	s_mov_b32 s3, exec_lo
	v_cmpx_nle_f32_e64 0x40600000, |v42|
	s_cbranch_execz .LBB39_172
; %bb.163:
	v_mov_b32_e32 v40, 5
	;; [unrolled: 5-line block ×5, first 2 shown]
	s_mov_b32 s11, exec_lo
	v_cmpx_nle_f32_e64 0x3f400000, |v42|
; %bb.167:
	v_cmp_le_f32_e64 s12, 0x3e800000, |v42|
	s_delay_alu instid0(VALU_DEP_1)
	v_cndmask_b32_e64 v40, 0, 1, s12
; %bb.168:
	s_or_b32 exec_lo, exec_lo, s11
.LBB39_169:
	s_delay_alu instid0(SALU_CYCLE_1)
	s_or_b32 exec_lo, exec_lo, s10
.LBB39_170:
	s_delay_alu instid0(SALU_CYCLE_1)
	s_or_b32 exec_lo, exec_lo, s9
.LBB39_171:
	s_delay_alu instid0(SALU_CYCLE_1)
	s_or_b32 exec_lo, exec_lo, s6
.LBB39_172:
	s_delay_alu instid0(SALU_CYCLE_1)
	s_or_b32 exec_lo, exec_lo, s3
.LBB39_173:
	s_delay_alu instid0(SALU_CYCLE_1) | instskip(SKIP_3) | instid1(VALU_DEP_2)
	s_or_b32 exec_lo, exec_lo, s2
	v_dual_mul_f32 v51, v11, v46 :: v_dual_mov_b32 v46, 7
	v_mov_b32_e32 v50, 7
	s_mov_b32 s2, exec_lo
	v_cmpx_nle_f32_e64 0x40a00000, |v51|
	s_cbranch_execz .LBB39_185
; %bb.174:
	v_mov_b32_e32 v50, 6
	s_mov_b32 s3, exec_lo
	v_cmpx_nle_f32_e64 0x40600000, |v51|
	s_cbranch_execz .LBB39_184
; %bb.175:
	;; [unrolled: 5-line block ×5, first 2 shown]
	v_mov_b32_e32 v50, 2
	s_mov_b32 s11, exec_lo
	v_cmpx_nle_f32_e64 0x3f400000, |v51|
; %bb.179:
	v_cmp_le_f32_e64 s12, 0x3e800000, |v51|
	s_delay_alu instid0(VALU_DEP_1)
	v_cndmask_b32_e64 v50, 0, 1, s12
; %bb.180:
	s_or_b32 exec_lo, exec_lo, s11
.LBB39_181:
	s_delay_alu instid0(SALU_CYCLE_1)
	s_or_b32 exec_lo, exec_lo, s10
.LBB39_182:
	s_delay_alu instid0(SALU_CYCLE_1)
	s_or_b32 exec_lo, exec_lo, s9
.LBB39_183:
	s_delay_alu instid0(SALU_CYCLE_1)
	s_or_b32 exec_lo, exec_lo, s6
.LBB39_184:
	s_delay_alu instid0(SALU_CYCLE_1)
	s_or_b32 exec_lo, exec_lo, s3
.LBB39_185:
	s_delay_alu instid0(SALU_CYCLE_1) | instskip(SKIP_2) | instid1(VALU_DEP_1)
	s_or_b32 exec_lo, exec_lo, s2
	v_mul_f32_e32 v48, v11, v48
	s_mov_b32 s2, exec_lo
	v_cmpx_nle_f32_e64 0x40a00000, |v48|
	s_cbranch_execz .LBB39_197
; %bb.186:
	v_mov_b32_e32 v46, 6
	s_mov_b32 s3, exec_lo
	v_cmpx_nle_f32_e64 0x40600000, |v48|
	s_cbranch_execz .LBB39_196
; %bb.187:
	v_mov_b32_e32 v46, 5
	;; [unrolled: 5-line block ×5, first 2 shown]
	s_mov_b32 s11, exec_lo
	v_cmpx_nle_f32_e64 0x3f400000, |v48|
; %bb.191:
	v_cmp_le_f32_e64 s12, 0x3e800000, |v48|
	s_delay_alu instid0(VALU_DEP_1)
	v_cndmask_b32_e64 v46, 0, 1, s12
; %bb.192:
	s_or_b32 exec_lo, exec_lo, s11
.LBB39_193:
	s_delay_alu instid0(SALU_CYCLE_1)
	s_or_b32 exec_lo, exec_lo, s10
.LBB39_194:
	s_delay_alu instid0(SALU_CYCLE_1)
	s_or_b32 exec_lo, exec_lo, s9
.LBB39_195:
	s_delay_alu instid0(SALU_CYCLE_1)
	s_or_b32 exec_lo, exec_lo, s6
.LBB39_196:
	s_delay_alu instid0(SALU_CYCLE_1)
	s_or_b32 exec_lo, exec_lo, s3
.LBB39_197:
	s_delay_alu instid0(SALU_CYCLE_1) | instskip(SKIP_3) | instid1(VALU_DEP_2)
	s_or_b32 exec_lo, exec_lo, s2
	v_dual_mul_f32 v55, v11, v52 :: v_dual_mov_b32 v52, 7
	v_mov_b32_e32 v54, 7
	s_mov_b32 s2, exec_lo
	v_cmpx_nle_f32_e64 0x40a00000, |v55|
	s_cbranch_execz .LBB39_209
; %bb.198:
	v_mov_b32_e32 v54, 6
	s_mov_b32 s3, exec_lo
	v_cmpx_nle_f32_e64 0x40600000, |v55|
	s_cbranch_execz .LBB39_208
; %bb.199:
	;; [unrolled: 5-line block ×5, first 2 shown]
	v_mov_b32_e32 v54, 2
	s_mov_b32 s11, exec_lo
	v_cmpx_nle_f32_e64 0x3f400000, |v55|
; %bb.203:
	v_cmp_le_f32_e64 s12, 0x3e800000, |v55|
	s_delay_alu instid0(VALU_DEP_1)
	v_cndmask_b32_e64 v54, 0, 1, s12
; %bb.204:
	s_or_b32 exec_lo, exec_lo, s11
.LBB39_205:
	s_delay_alu instid0(SALU_CYCLE_1)
	s_or_b32 exec_lo, exec_lo, s10
.LBB39_206:
	s_delay_alu instid0(SALU_CYCLE_1)
	s_or_b32 exec_lo, exec_lo, s9
.LBB39_207:
	s_delay_alu instid0(SALU_CYCLE_1)
	s_or_b32 exec_lo, exec_lo, s6
.LBB39_208:
	s_delay_alu instid0(SALU_CYCLE_1)
	s_or_b32 exec_lo, exec_lo, s3
.LBB39_209:
	s_delay_alu instid0(SALU_CYCLE_1) | instskip(SKIP_2) | instid1(VALU_DEP_1)
	s_or_b32 exec_lo, exec_lo, s2
	v_mul_f32_e32 v53, v11, v53
	s_mov_b32 s2, exec_lo
	v_cmpx_nle_f32_e64 0x40a00000, |v53|
	s_cbranch_execz .LBB39_221
; %bb.210:
	v_mov_b32_e32 v52, 6
	s_mov_b32 s3, exec_lo
	v_cmpx_nle_f32_e64 0x40600000, |v53|
	s_cbranch_execz .LBB39_220
; %bb.211:
	v_mov_b32_e32 v52, 5
	;; [unrolled: 5-line block ×5, first 2 shown]
	s_mov_b32 s11, exec_lo
	v_cmpx_nle_f32_e64 0x3f400000, |v53|
; %bb.215:
	v_cmp_le_f32_e64 s12, 0x3e800000, |v53|
	s_delay_alu instid0(VALU_DEP_1)
	v_cndmask_b32_e64 v52, 0, 1, s12
; %bb.216:
	s_or_b32 exec_lo, exec_lo, s11
.LBB39_217:
	s_delay_alu instid0(SALU_CYCLE_1)
	s_or_b32 exec_lo, exec_lo, s10
.LBB39_218:
	s_delay_alu instid0(SALU_CYCLE_1)
	s_or_b32 exec_lo, exec_lo, s9
.LBB39_219:
	s_delay_alu instid0(SALU_CYCLE_1)
	s_or_b32 exec_lo, exec_lo, s6
.LBB39_220:
	s_delay_alu instid0(SALU_CYCLE_1)
	s_or_b32 exec_lo, exec_lo, s3
.LBB39_221:
	s_delay_alu instid0(SALU_CYCLE_1) | instskip(SKIP_3) | instid1(VALU_DEP_2)
	s_or_b32 exec_lo, exec_lo, s2
	v_dual_mul_f32 v57, v11, v49 :: v_dual_mov_b32 v56, 7
	v_mov_b32_e32 v49, 7
	s_mov_b32 s2, exec_lo
	v_cmpx_nle_f32_e64 0x40a00000, |v57|
	s_cbranch_execz .LBB39_233
; %bb.222:
	v_mov_b32_e32 v56, 6
	s_mov_b32 s3, exec_lo
	v_cmpx_nle_f32_e64 0x40600000, |v57|
	s_cbranch_execz .LBB39_232
; %bb.223:
	;; [unrolled: 5-line block ×5, first 2 shown]
	v_mov_b32_e32 v56, 2
	s_mov_b32 s11, exec_lo
	v_cmpx_nle_f32_e64 0x3f400000, |v57|
; %bb.227:
	v_cmp_le_f32_e64 s12, 0x3e800000, |v57|
	s_delay_alu instid0(VALU_DEP_1)
	v_cndmask_b32_e64 v56, 0, 1, s12
; %bb.228:
	s_or_b32 exec_lo, exec_lo, s11
.LBB39_229:
	s_delay_alu instid0(SALU_CYCLE_1)
	s_or_b32 exec_lo, exec_lo, s10
.LBB39_230:
	s_delay_alu instid0(SALU_CYCLE_1)
	s_or_b32 exec_lo, exec_lo, s9
.LBB39_231:
	s_delay_alu instid0(SALU_CYCLE_1)
	s_or_b32 exec_lo, exec_lo, s6
.LBB39_232:
	s_delay_alu instid0(SALU_CYCLE_1)
	s_or_b32 exec_lo, exec_lo, s3
.LBB39_233:
	s_delay_alu instid0(SALU_CYCLE_1) | instskip(SKIP_2) | instid1(VALU_DEP_1)
	s_or_b32 exec_lo, exec_lo, s2
	v_mul_f32_e32 v47, v11, v47
	s_mov_b32 s2, exec_lo
	v_cmpx_nle_f32_e64 0x40a00000, |v47|
	s_cbranch_execz .LBB39_245
; %bb.234:
	v_mov_b32_e32 v49, 6
	s_mov_b32 s3, exec_lo
	v_cmpx_nle_f32_e64 0x40600000, |v47|
	s_cbranch_execz .LBB39_244
; %bb.235:
	v_mov_b32_e32 v49, 5
	;; [unrolled: 5-line block ×5, first 2 shown]
	s_mov_b32 s11, exec_lo
	v_cmpx_nle_f32_e64 0x3f400000, |v47|
; %bb.239:
	v_cmp_le_f32_e64 s12, 0x3e800000, |v47|
	s_delay_alu instid0(VALU_DEP_1)
	v_cndmask_b32_e64 v49, 0, 1, s12
; %bb.240:
	s_or_b32 exec_lo, exec_lo, s11
.LBB39_241:
	s_delay_alu instid0(SALU_CYCLE_1)
	s_or_b32 exec_lo, exec_lo, s10
.LBB39_242:
	s_delay_alu instid0(SALU_CYCLE_1)
	s_or_b32 exec_lo, exec_lo, s9
.LBB39_243:
	s_delay_alu instid0(SALU_CYCLE_1)
	s_or_b32 exec_lo, exec_lo, s6
.LBB39_244:
	s_delay_alu instid0(SALU_CYCLE_1)
	s_or_b32 exec_lo, exec_lo, s3
.LBB39_245:
	s_delay_alu instid0(SALU_CYCLE_1) | instskip(SKIP_3) | instid1(VALU_DEP_2)
	s_or_b32 exec_lo, exec_lo, s2
	v_dual_mul_f32 v59, v11, v43 :: v_dual_mov_b32 v58, 7
	v_mov_b32_e32 v43, 7
	s_mov_b32 s2, exec_lo
	v_cmpx_nle_f32_e64 0x40a00000, |v59|
	s_cbranch_execz .LBB39_257
; %bb.246:
	v_mov_b32_e32 v58, 6
	s_mov_b32 s3, exec_lo
	v_cmpx_nle_f32_e64 0x40600000, |v59|
	s_cbranch_execz .LBB39_256
; %bb.247:
	;; [unrolled: 5-line block ×5, first 2 shown]
	v_mov_b32_e32 v58, 2
	s_mov_b32 s11, exec_lo
	v_cmpx_nle_f32_e64 0x3f400000, |v59|
; %bb.251:
	v_cmp_le_f32_e64 s12, 0x3e800000, |v59|
	s_delay_alu instid0(VALU_DEP_1)
	v_cndmask_b32_e64 v58, 0, 1, s12
; %bb.252:
	s_or_b32 exec_lo, exec_lo, s11
.LBB39_253:
	s_delay_alu instid0(SALU_CYCLE_1)
	s_or_b32 exec_lo, exec_lo, s10
.LBB39_254:
	s_delay_alu instid0(SALU_CYCLE_1)
	s_or_b32 exec_lo, exec_lo, s9
.LBB39_255:
	s_delay_alu instid0(SALU_CYCLE_1)
	s_or_b32 exec_lo, exec_lo, s6
.LBB39_256:
	s_delay_alu instid0(SALU_CYCLE_1)
	s_or_b32 exec_lo, exec_lo, s3
.LBB39_257:
	s_delay_alu instid0(SALU_CYCLE_1) | instskip(SKIP_2) | instid1(VALU_DEP_1)
	s_or_b32 exec_lo, exec_lo, s2
	v_mul_f32_e32 v41, v11, v41
	s_mov_b32 s2, exec_lo
	v_cmpx_nle_f32_e64 0x40a00000, |v41|
	s_cbranch_execz .LBB39_269
; %bb.258:
	v_mov_b32_e32 v43, 6
	s_mov_b32 s3, exec_lo
	v_cmpx_nle_f32_e64 0x40600000, |v41|
	s_cbranch_execz .LBB39_268
; %bb.259:
	v_mov_b32_e32 v43, 5
	;; [unrolled: 5-line block ×5, first 2 shown]
	s_mov_b32 s11, exec_lo
	v_cmpx_nle_f32_e64 0x3f400000, |v41|
; %bb.263:
	v_cmp_le_f32_e64 s12, 0x3e800000, |v41|
	s_delay_alu instid0(VALU_DEP_1)
	v_cndmask_b32_e64 v43, 0, 1, s12
; %bb.264:
	s_or_b32 exec_lo, exec_lo, s11
.LBB39_265:
	s_delay_alu instid0(SALU_CYCLE_1)
	s_or_b32 exec_lo, exec_lo, s10
.LBB39_266:
	s_delay_alu instid0(SALU_CYCLE_1)
	s_or_b32 exec_lo, exec_lo, s9
.LBB39_267:
	s_delay_alu instid0(SALU_CYCLE_1)
	s_or_b32 exec_lo, exec_lo, s6
.LBB39_268:
	s_delay_alu instid0(SALU_CYCLE_1)
	s_or_b32 exec_lo, exec_lo, s3
.LBB39_269:
	s_delay_alu instid0(SALU_CYCLE_1) | instskip(SKIP_3) | instid1(VALU_DEP_2)
	s_or_b32 exec_lo, exec_lo, s2
	v_dual_mul_f32 v60, v11, v39 :: v_dual_mov_b32 v39, 7
	v_mov_b32_e32 v61, 7
	s_mov_b32 s2, exec_lo
	v_cmpx_nle_f32_e64 0x40a00000, |v60|
	s_cbranch_execz .LBB39_281
; %bb.270:
	v_mov_b32_e32 v61, 6
	s_mov_b32 s3, exec_lo
	v_cmpx_nle_f32_e64 0x40600000, |v60|
	s_cbranch_execz .LBB39_280
; %bb.271:
	;; [unrolled: 5-line block ×5, first 2 shown]
	v_mov_b32_e32 v61, 2
	s_mov_b32 s11, exec_lo
	v_cmpx_nle_f32_e64 0x3f400000, |v60|
; %bb.275:
	v_cmp_le_f32_e64 s12, 0x3e800000, |v60|
	s_delay_alu instid0(VALU_DEP_1)
	v_cndmask_b32_e64 v61, 0, 1, s12
; %bb.276:
	s_or_b32 exec_lo, exec_lo, s11
.LBB39_277:
	s_delay_alu instid0(SALU_CYCLE_1)
	s_or_b32 exec_lo, exec_lo, s10
.LBB39_278:
	s_delay_alu instid0(SALU_CYCLE_1)
	s_or_b32 exec_lo, exec_lo, s9
.LBB39_279:
	s_delay_alu instid0(SALU_CYCLE_1)
	s_or_b32 exec_lo, exec_lo, s6
.LBB39_280:
	s_delay_alu instid0(SALU_CYCLE_1)
	s_or_b32 exec_lo, exec_lo, s3
.LBB39_281:
	s_delay_alu instid0(SALU_CYCLE_1) | instskip(SKIP_2) | instid1(VALU_DEP_1)
	s_or_b32 exec_lo, exec_lo, s2
	v_mul_f32_e32 v35, v11, v35
	s_mov_b32 s2, exec_lo
	v_cmpx_nle_f32_e64 0x40a00000, |v35|
	s_cbranch_execz .LBB39_293
; %bb.282:
	v_mov_b32_e32 v39, 6
	s_mov_b32 s3, exec_lo
	v_cmpx_nle_f32_e64 0x40600000, |v35|
	s_cbranch_execz .LBB39_292
; %bb.283:
	v_mov_b32_e32 v39, 5
	;; [unrolled: 5-line block ×5, first 2 shown]
	s_mov_b32 s11, exec_lo
	v_cmpx_nle_f32_e64 0x3f400000, |v35|
; %bb.287:
	v_cmp_le_f32_e64 s12, 0x3e800000, |v35|
	s_delay_alu instid0(VALU_DEP_1)
	v_cndmask_b32_e64 v39, 0, 1, s12
; %bb.288:
	s_or_b32 exec_lo, exec_lo, s11
.LBB39_289:
	s_delay_alu instid0(SALU_CYCLE_1)
	s_or_b32 exec_lo, exec_lo, s10
.LBB39_290:
	s_delay_alu instid0(SALU_CYCLE_1)
	s_or_b32 exec_lo, exec_lo, s9
.LBB39_291:
	s_delay_alu instid0(SALU_CYCLE_1)
	s_or_b32 exec_lo, exec_lo, s6
.LBB39_292:
	s_delay_alu instid0(SALU_CYCLE_1)
	s_or_b32 exec_lo, exec_lo, s3
.LBB39_293:
	s_delay_alu instid0(SALU_CYCLE_1) | instskip(SKIP_3) | instid1(VALU_DEP_2)
	s_or_b32 exec_lo, exec_lo, s2
	v_dual_mul_f32 v63, v11, v33 :: v_dual_mov_b32 v62, 7
	v_mov_b32_e32 v33, 7
	s_mov_b32 s2, exec_lo
	v_cmpx_nle_f32_e64 0x40a00000, |v63|
	s_cbranch_execz .LBB39_305
; %bb.294:
	v_mov_b32_e32 v62, 6
	s_mov_b32 s3, exec_lo
	v_cmpx_nle_f32_e64 0x40600000, |v63|
	s_cbranch_execz .LBB39_304
; %bb.295:
	v_mov_b32_e32 v62, 5
	s_mov_b32 s6, exec_lo
	v_cmpx_nle_f32_e64 0x40200000, |v63|
	s_cbranch_execz .LBB39_303
; %bb.296:
	v_mov_b32_e32 v62, 4
	s_mov_b32 s9, exec_lo
	v_cmpx_nle_f32_e64 0x3fe00000, |v63|
	s_cbranch_execz .LBB39_302
; %bb.297:
	v_mov_b32_e32 v62, 3
	s_mov_b32 s10, exec_lo
	v_cmpx_nle_f32_e64 0x3fa00000, |v63|
	s_cbranch_execz .LBB39_301
; %bb.298:
	v_mov_b32_e32 v62, 2
	s_mov_b32 s11, exec_lo
	v_cmpx_nle_f32_e64 0x3f400000, |v63|
; %bb.299:
	v_cmp_le_f32_e64 s12, 0x3e800000, |v63|
	s_delay_alu instid0(VALU_DEP_1)
	v_cndmask_b32_e64 v62, 0, 1, s12
; %bb.300:
	s_or_b32 exec_lo, exec_lo, s11
.LBB39_301:
	s_delay_alu instid0(SALU_CYCLE_1)
	s_or_b32 exec_lo, exec_lo, s10
.LBB39_302:
	s_delay_alu instid0(SALU_CYCLE_1)
	s_or_b32 exec_lo, exec_lo, s9
.LBB39_303:
	s_delay_alu instid0(SALU_CYCLE_1)
	s_or_b32 exec_lo, exec_lo, s6
.LBB39_304:
	s_delay_alu instid0(SALU_CYCLE_1)
	s_or_b32 exec_lo, exec_lo, s3
.LBB39_305:
	s_delay_alu instid0(SALU_CYCLE_1) | instskip(SKIP_2) | instid1(VALU_DEP_1)
	s_or_b32 exec_lo, exec_lo, s2
	v_mul_f32_e32 v29, v11, v29
	s_mov_b32 s2, exec_lo
	v_cmpx_nle_f32_e64 0x40a00000, |v29|
	s_cbranch_execz .LBB39_317
; %bb.306:
	v_mov_b32_e32 v33, 6
	s_mov_b32 s3, exec_lo
	v_cmpx_nle_f32_e64 0x40600000, |v29|
	s_cbranch_execz .LBB39_316
; %bb.307:
	v_mov_b32_e32 v33, 5
	;; [unrolled: 5-line block ×5, first 2 shown]
	s_mov_b32 s11, exec_lo
	v_cmpx_nle_f32_e64 0x3f400000, |v29|
; %bb.311:
	v_cmp_le_f32_e64 s12, 0x3e800000, |v29|
	s_delay_alu instid0(VALU_DEP_1)
	v_cndmask_b32_e64 v33, 0, 1, s12
; %bb.312:
	s_or_b32 exec_lo, exec_lo, s11
.LBB39_313:
	s_delay_alu instid0(SALU_CYCLE_1)
	s_or_b32 exec_lo, exec_lo, s10
.LBB39_314:
	s_delay_alu instid0(SALU_CYCLE_1)
	s_or_b32 exec_lo, exec_lo, s9
.LBB39_315:
	s_delay_alu instid0(SALU_CYCLE_1)
	s_or_b32 exec_lo, exec_lo, s6
.LBB39_316:
	s_delay_alu instid0(SALU_CYCLE_1)
	s_or_b32 exec_lo, exec_lo, s3
.LBB39_317:
	s_delay_alu instid0(SALU_CYCLE_1) | instskip(SKIP_3) | instid1(VALU_DEP_2)
	s_or_b32 exec_lo, exec_lo, s2
	v_dual_mul_f32 v65, v11, v27 :: v_dual_mov_b32 v64, 7
	v_mov_b32_e32 v27, 7
	s_mov_b32 s2, exec_lo
	v_cmpx_nle_f32_e64 0x40a00000, |v65|
	s_cbranch_execz .LBB39_329
; %bb.318:
	v_mov_b32_e32 v64, 6
	s_mov_b32 s3, exec_lo
	v_cmpx_nle_f32_e64 0x40600000, |v65|
	s_cbranch_execz .LBB39_328
; %bb.319:
	;; [unrolled: 5-line block ×5, first 2 shown]
	v_mov_b32_e32 v64, 2
	s_mov_b32 s11, exec_lo
	v_cmpx_nle_f32_e64 0x3f400000, |v65|
; %bb.323:
	v_cmp_le_f32_e64 s12, 0x3e800000, |v65|
	s_delay_alu instid0(VALU_DEP_1)
	v_cndmask_b32_e64 v64, 0, 1, s12
; %bb.324:
	s_or_b32 exec_lo, exec_lo, s11
.LBB39_325:
	s_delay_alu instid0(SALU_CYCLE_1)
	s_or_b32 exec_lo, exec_lo, s10
.LBB39_326:
	s_delay_alu instid0(SALU_CYCLE_1)
	s_or_b32 exec_lo, exec_lo, s9
.LBB39_327:
	s_delay_alu instid0(SALU_CYCLE_1)
	s_or_b32 exec_lo, exec_lo, s6
.LBB39_328:
	s_delay_alu instid0(SALU_CYCLE_1)
	s_or_b32 exec_lo, exec_lo, s3
.LBB39_329:
	s_delay_alu instid0(SALU_CYCLE_1) | instskip(SKIP_2) | instid1(VALU_DEP_1)
	s_or_b32 exec_lo, exec_lo, s2
	v_mul_f32_e32 v22, v11, v22
	s_mov_b32 s2, exec_lo
	v_cmpx_nle_f32_e64 0x40a00000, |v22|
	s_cbranch_execz .LBB39_341
; %bb.330:
	v_mov_b32_e32 v27, 6
	s_mov_b32 s3, exec_lo
	v_cmpx_nle_f32_e64 0x40600000, |v22|
	s_cbranch_execz .LBB39_340
; %bb.331:
	v_mov_b32_e32 v27, 5
	;; [unrolled: 5-line block ×5, first 2 shown]
	s_mov_b32 s11, exec_lo
	v_cmpx_nle_f32_e64 0x3f400000, |v22|
; %bb.335:
	v_cmp_le_f32_e64 s12, 0x3e800000, |v22|
	s_delay_alu instid0(VALU_DEP_1)
	v_cndmask_b32_e64 v27, 0, 1, s12
; %bb.336:
	s_or_b32 exec_lo, exec_lo, s11
.LBB39_337:
	s_delay_alu instid0(SALU_CYCLE_1)
	s_or_b32 exec_lo, exec_lo, s10
.LBB39_338:
	s_delay_alu instid0(SALU_CYCLE_1)
	s_or_b32 exec_lo, exec_lo, s9
.LBB39_339:
	s_delay_alu instid0(SALU_CYCLE_1)
	s_or_b32 exec_lo, exec_lo, s6
.LBB39_340:
	s_delay_alu instid0(SALU_CYCLE_1)
	s_or_b32 exec_lo, exec_lo, s3
.LBB39_341:
	s_delay_alu instid0(SALU_CYCLE_1) | instskip(SKIP_3) | instid1(VALU_DEP_2)
	s_or_b32 exec_lo, exec_lo, s2
	v_dual_mul_f32 v67, v11, v20 :: v_dual_mov_b32 v20, 7
	v_mov_b32_e32 v66, 7
	s_mov_b32 s2, exec_lo
	v_cmpx_nle_f32_e64 0x40a00000, |v67|
	s_cbranch_execz .LBB39_353
; %bb.342:
	v_mov_b32_e32 v66, 6
	s_mov_b32 s3, exec_lo
	v_cmpx_nle_f32_e64 0x40600000, |v67|
	s_cbranch_execz .LBB39_352
; %bb.343:
	;; [unrolled: 5-line block ×5, first 2 shown]
	v_mov_b32_e32 v66, 2
	s_mov_b32 s11, exec_lo
	v_cmpx_nle_f32_e64 0x3f400000, |v67|
; %bb.347:
	v_cmp_le_f32_e64 s12, 0x3e800000, |v67|
	s_delay_alu instid0(VALU_DEP_1)
	v_cndmask_b32_e64 v66, 0, 1, s12
; %bb.348:
	s_or_b32 exec_lo, exec_lo, s11
.LBB39_349:
	s_delay_alu instid0(SALU_CYCLE_1)
	s_or_b32 exec_lo, exec_lo, s10
.LBB39_350:
	s_delay_alu instid0(SALU_CYCLE_1)
	s_or_b32 exec_lo, exec_lo, s9
.LBB39_351:
	s_delay_alu instid0(SALU_CYCLE_1)
	s_or_b32 exec_lo, exec_lo, s6
.LBB39_352:
	s_delay_alu instid0(SALU_CYCLE_1)
	s_or_b32 exec_lo, exec_lo, s3
.LBB39_353:
	s_delay_alu instid0(SALU_CYCLE_1) | instskip(SKIP_2) | instid1(VALU_DEP_1)
	s_or_b32 exec_lo, exec_lo, s2
	v_mul_f32_e32 v16, v11, v16
	s_mov_b32 s2, exec_lo
	v_cmpx_nle_f32_e64 0x40a00000, |v16|
	s_cbranch_execz .LBB39_365
; %bb.354:
	v_mov_b32_e32 v20, 6
	s_mov_b32 s3, exec_lo
	v_cmpx_nle_f32_e64 0x40600000, |v16|
	s_cbranch_execz .LBB39_364
; %bb.355:
	v_mov_b32_e32 v20, 5
	;; [unrolled: 5-line block ×5, first 2 shown]
	s_mov_b32 s11, exec_lo
	v_cmpx_nle_f32_e64 0x3f400000, |v16|
; %bb.359:
	v_cmp_le_f32_e64 s12, 0x3e800000, |v16|
	s_delay_alu instid0(VALU_DEP_1)
	v_cndmask_b32_e64 v20, 0, 1, s12
; %bb.360:
	s_or_b32 exec_lo, exec_lo, s11
.LBB39_361:
	s_delay_alu instid0(SALU_CYCLE_1)
	s_or_b32 exec_lo, exec_lo, s10
.LBB39_362:
	s_delay_alu instid0(SALU_CYCLE_1)
	s_or_b32 exec_lo, exec_lo, s9
.LBB39_363:
	s_delay_alu instid0(SALU_CYCLE_1)
	s_or_b32 exec_lo, exec_lo, s6
.LBB39_364:
	s_delay_alu instid0(SALU_CYCLE_1)
	s_or_b32 exec_lo, exec_lo, s3
.LBB39_365:
	s_delay_alu instid0(SALU_CYCLE_1) | instskip(SKIP_3) | instid1(VALU_DEP_2)
	s_or_b32 exec_lo, exec_lo, s2
	v_dual_mul_f32 v69, v11, v14 :: v_dual_mov_b32 v14, 7
	v_mov_b32_e32 v68, 7
	s_mov_b32 s2, exec_lo
	v_cmpx_nle_f32_e64 0x40a00000, |v69|
	s_cbranch_execz .LBB39_377
; %bb.366:
	v_mov_b32_e32 v68, 6
	s_mov_b32 s3, exec_lo
	v_cmpx_nle_f32_e64 0x40600000, |v69|
	s_cbranch_execz .LBB39_376
; %bb.367:
	;; [unrolled: 5-line block ×5, first 2 shown]
	v_mov_b32_e32 v68, 2
	s_mov_b32 s11, exec_lo
	v_cmpx_nle_f32_e64 0x3f400000, |v69|
; %bb.371:
	v_cmp_le_f32_e64 s12, 0x3e800000, |v69|
	s_delay_alu instid0(VALU_DEP_1)
	v_cndmask_b32_e64 v68, 0, 1, s12
; %bb.372:
	s_or_b32 exec_lo, exec_lo, s11
.LBB39_373:
	s_delay_alu instid0(SALU_CYCLE_1)
	s_or_b32 exec_lo, exec_lo, s10
.LBB39_374:
	s_delay_alu instid0(SALU_CYCLE_1)
	s_or_b32 exec_lo, exec_lo, s9
.LBB39_375:
	s_delay_alu instid0(SALU_CYCLE_1)
	s_or_b32 exec_lo, exec_lo, s6
.LBB39_376:
	s_delay_alu instid0(SALU_CYCLE_1)
	s_or_b32 exec_lo, exec_lo, s3
.LBB39_377:
	s_delay_alu instid0(SALU_CYCLE_1) | instskip(SKIP_3) | instid1(VALU_DEP_1)
	s_or_b32 exec_lo, exec_lo, s2
	s_load_b64 s[2:3], s[0:1], 0x8
	v_mul_f32_e32 v9, v11, v9
	s_mov_b32 s6, exec_lo
	v_cmpx_nle_f32_e64 0x40a00000, |v9|
	s_cbranch_execz .LBB39_389
; %bb.378:
	v_mov_b32_e32 v14, 6
	s_mov_b32 s9, exec_lo
	v_cmpx_nle_f32_e64 0x40600000, |v9|
	s_cbranch_execz .LBB39_388
; %bb.379:
	v_mov_b32_e32 v14, 5
	;; [unrolled: 5-line block ×5, first 2 shown]
	s_mov_b32 s13, exec_lo
	v_cmpx_nle_f32_e64 0x3f400000, |v9|
; %bb.383:
	v_cmp_le_f32_e64 s14, 0x3e800000, |v9|
	s_delay_alu instid0(VALU_DEP_1)
	v_cndmask_b32_e64 v14, 0, 1, s14
; %bb.384:
	s_or_b32 exec_lo, exec_lo, s13
.LBB39_385:
	s_delay_alu instid0(SALU_CYCLE_1)
	s_or_b32 exec_lo, exec_lo, s12
.LBB39_386:
	s_delay_alu instid0(SALU_CYCLE_1)
	s_or_b32 exec_lo, exec_lo, s11
.LBB39_387:
	s_delay_alu instid0(SALU_CYCLE_1)
	s_or_b32 exec_lo, exec_lo, s10
.LBB39_388:
	s_delay_alu instid0(SALU_CYCLE_1)
	s_or_b32 exec_lo, exec_lo, s9
.LBB39_389:
	s_delay_alu instid0(SALU_CYCLE_1)
	s_or_b32 exec_lo, exec_lo, s6
	v_cmp_gt_f32_e32 vcc_lo, 0, v69
	v_lshlrev_b16 v7, 4, v7
	v_lshlrev_b16 v10, 4, v10
	;; [unrolled: 1-line block ×4, first 2 shown]
	v_cndmask_b32_e64 v11, 0, 1, vcc_lo
	v_cmp_gt_f32_e32 vcc_lo, 0, v67
	s_lshr_b32 s6, s4, 31
	s_load_b64 s[0:1], s[0:1], 0x10
	s_add_i32 s4, s4, s6
	v_lshlrev_b16 v11, 3, v11
	v_cndmask_b32_e64 v67, 0, 1, vcc_lo
	v_cmp_gt_f32_e32 vcc_lo, 0, v65
	s_ashr_i32 s4, s4, 1
	s_delay_alu instid0(SALU_CYCLE_1) | instskip(NEXT) | instid1(VALU_DEP_2)
	s_ashr_i32 s6, s4, 31
	v_lshlrev_b16 v67, 3, v67
	v_cndmask_b32_e64 v65, 0, 1, vcc_lo
	v_cmp_gt_f32_e32 vcc_lo, 0, v63
	v_or_b32_e32 v11, v11, v68
	v_mul_lo_u32 v1, v1, s4
	v_or_b32_e32 v66, v67, v66
	v_lshlrev_b16 v65, 3, v65
	v_cndmask_b32_e64 v63, 0, 1, vcc_lo
	v_cmp_gt_f32_e32 vcc_lo, 0, v60
	s_delay_alu instid0(VALU_DEP_3) | instskip(NEXT) | instid1(VALU_DEP_3)
	v_or_b32_e32 v64, v65, v64
	v_lshlrev_b16 v63, 3, v63
	v_cndmask_b32_e64 v60, 0, 1, vcc_lo
	v_cmp_gt_f32_e32 vcc_lo, 0, v59
	s_delay_alu instid0(VALU_DEP_3) | instskip(NEXT) | instid1(VALU_DEP_3)
	;; [unrolled: 5-line block ×11, first 2 shown]
	v_or_b32_e32 v12, v12, v13
	v_lshlrev_b16 v25, 3, v25
	v_cndmask_b32_e64 v19, 0, 1, vcc_lo
	v_cmp_gt_f32_e32 vcc_lo, 0, v6
	s_delay_alu instid0(VALU_DEP_2) | instskip(SKIP_2) | instid1(VALU_DEP_2)
	v_lshlrev_b16 v19, 3, v19
	v_cndmask_b32_e64 v6, 0, 1, vcc_lo
	v_cmp_gt_f32_e32 vcc_lo, 0, v8
	v_lshlrev_b16 v6, 3, v6
	v_cndmask_b32_e64 v8, 0, 1, vcc_lo
	v_cmp_gt_f32_e32 vcc_lo, 0, v15
	s_delay_alu instid0(VALU_DEP_3) | instskip(NEXT) | instid1(VALU_DEP_3)
	v_or_b32_e32 v5, v6, v5
	v_lshlrev_b16 v8, 7, v8
	v_cndmask_b32_e64 v13, 0, 1, vcc_lo
	v_cmp_gt_f32_e32 vcc_lo, 0, v21
	s_delay_alu instid0(VALU_DEP_3) | instskip(NEXT) | instid1(VALU_DEP_3)
	v_or_b32_e32 v6, v8, v7
	v_lshlrev_b16 v13, 7, v13
	v_cndmask_b32_e64 v15, 0, 1, vcc_lo
	v_lshlrev_b16 v8, 4, v18
	v_cmp_gt_f32_e32 vcc_lo, 0, v26
	v_or_b32_e32 v5, v6, v5
	v_or_b32_e32 v7, v13, v10
	v_lshlrev_b16 v10, 7, v15
	v_or_b32_e32 v15, v19, v17
	v_lshlrev_b16 v18, 4, v28
	v_lshlrev_b16 v19, 4, v34
	v_or_b32_e32 v6, v7, v12
	v_or_b32_e32 v7, v10, v8
	v_cndmask_b32_e64 v10, 0, 1, vcc_lo
	v_cmp_gt_f32_e32 vcc_lo, 0, v32
	v_lshlrev_b16 v8, 4, v23
	v_or_b32_e32 v13, v25, v24
	v_or_b32_e32 v7, v7, v15
	v_lshlrev_b16 v10, 7, v10
	v_cndmask_b32_e64 v12, 0, 1, vcc_lo
	v_cmp_gt_f32_e32 vcc_lo, 0, v38
	v_lshlrev_b16 v23, 4, v49
	v_lshlrev_b16 v24, 4, v43
	v_or_b32_e32 v8, v10, v8
	v_lshlrev_b16 v12, 7, v12
	v_cndmask_b32_e64 v17, 0, 1, vcc_lo
	v_cmp_gt_f32_e32 vcc_lo, 0, v42
	v_lshlrev_b16 v25, 4, v46
	v_or_b32_e32 v13, v8, v13
	v_or_b32_e32 v10, v12, v18
	v_lshlrev_b16 v17, 7, v17
	v_cndmask_b32_e64 v21, 0, 1, vcc_lo
	v_cmp_gt_f32_e32 vcc_lo, 0, v48
	v_lshlrev_b16 v6, 8, v6
	v_or_b32_e32 v10, v10, v30
	v_or_b32_e32 v12, v17, v19
	v_lshlrev_b16 v17, 4, v40
	v_lshlrev_b16 v18, 7, v21
	v_cndmask_b32_e64 v15, 0, 1, vcc_lo
	v_cmp_gt_f32_e32 vcc_lo, 0, v53
	v_or_b32_e32 v12, v12, v36
	v_lshlrev_b16 v13, 8, v13
	v_or_b32_e32 v8, v18, v17
	v_lshlrev_b16 v17, 4, v52
	v_cndmask_b32_e64 v18, 0, 1, vcc_lo
	v_cmp_gt_f32_e32 vcc_lo, 0, v47
	v_lshlrev_b16 v15, 7, v15
	v_or_b32_e32 v5, v5, v6
	v_or_b32_e32 v6, v7, v13
	v_lshlrev_b16 v18, 7, v18
	v_cndmask_b32_e64 v19, 0, 1, vcc_lo
	v_cmp_gt_f32_e32 vcc_lo, 0, v41
	v_mul_lo_u32 v13, v0, s6
	v_and_b32_e32 v5, 0xffff, v5
	v_or_b32_e32 v17, v18, v17
	v_lshlrev_b16 v19, 7, v19
	v_cndmask_b32_e64 v21, 0, 1, vcc_lo
	v_cmp_gt_f32_e32 vcc_lo, 0, v22
	s_delay_alu instid0(VALU_DEP_3) | instskip(NEXT) | instid1(VALU_DEP_3)
	v_or_b32_e32 v18, v19, v23
	v_lshlrev_b16 v21, 7, v21
	v_cndmask_b32_e64 v22, 0, 1, vcc_lo
	v_cmp_gt_f32_e32 vcc_lo, 0, v29
	v_lshlrev_b16 v23, 4, v33
	s_delay_alu instid0(VALU_DEP_4)
	v_or_b32_e32 v19, v21, v24
	v_or_b32_e32 v21, v8, v44
	v_cndmask_b32_e64 v24, 0, 1, vcc_lo
	v_cmp_gt_f32_e32 vcc_lo, 0, v9
	v_or_b32_e32 v8, v15, v25
	v_lshlrev_b16 v25, 4, v27
	v_lshlrev_b16 v22, 7, v22
	;; [unrolled: 1-line block ×3, first 2 shown]
	v_cndmask_b32_e64 v9, 0, 1, vcc_lo
	v_cmp_gt_f32_e32 vcc_lo, 0, v16
	v_or_b32_e32 v15, v17, v54
	v_or_b32_e32 v22, v22, v25
	;; [unrolled: 1-line block ×3, first 2 shown]
	v_lshlrev_b16 v9, 7, v9
	v_cndmask_b32_e64 v16, 0, 1, vcc_lo
	v_cmp_gt_f32_e32 vcc_lo, 0, v35
	v_or_b32_e32 v18, v19, v58
	v_lshlrev_b16 v19, 4, v39
	v_or_b32_e32 v9, v9, v14
	v_lshlrev_b16 v16, 7, v16
	v_cndmask_b32_e64 v14, 0, 1, vcc_lo
	v_or_b32_e32 v23, v24, v23
	s_delay_alu instid0(VALU_DEP_4) | instskip(NEXT) | instid1(VALU_DEP_4)
	v_or_b32_e32 v9, v9, v11
	v_or_b32_e32 v16, v16, v20
	;; [unrolled: 1-line block ×3, first 2 shown]
	v_lshlrev_b16 v11, 7, v14
	v_or_b32_e32 v14, v23, v62
	v_lshlrev_b16 v9, 8, v9
	v_or_b32_e32 v16, v16, v66
	;; [unrolled: 2-line block ×3, first 2 shown]
	s_delay_alu instid0(VALU_DEP_3) | instskip(NEXT) | instid1(VALU_DEP_3)
	v_or_b32_e32 v9, v16, v9
	v_or_b32_e32 v14, v14, v20
	s_delay_alu instid0(VALU_DEP_3) | instskip(SKIP_1) | instid1(VALU_DEP_4)
	v_or_b32_e32 v11, v11, v60
	v_lshlrev_b16 v16, 8, v17
	v_lshlrev_b32_e32 v9, 16, v9
	s_delay_alu instid0(VALU_DEP_4) | instskip(NEXT) | instid1(VALU_DEP_4)
	v_and_b32_e32 v14, 0xffff, v14
	v_lshlrev_b16 v11, 8, v11
	s_delay_alu instid0(VALU_DEP_4) | instskip(SKIP_1) | instid1(VALU_DEP_4)
	v_or_b32_e32 v15, v15, v16
	v_or_b32_e32 v16, v8, v50
	;; [unrolled: 1-line block ×3, first 2 shown]
	s_delay_alu instid0(VALU_DEP_4) | instskip(SKIP_1) | instid1(VALU_DEP_4)
	v_or_b32_e32 v9, v18, v11
	v_lshlrev_b16 v11, 8, v12
	v_lshlrev_b16 v12, 8, v16
	v_and_b32_e32 v14, 0xffff, v15
	v_lshlrev_b32_e32 v16, 16, v6
	v_lshlrev_b32_e32 v15, 16, v9
	v_or_b32_e32 v11, v10, v11
	s_waitcnt lgkmcnt(0)
	v_mad_u64_u32 v[9:10], null, v0, s4, s[2:3]
	v_or_b32_e32 v12, v21, v12
	v_or_b32_e32 v7, v14, v15
	v_lshlrev_b32_e32 v14, 4, v4
	v_and_b32_e32 v11, 0xffff, v11
	v_or_b32_e32 v5, v5, v16
	v_lshlrev_b32_e32 v12, 16, v12
	v_add3_u32 v1, v1, v10, v13
	v_add_co_u32 v9, vcc_lo, v9, v14
	s_and_b32 s2, s7, 1
	s_delay_alu instid0(VALU_DEP_3) | instskip(NEXT) | instid1(VALU_DEP_3)
	v_or_b32_e32 v6, v11, v12
	v_add_co_ci_u32_e32 v10, vcc_lo, 0, v1, vcc_lo
	s_cmp_eq_u32 s2, 0
	s_mov_b32 s2, 0
	global_store_b128 v[9:10], v[5:8], off
	s_cbranch_scc0 .LBB39_391
; %bb.390:
	v_ashrrev_i32_e32 v1, 31, v0
	s_delay_alu instid0(VALU_DEP_1) | instskip(NEXT) | instid1(VALU_DEP_1)
	v_lshrrev_b32_e32 v1, 27, v1
	v_add_nc_u32_e32 v1, v0, v1
	s_delay_alu instid0(VALU_DEP_1) | instskip(NEXT) | instid1(VALU_DEP_1)
	v_and_b32_e32 v5, 0xffe0, v1
	v_sub_nc_u32_e32 v5, v0, v5
	s_delay_alu instid0(VALU_DEP_1) | instskip(NEXT) | instid1(VALU_DEP_1)
	v_bfe_i32 v6, v5, 0, 8
	v_lshrrev_b16 v6, 11, v6
	s_delay_alu instid0(VALU_DEP_1) | instskip(NEXT) | instid1(VALU_DEP_1)
	v_and_b32_e32 v6, 15, v6
	v_add_nc_u16 v5, v5, v6
	s_delay_alu instid0(VALU_DEP_1) | instskip(NEXT) | instid1(VALU_DEP_1)
	v_bfe_i32 v5, v5, 0, 8
	v_ashrrev_i16 v6, 4, v5
	v_ashrrev_i32_e32 v5, 5, v1
	s_delay_alu instid0(VALU_DEP_2)
	v_bfe_i32 v1, v6, 0, 16
	s_and_not1_b32 vcc_lo, exec_lo, s2
	s_cbranch_vccz .LBB39_392
	s_branch .LBB39_393
.LBB39_391:
                                        ; implicit-def: $vgpr5
                                        ; implicit-def: $vgpr1
.LBB39_392:
	s_lshr_b32 s2, s8, 31
	v_sub_nc_u32_e32 v6, 0, v0
	s_add_i32 s2, s8, s2
	s_delay_alu instid0(SALU_CYCLE_1) | instskip(NEXT) | instid1(VALU_DEP_1)
	s_ashr_i32 s2, s2, 1
	v_max_i32_e32 v6, v0, v6
	s_abs_i32 s3, s2
	s_delay_alu instid0(SALU_CYCLE_1) | instskip(SKIP_1) | instid1(VALU_DEP_1)
	v_cvt_f32_u32_e32 v1, s3
	s_sub_i32 s4, 0, s3
	v_rcp_iflag_f32_e32 v1, v1
	s_waitcnt_depctr 0xfff
	v_mul_f32_e32 v1, 0x4f7ffffe, v1
	s_delay_alu instid0(VALU_DEP_1) | instskip(NEXT) | instid1(VALU_DEP_1)
	v_cvt_u32_f32_e32 v1, v1
	v_mul_lo_u32 v5, s4, v1
	s_delay_alu instid0(VALU_DEP_1) | instskip(NEXT) | instid1(VALU_DEP_1)
	v_mul_hi_u32 v5, v1, v5
	v_add_nc_u32_e32 v1, v1, v5
	s_delay_alu instid0(VALU_DEP_1) | instskip(NEXT) | instid1(VALU_DEP_1)
	v_mul_hi_u32 v1, v6, v1
	v_mul_lo_u32 v5, v1, s3
	s_delay_alu instid0(VALU_DEP_1) | instskip(NEXT) | instid1(VALU_DEP_1)
	v_sub_nc_u32_e32 v5, v6, v5
	v_subrev_nc_u32_e32 v7, s3, v5
	v_cmp_le_u32_e32 vcc_lo, s3, v5
	s_delay_alu instid0(VALU_DEP_2) | instskip(NEXT) | instid1(VALU_DEP_1)
	v_dual_cndmask_b32 v5, v5, v7 :: v_dual_add_nc_u32 v6, 1, v1
	v_cndmask_b32_e32 v1, v1, v6, vcc_lo
	v_xor_b32_e32 v6, s2, v0
	s_delay_alu instid0(VALU_DEP_3) | instskip(NEXT) | instid1(VALU_DEP_3)
	v_cmp_le_u32_e32 vcc_lo, s3, v5
	v_add_nc_u32_e32 v7, 1, v1
	s_delay_alu instid0(VALU_DEP_3) | instskip(NEXT) | instid1(VALU_DEP_2)
	v_ashrrev_i32_e32 v6, 31, v6
	v_cndmask_b32_e32 v1, v1, v7, vcc_lo
	s_delay_alu instid0(VALU_DEP_1) | instskip(NEXT) | instid1(VALU_DEP_1)
	v_xor_b32_e32 v1, v1, v6
	v_sub_nc_u32_e32 v1, v1, v6
	s_delay_alu instid0(VALU_DEP_1) | instskip(NEXT) | instid1(VALU_DEP_1)
	v_mul_lo_u32 v5, v1, s2
	v_sub_nc_u32_e32 v0, v0, v5
	s_delay_alu instid0(VALU_DEP_1) | instskip(NEXT) | instid1(VALU_DEP_1)
	v_ashrrev_i32_e32 v5, 31, v0
	v_lshrrev_b32_e32 v5, 28, v5
	s_delay_alu instid0(VALU_DEP_1) | instskip(NEXT) | instid1(VALU_DEP_1)
	v_add_nc_u32_e32 v5, v0, v5
	v_ashrrev_i32_e32 v5, 4, v5
.LBB39_393:
	v_ashrrev_i32_e32 v6, 31, v0
	v_lshlrev_b32_e32 v7, 6, v4
	v_lshrrev_b32_e32 v4, 1, v4
	v_and_b32_e32 v2, 0x7fffff00, v2
	s_lshl_b32 s2, s5, 5
	v_lshrrev_b32_e32 v6, 28, v6
	v_and_b32_e32 v7, 0xc0, v7
	v_and_b32_e32 v4, 2, v4
	s_and_b32 s2, s2, 0x7fffff00
	s_delay_alu instid0(VALU_DEP_3) | instskip(NEXT) | instid1(VALU_DEP_2)
	v_add_nc_u32_e32 v6, v0, v6
	v_or3_b32 v2, v7, v2, v4
	v_mul_lo_u32 v4, v5, s2
	s_delay_alu instid0(VALU_DEP_3) | instskip(NEXT) | instid1(VALU_DEP_3)
	v_and_b32_e32 v6, 0x3ffffff0, v6
	v_add_nc_u32_e32 v1, v2, v1
	v_lshrrev_b32_e32 v2, 23, v3
	s_delay_alu instid0(VALU_DEP_3) | instskip(NEXT) | instid1(VALU_DEP_1)
	v_sub_nc_u32_e32 v0, v0, v6
	v_lshlrev_b32_e32 v0, 2, v0
	s_delay_alu instid0(VALU_DEP_1) | instskip(NEXT) | instid1(VALU_DEP_1)
	v_add3_u32 v0, v1, v0, v4
	v_ashrrev_i32_e32 v1, 31, v0
	v_add_co_u32 v0, vcc_lo, s0, v0
	s_delay_alu instid0(VALU_DEP_2)
	v_add_co_ci_u32_e32 v1, vcc_lo, s1, v1, vcc_lo
	global_store_b8 v[0:1], v2, off
.LBB39_394:
	s_nop 0
	s_sendmsg sendmsg(MSG_DEALLOC_VGPRS)
	s_endpgm
	.section	.rodata,"a",@progbits
	.p2align	6, 0x0
	.amdhsa_kernel _ZN5aiter18quant_mxfp4_kernelI12hip_bfloat16LNS_16MxScaleRoundModeE3ELb0ELb1ELb0EEEvPKT_PhPfliiib
		.amdhsa_group_segment_fixed_size 0
		.amdhsa_private_segment_fixed_size 0
		.amdhsa_kernarg_size 304
		.amdhsa_user_sgpr_count 15
		.amdhsa_user_sgpr_dispatch_ptr 0
		.amdhsa_user_sgpr_queue_ptr 0
		.amdhsa_user_sgpr_kernarg_segment_ptr 1
		.amdhsa_user_sgpr_dispatch_id 0
		.amdhsa_user_sgpr_private_segment_size 0
		.amdhsa_wavefront_size32 1
		.amdhsa_uses_dynamic_stack 0
		.amdhsa_enable_private_segment 0
		.amdhsa_system_sgpr_workgroup_id_x 1
		.amdhsa_system_sgpr_workgroup_id_y 0
		.amdhsa_system_sgpr_workgroup_id_z 0
		.amdhsa_system_sgpr_workgroup_info 0
		.amdhsa_system_vgpr_workitem_id 0
		.amdhsa_next_free_vgpr 70
		.amdhsa_next_free_sgpr 16
		.amdhsa_reserve_vcc 1
		.amdhsa_float_round_mode_32 0
		.amdhsa_float_round_mode_16_64 0
		.amdhsa_float_denorm_mode_32 3
		.amdhsa_float_denorm_mode_16_64 3
		.amdhsa_dx10_clamp 1
		.amdhsa_ieee_mode 1
		.amdhsa_fp16_overflow 0
		.amdhsa_workgroup_processor_mode 1
		.amdhsa_memory_ordered 1
		.amdhsa_forward_progress 0
		.amdhsa_shared_vgpr_count 0
		.amdhsa_exception_fp_ieee_invalid_op 0
		.amdhsa_exception_fp_denorm_src 0
		.amdhsa_exception_fp_ieee_div_zero 0
		.amdhsa_exception_fp_ieee_overflow 0
		.amdhsa_exception_fp_ieee_underflow 0
		.amdhsa_exception_fp_ieee_inexact 0
		.amdhsa_exception_int_div_zero 0
	.end_amdhsa_kernel
	.section	.text._ZN5aiter18quant_mxfp4_kernelI12hip_bfloat16LNS_16MxScaleRoundModeE3ELb0ELb1ELb0EEEvPKT_PhPfliiib,"axG",@progbits,_ZN5aiter18quant_mxfp4_kernelI12hip_bfloat16LNS_16MxScaleRoundModeE3ELb0ELb1ELb0EEEvPKT_PhPfliiib,comdat
.Lfunc_end39:
	.size	_ZN5aiter18quant_mxfp4_kernelI12hip_bfloat16LNS_16MxScaleRoundModeE3ELb0ELb1ELb0EEEvPKT_PhPfliiib, .Lfunc_end39-_ZN5aiter18quant_mxfp4_kernelI12hip_bfloat16LNS_16MxScaleRoundModeE3ELb0ELb1ELb0EEEvPKT_PhPfliiib
                                        ; -- End function
	.section	.AMDGPU.csdata,"",@progbits
; Kernel info:
; codeLenInByte = 10396
; NumSgprs: 18
; NumVgprs: 70
; ScratchSize: 0
; MemoryBound: 0
; FloatMode: 240
; IeeeMode: 1
; LDSByteSize: 0 bytes/workgroup (compile time only)
; SGPRBlocks: 2
; VGPRBlocks: 8
; NumSGPRsForWavesPerEU: 18
; NumVGPRsForWavesPerEU: 70
; Occupancy: 16
; WaveLimiterHint : 0
; COMPUTE_PGM_RSRC2:SCRATCH_EN: 0
; COMPUTE_PGM_RSRC2:USER_SGPR: 15
; COMPUTE_PGM_RSRC2:TRAP_HANDLER: 0
; COMPUTE_PGM_RSRC2:TGID_X_EN: 1
; COMPUTE_PGM_RSRC2:TGID_Y_EN: 0
; COMPUTE_PGM_RSRC2:TGID_Z_EN: 0
; COMPUTE_PGM_RSRC2:TIDIG_COMP_CNT: 0
	.section	.text._ZN5aiter18quant_mxfp4_kernelI12hip_bfloat16LNS_16MxScaleRoundModeE3ELb0ELb0ELb0EEEvPKT_PhPfliiib,"axG",@progbits,_ZN5aiter18quant_mxfp4_kernelI12hip_bfloat16LNS_16MxScaleRoundModeE3ELb0ELb0ELb0EEEvPKT_PhPfliiib,comdat
	.protected	_ZN5aiter18quant_mxfp4_kernelI12hip_bfloat16LNS_16MxScaleRoundModeE3ELb0ELb0ELb0EEEvPKT_PhPfliiib ; -- Begin function _ZN5aiter18quant_mxfp4_kernelI12hip_bfloat16LNS_16MxScaleRoundModeE3ELb0ELb0ELb0EEEvPKT_PhPfliiib
	.globl	_ZN5aiter18quant_mxfp4_kernelI12hip_bfloat16LNS_16MxScaleRoundModeE3ELb0ELb0ELb0EEEvPKT_PhPfliiib
	.p2align	8
	.type	_ZN5aiter18quant_mxfp4_kernelI12hip_bfloat16LNS_16MxScaleRoundModeE3ELb0ELb0ELb0EEEvPKT_PhPfliiib,@function
_ZN5aiter18quant_mxfp4_kernelI12hip_bfloat16LNS_16MxScaleRoundModeE3ELb0ELb0ELb0EEEvPKT_PhPfliiib: ; @_ZN5aiter18quant_mxfp4_kernelI12hip_bfloat16LNS_16MxScaleRoundModeE3ELb0ELb0ELb0EEEvPKT_PhPfliiib
; %bb.0:
	s_clause 0x1
	s_load_b32 s2, s[0:1], 0x3c
	s_load_b128 s[4:7], s[0:1], 0x20
	v_mov_b32_e32 v1, 0
	s_mov_b32 s3, exec_lo
	s_delay_alu instid0(VALU_DEP_1) | instskip(SKIP_2) | instid1(SALU_CYCLE_1)
	v_mov_b32_e32 v4, v1
	s_waitcnt lgkmcnt(0)
	s_and_b32 s2, s2, 0xffff
	v_mad_u64_u32 v[2:3], null, s2, s15, v[0:1]
	s_ashr_i32 s2, s6, 31
                                        ; implicit-def: $vgpr0_vgpr1
	s_delay_alu instid0(VALU_DEP_1) | instid1(SALU_CYCLE_1)
	v_or_b32_e32 v5, s2, v3
	s_delay_alu instid0(VALU_DEP_1)
	v_cmpx_ne_u64_e32 0, v[4:5]
	s_xor_b32 s3, exec_lo, s3
	s_cbranch_execz .LBB40_2
; %bb.1:
	s_add_u32 s10, s6, s2
	s_mov_b32 s8, s2
	s_mov_b32 s9, s2
	s_addc_u32 s11, s2, s2
	s_delay_alu instid0(SALU_CYCLE_1) | instskip(NEXT) | instid1(SALU_CYCLE_1)
	s_xor_b64 s[10:11], s[10:11], s[8:9]
	v_cvt_f32_u32_e32 v0, s10
	v_cvt_f32_u32_e32 v1, s11
	s_sub_u32 s2, 0, s10
	s_subb_u32 s7, 0, s11
	s_delay_alu instid0(VALU_DEP_1) | instskip(NEXT) | instid1(VALU_DEP_1)
	v_fmamk_f32 v0, v1, 0x4f800000, v0
	v_rcp_f32_e32 v0, v0
	s_waitcnt_depctr 0xfff
	v_mul_f32_e32 v0, 0x5f7ffffc, v0
	s_delay_alu instid0(VALU_DEP_1) | instskip(NEXT) | instid1(VALU_DEP_1)
	v_mul_f32_e32 v1, 0x2f800000, v0
	v_trunc_f32_e32 v1, v1
	s_delay_alu instid0(VALU_DEP_1) | instskip(SKIP_1) | instid1(VALU_DEP_2)
	v_fmamk_f32 v0, v1, 0xcf800000, v0
	v_cvt_u32_f32_e32 v1, v1
	v_cvt_u32_f32_e32 v0, v0
	s_delay_alu instid0(VALU_DEP_2) | instskip(NEXT) | instid1(VALU_DEP_2)
	v_mul_lo_u32 v4, s2, v1
	v_mul_hi_u32 v5, s2, v0
	v_mul_lo_u32 v6, s7, v0
	s_delay_alu instid0(VALU_DEP_2) | instskip(SKIP_1) | instid1(VALU_DEP_2)
	v_add_nc_u32_e32 v4, v5, v4
	v_mul_lo_u32 v5, s2, v0
	v_add_nc_u32_e32 v4, v4, v6
	s_delay_alu instid0(VALU_DEP_2) | instskip(NEXT) | instid1(VALU_DEP_2)
	v_mul_hi_u32 v6, v0, v5
	v_mul_lo_u32 v7, v0, v4
	v_mul_hi_u32 v8, v0, v4
	v_mul_hi_u32 v9, v1, v5
	v_mul_lo_u32 v5, v1, v5
	v_mul_hi_u32 v10, v1, v4
	v_mul_lo_u32 v4, v1, v4
	v_add_co_u32 v6, vcc_lo, v6, v7
	v_add_co_ci_u32_e32 v7, vcc_lo, 0, v8, vcc_lo
	s_delay_alu instid0(VALU_DEP_2) | instskip(NEXT) | instid1(VALU_DEP_2)
	v_add_co_u32 v5, vcc_lo, v6, v5
	v_add_co_ci_u32_e32 v5, vcc_lo, v7, v9, vcc_lo
	v_add_co_ci_u32_e32 v6, vcc_lo, 0, v10, vcc_lo
	v_ashrrev_i32_e32 v9, 31, v3
	s_delay_alu instid0(VALU_DEP_3) | instskip(NEXT) | instid1(VALU_DEP_3)
	v_add_co_u32 v4, vcc_lo, v5, v4
	v_add_co_ci_u32_e32 v5, vcc_lo, 0, v6, vcc_lo
	s_delay_alu instid0(VALU_DEP_2) | instskip(NEXT) | instid1(VALU_DEP_2)
	v_add_co_u32 v0, vcc_lo, v0, v4
	v_add_co_ci_u32_e32 v1, vcc_lo, v1, v5, vcc_lo
	s_delay_alu instid0(VALU_DEP_2) | instskip(SKIP_1) | instid1(VALU_DEP_3)
	v_mul_hi_u32 v4, s2, v0
	v_mul_lo_u32 v6, s7, v0
	v_mul_lo_u32 v5, s2, v1
	s_delay_alu instid0(VALU_DEP_1) | instskip(SKIP_1) | instid1(VALU_DEP_2)
	v_add_nc_u32_e32 v4, v4, v5
	v_mul_lo_u32 v5, s2, v0
	v_add_nc_u32_e32 v4, v4, v6
	s_delay_alu instid0(VALU_DEP_2) | instskip(NEXT) | instid1(VALU_DEP_2)
	v_mul_hi_u32 v6, v0, v5
	v_mul_lo_u32 v7, v0, v4
	v_mul_hi_u32 v8, v0, v4
	v_mul_hi_u32 v10, v1, v5
	v_mul_lo_u32 v5, v1, v5
	v_mul_hi_u32 v11, v1, v4
	v_mul_lo_u32 v4, v1, v4
	v_add_co_u32 v6, vcc_lo, v6, v7
	v_add_co_ci_u32_e32 v7, vcc_lo, 0, v8, vcc_lo
	s_delay_alu instid0(VALU_DEP_2) | instskip(NEXT) | instid1(VALU_DEP_2)
	v_add_co_u32 v5, vcc_lo, v6, v5
	v_add_co_ci_u32_e32 v5, vcc_lo, v7, v10, vcc_lo
	v_add_co_ci_u32_e32 v6, vcc_lo, 0, v11, vcc_lo
	v_add_co_u32 v7, vcc_lo, v2, v9
	v_add_co_ci_u32_e32 v3, vcc_lo, v3, v9, vcc_lo
	s_delay_alu instid0(VALU_DEP_4) | instskip(NEXT) | instid1(VALU_DEP_4)
	v_add_co_u32 v4, vcc_lo, v5, v4
	v_add_co_ci_u32_e32 v5, vcc_lo, 0, v6, vcc_lo
	s_delay_alu instid0(VALU_DEP_4) | instskip(NEXT) | instid1(VALU_DEP_3)
	v_xor_b32_e32 v7, v7, v9
	v_add_co_u32 v6, vcc_lo, v0, v4
	s_delay_alu instid0(VALU_DEP_3) | instskip(SKIP_1) | instid1(VALU_DEP_3)
	v_add_co_ci_u32_e32 v8, vcc_lo, v1, v5, vcc_lo
	v_xor_b32_e32 v10, v3, v9
	v_mul_hi_u32 v11, v7, v6
	s_delay_alu instid0(VALU_DEP_3) | instskip(NEXT) | instid1(VALU_DEP_3)
	v_mad_u64_u32 v[0:1], null, v7, v8, 0
	v_mad_u64_u32 v[3:4], null, v10, v6, 0
	v_mad_u64_u32 v[5:6], null, v10, v8, 0
	s_delay_alu instid0(VALU_DEP_3) | instskip(NEXT) | instid1(VALU_DEP_4)
	v_add_co_u32 v0, vcc_lo, v11, v0
	v_add_co_ci_u32_e32 v1, vcc_lo, 0, v1, vcc_lo
	s_delay_alu instid0(VALU_DEP_2) | instskip(NEXT) | instid1(VALU_DEP_2)
	v_add_co_u32 v0, vcc_lo, v0, v3
	v_add_co_ci_u32_e32 v0, vcc_lo, v1, v4, vcc_lo
	v_add_co_ci_u32_e32 v1, vcc_lo, 0, v6, vcc_lo
	s_delay_alu instid0(VALU_DEP_2) | instskip(NEXT) | instid1(VALU_DEP_2)
	v_add_co_u32 v3, vcc_lo, v0, v5
	v_add_co_ci_u32_e32 v4, vcc_lo, 0, v1, vcc_lo
	s_delay_alu instid0(VALU_DEP_2) | instskip(SKIP_1) | instid1(VALU_DEP_3)
	v_mul_lo_u32 v5, s11, v3
	v_mad_u64_u32 v[0:1], null, s10, v3, 0
	v_mul_lo_u32 v6, s10, v4
	s_delay_alu instid0(VALU_DEP_2) | instskip(NEXT) | instid1(VALU_DEP_2)
	v_sub_co_u32 v0, vcc_lo, v7, v0
	v_add3_u32 v1, v1, v6, v5
	s_delay_alu instid0(VALU_DEP_1) | instskip(NEXT) | instid1(VALU_DEP_1)
	v_sub_nc_u32_e32 v5, v10, v1
	v_subrev_co_ci_u32_e64 v5, s2, s11, v5, vcc_lo
	v_add_co_u32 v6, s2, v3, 2
	s_delay_alu instid0(VALU_DEP_1) | instskip(SKIP_3) | instid1(VALU_DEP_3)
	v_add_co_ci_u32_e64 v7, s2, 0, v4, s2
	v_sub_co_u32 v8, s2, v0, s10
	v_sub_co_ci_u32_e32 v1, vcc_lo, v10, v1, vcc_lo
	v_subrev_co_ci_u32_e64 v5, s2, 0, v5, s2
	v_cmp_le_u32_e32 vcc_lo, s10, v8
	s_delay_alu instid0(VALU_DEP_3) | instskip(SKIP_1) | instid1(VALU_DEP_4)
	v_cmp_eq_u32_e64 s2, s11, v1
	v_cndmask_b32_e64 v8, 0, -1, vcc_lo
	v_cmp_le_u32_e32 vcc_lo, s11, v5
	v_cndmask_b32_e64 v10, 0, -1, vcc_lo
	v_cmp_le_u32_e32 vcc_lo, s10, v0
	;; [unrolled: 2-line block ×3, first 2 shown]
	v_cndmask_b32_e64 v11, 0, -1, vcc_lo
	v_cmp_eq_u32_e32 vcc_lo, s11, v5
	s_delay_alu instid0(VALU_DEP_2) | instskip(SKIP_3) | instid1(VALU_DEP_3)
	v_cndmask_b32_e64 v0, v11, v0, s2
	v_cndmask_b32_e32 v5, v10, v8, vcc_lo
	v_add_co_u32 v8, vcc_lo, v3, 1
	v_add_co_ci_u32_e32 v10, vcc_lo, 0, v4, vcc_lo
	v_cmp_ne_u32_e32 vcc_lo, 0, v5
	s_delay_alu instid0(VALU_DEP_2) | instskip(NEXT) | instid1(VALU_DEP_4)
	v_cndmask_b32_e32 v1, v10, v7, vcc_lo
	v_cndmask_b32_e32 v5, v8, v6, vcc_lo
	v_cmp_ne_u32_e32 vcc_lo, 0, v0
	v_xor_b32_e32 v0, s8, v9
	s_delay_alu instid0(VALU_DEP_3) | instskip(SKIP_2) | instid1(VALU_DEP_3)
	v_cndmask_b32_e32 v3, v3, v5, vcc_lo
	v_cndmask_b32_e32 v1, v4, v1, vcc_lo
	v_xor_b32_e32 v4, s9, v9
	v_xor_b32_e32 v3, v3, v0
	s_delay_alu instid0(VALU_DEP_2) | instskip(NEXT) | instid1(VALU_DEP_2)
	v_xor_b32_e32 v1, v1, v4
	v_sub_co_u32 v0, vcc_lo, v3, v0
	s_delay_alu instid0(VALU_DEP_2)
	v_sub_co_ci_u32_e32 v1, vcc_lo, v1, v4, vcc_lo
.LBB40_2:
	s_and_not1_saveexec_b32 s2, s3
	s_cbranch_execz .LBB40_4
; %bb.3:
	v_cvt_f32_u32_e32 v0, s6
	s_sub_i32 s3, 0, s6
	s_delay_alu instid0(VALU_DEP_1) | instskip(SKIP_2) | instid1(VALU_DEP_1)
	v_rcp_iflag_f32_e32 v0, v0
	s_waitcnt_depctr 0xfff
	v_mul_f32_e32 v0, 0x4f7ffffe, v0
	v_cvt_u32_f32_e32 v0, v0
	s_delay_alu instid0(VALU_DEP_1) | instskip(NEXT) | instid1(VALU_DEP_1)
	v_mul_lo_u32 v1, s3, v0
	v_mul_hi_u32 v1, v0, v1
	s_delay_alu instid0(VALU_DEP_1) | instskip(NEXT) | instid1(VALU_DEP_1)
	v_add_nc_u32_e32 v0, v0, v1
	v_mul_hi_u32 v0, v2, v0
	s_delay_alu instid0(VALU_DEP_1) | instskip(SKIP_1) | instid1(VALU_DEP_2)
	v_mul_lo_u32 v1, v0, s6
	v_add_nc_u32_e32 v3, 1, v0
	v_sub_nc_u32_e32 v1, v2, v1
	s_delay_alu instid0(VALU_DEP_1) | instskip(SKIP_1) | instid1(VALU_DEP_2)
	v_subrev_nc_u32_e32 v4, s6, v1
	v_cmp_le_u32_e32 vcc_lo, s6, v1
	v_dual_cndmask_b32 v1, v1, v4 :: v_dual_cndmask_b32 v0, v0, v3
	s_delay_alu instid0(VALU_DEP_1) | instskip(NEXT) | instid1(VALU_DEP_2)
	v_cmp_le_u32_e32 vcc_lo, s6, v1
	v_add_nc_u32_e32 v3, 1, v0
	s_delay_alu instid0(VALU_DEP_1)
	v_dual_mov_b32 v1, 0 :: v_dual_cndmask_b32 v0, v0, v3
.LBB40_4:
	s_or_b32 exec_lo, exec_lo, s2
	s_load_b64 s[2:3], s[0:1], 0x18
	s_delay_alu instid0(VALU_DEP_1) | instskip(NEXT) | instid1(VALU_DEP_1)
	v_mad_u64_u32 v[3:4], null, v0, s6, 0
	v_sub_co_u32 v2, null, v2, v3
	s_waitcnt lgkmcnt(0)
	v_cmp_gt_i64_e32 vcc_lo, s[2:3], v[0:1]
	s_delay_alu instid0(VALU_DEP_2) | instskip(NEXT) | instid1(VALU_DEP_1)
	v_cmp_gt_i32_e64 s2, s5, v2
	s_and_b32 s2, vcc_lo, s2
	s_delay_alu instid0(SALU_CYCLE_1)
	s_and_saveexec_b32 s3, s2
	s_cbranch_execz .LBB40_390
; %bb.5:
	s_ashr_i32 s6, s4, 31
	s_load_b64 s[2:3], s[0:1], 0x0
	v_mul_lo_u32 v5, v1, s4
	v_mad_u64_u32 v[3:4], null, v0, s4, 0
	v_mul_lo_u32 v6, v0, s6
	s_delay_alu instid0(VALU_DEP_1) | instskip(SKIP_1) | instid1(VALU_DEP_2)
	v_add3_u32 v4, v4, v6, v5
	v_dual_mov_b32 v6, 0 :: v_dual_lshlrev_b32 v5, 5, v2
	v_lshlrev_b64 v[3:4], 1, v[3:4]
	s_delay_alu instid0(VALU_DEP_2) | instskip(SKIP_1) | instid1(VALU_DEP_2)
	v_lshlrev_b64 v[5:6], 1, v[5:6]
	s_waitcnt lgkmcnt(0)
	v_add_co_u32 v3, vcc_lo, s2, v3
	s_delay_alu instid0(VALU_DEP_3) | instskip(SKIP_1) | instid1(VALU_DEP_2)
	v_add_co_ci_u32_e32 v4, vcc_lo, s3, v4, vcc_lo
	s_mov_b32 s2, exec_lo
	v_add_co_u32 v7, vcc_lo, v3, v5
	s_delay_alu instid0(VALU_DEP_2)
	v_add_co_ci_u32_e32 v8, vcc_lo, v4, v6, vcc_lo
	s_clause 0x3
	global_load_b128 v[3:6], v[7:8], off
	global_load_b128 v[10:13], v[7:8], off offset:16
	global_load_b128 v[52:55], v[7:8], off offset:32
	;; [unrolled: 1-line block ×3, first 2 shown]
	s_waitcnt vmcnt(3)
	v_lshlrev_b32_e32 v17, 16, v3
	v_and_b32_e32 v7, 0xffff0000, v3
	v_lshlrev_b32_e32 v9, 16, v4
	v_and_b32_e32 v14, 0xffff0000, v4
	v_lshlrev_b32_e32 v16, 16, v5
	v_and_b32_e32 v20, 0xffff0000, v5
	v_max3_f32 v3, |v17|, 0, |v7|
	v_lshlrev_b32_e32 v22, 16, v6
	v_and_b32_e32 v25, 0xffff0000, v6
	s_waitcnt vmcnt(2)
	v_lshlrev_b32_e32 v28, 16, v10
	v_and_b32_e32 v31, 0xffff0000, v10
	v_max3_f32 v3, v3, |v9|, |v14|
	v_lshlrev_b32_e32 v34, 16, v11
	v_and_b32_e32 v37, 0xffff0000, v11
	v_lshlrev_b32_e32 v39, 16, v12
	v_and_b32_e32 v41, 0xffff0000, v12
	v_max3_f32 v3, v3, |v16|, |v20|
	v_lshlrev_b32_e32 v45, 16, v13
	v_and_b32_e32 v47, 0xffff0000, v13
	s_waitcnt vmcnt(1)
	v_lshlrev_b32_e32 v51, 16, v52
	v_and_b32_e32 v52, 0xffff0000, v52
	v_max3_f32 v3, v3, |v22|, |v25|
	v_lshlrev_b32_e32 v48, 16, v53
	v_and_b32_e32 v46, 0xffff0000, v53
	v_lshlrev_b32_e32 v42, 16, v54
	v_and_b32_e32 v40, 0xffff0000, v54
	v_max3_f32 v3, v3, |v28|, |v31|
	;; [unrolled: 11-line block ×3, first 2 shown]
	v_lshlrev_b32_e32 v13, 16, v59
	v_and_b32_e32 v8, 0xffff0000, v59
	s_delay_alu instid0(VALU_DEP_3) | instskip(NEXT) | instid1(VALU_DEP_1)
	v_max3_f32 v3, v3, |v45|, |v47|
	v_max3_f32 v3, v3, |v51|, |v52|
	s_delay_alu instid0(VALU_DEP_1) | instskip(NEXT) | instid1(VALU_DEP_1)
	v_max3_f32 v3, v3, |v48|, |v46|
	v_max3_f32 v3, v3, |v42|, |v40|
	s_delay_alu instid0(VALU_DEP_1) | instskip(NEXT) | instid1(VALU_DEP_1)
	;; [unrolled: 3-line block ×4, first 2 shown]
	v_max3_f32 v3, v3, |v13|, |v8|
	v_mul_f32_e32 v3, 0x3e800000, v3
	s_delay_alu instid0(VALU_DEP_1) | instskip(SKIP_1) | instid1(VALU_DEP_2)
	v_and_b32_e32 v4, 0x7fffff, v3
	v_bfe_u32 v3, v3, 23, 8
	v_cmp_ne_u32_e32 vcc_lo, 0, v4
	s_delay_alu instid0(VALU_DEP_2) | instskip(SKIP_1) | instid1(VALU_DEP_2)
	v_add_co_ci_u32_e32 v4, vcc_lo, 0, v3, vcc_lo
	v_cmp_ne_u32_e32 vcc_lo, 0xff, v3
	v_lshlrev_b32_e32 v4, 23, v4
	s_delay_alu instid0(VALU_DEP_1) | instskip(NEXT) | instid1(VALU_DEP_1)
	v_cndmask_b32_e32 v3, 0x7f800000, v4, vcc_lo
	v_div_scale_f32 v4, null, v3, v3, 1.0
	v_div_scale_f32 v10, vcc_lo, 1.0, v3, 1.0
	s_delay_alu instid0(VALU_DEP_2) | instskip(SKIP_2) | instid1(VALU_DEP_1)
	v_rcp_f32_e32 v5, v4
	s_waitcnt_depctr 0xfff
	v_fma_f32 v6, -v4, v5, 1.0
	v_fmac_f32_e32 v5, v6, v5
	s_delay_alu instid0(VALU_DEP_1) | instskip(NEXT) | instid1(VALU_DEP_1)
	v_mul_f32_e32 v6, v10, v5
	v_fma_f32 v11, -v4, v6, v10
	s_delay_alu instid0(VALU_DEP_1) | instskip(NEXT) | instid1(VALU_DEP_1)
	v_fmac_f32_e32 v6, v11, v5
	v_fma_f32 v4, -v4, v6, v10
	s_delay_alu instid0(VALU_DEP_1) | instskip(SKIP_2) | instid1(VALU_DEP_3)
	v_div_fmas_f32 v4, v4, v5, v6
	v_cmp_neq_f32_e32 vcc_lo, 0, v3
	v_mov_b32_e32 v6, 7
	v_div_fixup_f32 v4, v4, v3, 1.0
	s_delay_alu instid0(VALU_DEP_1) | instskip(NEXT) | instid1(VALU_DEP_1)
	v_cndmask_b32_e32 v10, 0, v4, vcc_lo
	v_dual_mov_b32 v4, 7 :: v_dual_mul_f32 v5, v10, v17
	s_delay_alu instid0(VALU_DEP_1)
	v_cmpx_nle_f32_e64 0x40a00000, |v5|
	s_cbranch_execz .LBB40_17
; %bb.6:
	v_mov_b32_e32 v4, 6
	s_mov_b32 s3, exec_lo
	v_cmpx_nle_f32_e64 0x40600000, |v5|
	s_cbranch_execz .LBB40_16
; %bb.7:
	v_mov_b32_e32 v4, 5
	s_mov_b32 s6, exec_lo
	;; [unrolled: 5-line block ×5, first 2 shown]
	v_cmpx_nle_f32_e64 0x3f400000, |v5|
; %bb.11:
	v_cmp_le_f32_e64 s10, 0x3e800000, |v5|
	s_delay_alu instid0(VALU_DEP_1)
	v_cndmask_b32_e64 v4, 0, 1, s10
; %bb.12:
	s_or_b32 exec_lo, exec_lo, s9
.LBB40_13:
	s_delay_alu instid0(SALU_CYCLE_1)
	s_or_b32 exec_lo, exec_lo, s8
.LBB40_14:
	s_delay_alu instid0(SALU_CYCLE_1)
	s_or_b32 exec_lo, exec_lo, s7
.LBB40_15:
	s_delay_alu instid0(SALU_CYCLE_1)
	s_or_b32 exec_lo, exec_lo, s6
.LBB40_16:
	s_delay_alu instid0(SALU_CYCLE_1)
	s_or_b32 exec_lo, exec_lo, s3
.LBB40_17:
	s_delay_alu instid0(SALU_CYCLE_1) | instskip(SKIP_2) | instid1(VALU_DEP_1)
	s_or_b32 exec_lo, exec_lo, s2
	v_mul_f32_e32 v7, v10, v7
	s_mov_b32 s2, exec_lo
	v_cmpx_nle_f32_e64 0x40a00000, |v7|
	s_cbranch_execz .LBB40_29
; %bb.18:
	v_mov_b32_e32 v6, 6
	s_mov_b32 s3, exec_lo
	v_cmpx_nle_f32_e64 0x40600000, |v7|
	s_cbranch_execz .LBB40_28
; %bb.19:
	v_mov_b32_e32 v6, 5
	s_mov_b32 s6, exec_lo
	v_cmpx_nle_f32_e64 0x40200000, |v7|
	s_cbranch_execz .LBB40_27
; %bb.20:
	v_mov_b32_e32 v6, 4
	s_mov_b32 s7, exec_lo
	v_cmpx_nle_f32_e64 0x3fe00000, |v7|
	s_cbranch_execz .LBB40_26
; %bb.21:
	v_mov_b32_e32 v6, 3
	s_mov_b32 s8, exec_lo
	v_cmpx_nle_f32_e64 0x3fa00000, |v7|
	s_cbranch_execz .LBB40_25
; %bb.22:
	v_mov_b32_e32 v6, 2
	s_mov_b32 s9, exec_lo
	v_cmpx_nle_f32_e64 0x3f400000, |v7|
; %bb.23:
	v_cmp_le_f32_e64 s10, 0x3e800000, |v7|
	s_delay_alu instid0(VALU_DEP_1)
	v_cndmask_b32_e64 v6, 0, 1, s10
; %bb.24:
	s_or_b32 exec_lo, exec_lo, s9
.LBB40_25:
	s_delay_alu instid0(SALU_CYCLE_1)
	s_or_b32 exec_lo, exec_lo, s8
.LBB40_26:
	s_delay_alu instid0(SALU_CYCLE_1)
	s_or_b32 exec_lo, exec_lo, s7
.LBB40_27:
	s_delay_alu instid0(SALU_CYCLE_1)
	s_or_b32 exec_lo, exec_lo, s6
.LBB40_28:
	s_delay_alu instid0(SALU_CYCLE_1)
	s_or_b32 exec_lo, exec_lo, s3
.LBB40_29:
	s_delay_alu instid0(SALU_CYCLE_1) | instskip(SKIP_3) | instid1(VALU_DEP_2)
	s_or_b32 exec_lo, exec_lo, s2
	v_dual_mul_f32 v11, v10, v9 :: v_dual_mov_b32 v12, 7
	v_mov_b32_e32 v9, 7
	s_mov_b32 s2, exec_lo
	v_cmpx_nle_f32_e64 0x40a00000, |v11|
	s_cbranch_execz .LBB40_41
; %bb.30:
	v_mov_b32_e32 v12, 6
	s_mov_b32 s3, exec_lo
	v_cmpx_nle_f32_e64 0x40600000, |v11|
	s_cbranch_execz .LBB40_40
; %bb.31:
	;; [unrolled: 5-line block ×5, first 2 shown]
	v_mov_b32_e32 v12, 2
	s_mov_b32 s9, exec_lo
	v_cmpx_nle_f32_e64 0x3f400000, |v11|
; %bb.35:
	v_cmp_le_f32_e64 s10, 0x3e800000, |v11|
	s_delay_alu instid0(VALU_DEP_1)
	v_cndmask_b32_e64 v12, 0, 1, s10
; %bb.36:
	s_or_b32 exec_lo, exec_lo, s9
.LBB40_37:
	s_delay_alu instid0(SALU_CYCLE_1)
	s_or_b32 exec_lo, exec_lo, s8
.LBB40_38:
	s_delay_alu instid0(SALU_CYCLE_1)
	s_or_b32 exec_lo, exec_lo, s7
.LBB40_39:
	s_delay_alu instid0(SALU_CYCLE_1)
	s_or_b32 exec_lo, exec_lo, s6
.LBB40_40:
	s_delay_alu instid0(SALU_CYCLE_1)
	s_or_b32 exec_lo, exec_lo, s3
.LBB40_41:
	s_delay_alu instid0(SALU_CYCLE_1) | instskip(SKIP_2) | instid1(VALU_DEP_1)
	s_or_b32 exec_lo, exec_lo, s2
	v_mul_f32_e32 v14, v10, v14
	s_mov_b32 s2, exec_lo
	v_cmpx_nle_f32_e64 0x40a00000, |v14|
	s_cbranch_execz .LBB40_53
; %bb.42:
	v_mov_b32_e32 v9, 6
	s_mov_b32 s3, exec_lo
	v_cmpx_nle_f32_e64 0x40600000, |v14|
	s_cbranch_execz .LBB40_52
; %bb.43:
	v_mov_b32_e32 v9, 5
	;; [unrolled: 5-line block ×5, first 2 shown]
	s_mov_b32 s9, exec_lo
	v_cmpx_nle_f32_e64 0x3f400000, |v14|
; %bb.47:
	v_cmp_le_f32_e64 s10, 0x3e800000, |v14|
	s_delay_alu instid0(VALU_DEP_1)
	v_cndmask_b32_e64 v9, 0, 1, s10
; %bb.48:
	s_or_b32 exec_lo, exec_lo, s9
.LBB40_49:
	s_delay_alu instid0(SALU_CYCLE_1)
	s_or_b32 exec_lo, exec_lo, s8
.LBB40_50:
	s_delay_alu instid0(SALU_CYCLE_1)
	s_or_b32 exec_lo, exec_lo, s7
.LBB40_51:
	s_delay_alu instid0(SALU_CYCLE_1)
	s_or_b32 exec_lo, exec_lo, s6
.LBB40_52:
	s_delay_alu instid0(SALU_CYCLE_1)
	s_or_b32 exec_lo, exec_lo, s3
.LBB40_53:
	s_delay_alu instid0(SALU_CYCLE_1) | instskip(SKIP_3) | instid1(VALU_DEP_2)
	s_or_b32 exec_lo, exec_lo, s2
	v_dual_mul_f32 v18, v10, v16 :: v_dual_mov_b32 v17, 7
	v_mov_b32_e32 v16, 7
	s_mov_b32 s2, exec_lo
	v_cmpx_nle_f32_e64 0x40a00000, |v18|
	s_cbranch_execz .LBB40_65
; %bb.54:
	v_mov_b32_e32 v16, 6
	s_mov_b32 s3, exec_lo
	v_cmpx_nle_f32_e64 0x40600000, |v18|
	s_cbranch_execz .LBB40_64
; %bb.55:
	;; [unrolled: 5-line block ×5, first 2 shown]
	v_mov_b32_e32 v16, 2
	s_mov_b32 s9, exec_lo
	v_cmpx_nle_f32_e64 0x3f400000, |v18|
; %bb.59:
	v_cmp_le_f32_e64 s10, 0x3e800000, |v18|
	s_delay_alu instid0(VALU_DEP_1)
	v_cndmask_b32_e64 v16, 0, 1, s10
; %bb.60:
	s_or_b32 exec_lo, exec_lo, s9
.LBB40_61:
	s_delay_alu instid0(SALU_CYCLE_1)
	s_or_b32 exec_lo, exec_lo, s8
.LBB40_62:
	s_delay_alu instid0(SALU_CYCLE_1)
	s_or_b32 exec_lo, exec_lo, s7
.LBB40_63:
	s_delay_alu instid0(SALU_CYCLE_1)
	s_or_b32 exec_lo, exec_lo, s6
.LBB40_64:
	s_delay_alu instid0(SALU_CYCLE_1)
	s_or_b32 exec_lo, exec_lo, s3
.LBB40_65:
	s_delay_alu instid0(SALU_CYCLE_1) | instskip(SKIP_2) | instid1(VALU_DEP_1)
	s_or_b32 exec_lo, exec_lo, s2
	v_mul_f32_e32 v20, v10, v20
	s_mov_b32 s2, exec_lo
	v_cmpx_nle_f32_e64 0x40a00000, |v20|
	s_cbranch_execz .LBB40_77
; %bb.66:
	v_mov_b32_e32 v17, 6
	s_mov_b32 s3, exec_lo
	v_cmpx_nle_f32_e64 0x40600000, |v20|
	s_cbranch_execz .LBB40_76
; %bb.67:
	v_mov_b32_e32 v17, 5
	;; [unrolled: 5-line block ×5, first 2 shown]
	s_mov_b32 s9, exec_lo
	v_cmpx_nle_f32_e64 0x3f400000, |v20|
; %bb.71:
	v_cmp_le_f32_e64 s10, 0x3e800000, |v20|
	s_delay_alu instid0(VALU_DEP_1)
	v_cndmask_b32_e64 v17, 0, 1, s10
; %bb.72:
	s_or_b32 exec_lo, exec_lo, s9
.LBB40_73:
	s_delay_alu instid0(SALU_CYCLE_1)
	s_or_b32 exec_lo, exec_lo, s8
.LBB40_74:
	s_delay_alu instid0(SALU_CYCLE_1)
	s_or_b32 exec_lo, exec_lo, s7
.LBB40_75:
	s_delay_alu instid0(SALU_CYCLE_1)
	s_or_b32 exec_lo, exec_lo, s6
.LBB40_76:
	s_delay_alu instid0(SALU_CYCLE_1)
	s_or_b32 exec_lo, exec_lo, s3
.LBB40_77:
	s_delay_alu instid0(SALU_CYCLE_1) | instskip(SKIP_3) | instid1(VALU_DEP_2)
	s_or_b32 exec_lo, exec_lo, s2
	v_dual_mul_f32 v24, v10, v22 :: v_dual_mov_b32 v23, 7
	v_mov_b32_e32 v22, 7
	s_mov_b32 s2, exec_lo
	v_cmpx_nle_f32_e64 0x40a00000, |v24|
	s_cbranch_execz .LBB40_89
; %bb.78:
	v_mov_b32_e32 v23, 6
	s_mov_b32 s3, exec_lo
	v_cmpx_nle_f32_e64 0x40600000, |v24|
	s_cbranch_execz .LBB40_88
; %bb.79:
	;; [unrolled: 5-line block ×5, first 2 shown]
	v_mov_b32_e32 v23, 2
	s_mov_b32 s9, exec_lo
	v_cmpx_nle_f32_e64 0x3f400000, |v24|
; %bb.83:
	v_cmp_le_f32_e64 s10, 0x3e800000, |v24|
	s_delay_alu instid0(VALU_DEP_1)
	v_cndmask_b32_e64 v23, 0, 1, s10
; %bb.84:
	s_or_b32 exec_lo, exec_lo, s9
.LBB40_85:
	s_delay_alu instid0(SALU_CYCLE_1)
	s_or_b32 exec_lo, exec_lo, s8
.LBB40_86:
	s_delay_alu instid0(SALU_CYCLE_1)
	s_or_b32 exec_lo, exec_lo, s7
.LBB40_87:
	s_delay_alu instid0(SALU_CYCLE_1)
	s_or_b32 exec_lo, exec_lo, s6
.LBB40_88:
	s_delay_alu instid0(SALU_CYCLE_1)
	s_or_b32 exec_lo, exec_lo, s3
.LBB40_89:
	s_delay_alu instid0(SALU_CYCLE_1) | instskip(SKIP_2) | instid1(VALU_DEP_1)
	s_or_b32 exec_lo, exec_lo, s2
	v_mul_f32_e32 v25, v10, v25
	s_mov_b32 s2, exec_lo
	v_cmpx_nle_f32_e64 0x40a00000, |v25|
	s_cbranch_execz .LBB40_101
; %bb.90:
	v_mov_b32_e32 v22, 6
	s_mov_b32 s3, exec_lo
	v_cmpx_nle_f32_e64 0x40600000, |v25|
	s_cbranch_execz .LBB40_100
; %bb.91:
	v_mov_b32_e32 v22, 5
	;; [unrolled: 5-line block ×5, first 2 shown]
	s_mov_b32 s9, exec_lo
	v_cmpx_nle_f32_e64 0x3f400000, |v25|
; %bb.95:
	v_cmp_le_f32_e64 s10, 0x3e800000, |v25|
	s_delay_alu instid0(VALU_DEP_1)
	v_cndmask_b32_e64 v22, 0, 1, s10
; %bb.96:
	s_or_b32 exec_lo, exec_lo, s9
.LBB40_97:
	s_delay_alu instid0(SALU_CYCLE_1)
	s_or_b32 exec_lo, exec_lo, s8
.LBB40_98:
	s_delay_alu instid0(SALU_CYCLE_1)
	s_or_b32 exec_lo, exec_lo, s7
.LBB40_99:
	s_delay_alu instid0(SALU_CYCLE_1)
	s_or_b32 exec_lo, exec_lo, s6
.LBB40_100:
	s_delay_alu instid0(SALU_CYCLE_1)
	s_or_b32 exec_lo, exec_lo, s3
.LBB40_101:
	s_delay_alu instid0(SALU_CYCLE_1) | instskip(SKIP_3) | instid1(VALU_DEP_2)
	s_or_b32 exec_lo, exec_lo, s2
	v_dual_mul_f32 v30, v10, v28 :: v_dual_mov_b32 v29, 7
	v_mov_b32_e32 v28, 7
	s_mov_b32 s2, exec_lo
	v_cmpx_nle_f32_e64 0x40a00000, |v30|
	s_cbranch_execz .LBB40_113
; %bb.102:
	v_mov_b32_e32 v29, 6
	s_mov_b32 s3, exec_lo
	v_cmpx_nle_f32_e64 0x40600000, |v30|
	s_cbranch_execz .LBB40_112
; %bb.103:
	;; [unrolled: 5-line block ×5, first 2 shown]
	v_mov_b32_e32 v29, 2
	s_mov_b32 s9, exec_lo
	v_cmpx_nle_f32_e64 0x3f400000, |v30|
; %bb.107:
	v_cmp_le_f32_e64 s10, 0x3e800000, |v30|
	s_delay_alu instid0(VALU_DEP_1)
	v_cndmask_b32_e64 v29, 0, 1, s10
; %bb.108:
	s_or_b32 exec_lo, exec_lo, s9
.LBB40_109:
	s_delay_alu instid0(SALU_CYCLE_1)
	s_or_b32 exec_lo, exec_lo, s8
.LBB40_110:
	s_delay_alu instid0(SALU_CYCLE_1)
	s_or_b32 exec_lo, exec_lo, s7
.LBB40_111:
	s_delay_alu instid0(SALU_CYCLE_1)
	s_or_b32 exec_lo, exec_lo, s6
.LBB40_112:
	s_delay_alu instid0(SALU_CYCLE_1)
	s_or_b32 exec_lo, exec_lo, s3
.LBB40_113:
	s_delay_alu instid0(SALU_CYCLE_1) | instskip(SKIP_2) | instid1(VALU_DEP_1)
	s_or_b32 exec_lo, exec_lo, s2
	v_mul_f32_e32 v31, v10, v31
	s_mov_b32 s2, exec_lo
	v_cmpx_nle_f32_e64 0x40a00000, |v31|
	s_cbranch_execz .LBB40_125
; %bb.114:
	v_mov_b32_e32 v28, 6
	s_mov_b32 s3, exec_lo
	v_cmpx_nle_f32_e64 0x40600000, |v31|
	s_cbranch_execz .LBB40_124
; %bb.115:
	v_mov_b32_e32 v28, 5
	;; [unrolled: 5-line block ×5, first 2 shown]
	s_mov_b32 s9, exec_lo
	v_cmpx_nle_f32_e64 0x3f400000, |v31|
; %bb.119:
	v_cmp_le_f32_e64 s10, 0x3e800000, |v31|
	s_delay_alu instid0(VALU_DEP_1)
	v_cndmask_b32_e64 v28, 0, 1, s10
; %bb.120:
	s_or_b32 exec_lo, exec_lo, s9
.LBB40_121:
	s_delay_alu instid0(SALU_CYCLE_1)
	s_or_b32 exec_lo, exec_lo, s8
.LBB40_122:
	s_delay_alu instid0(SALU_CYCLE_1)
	s_or_b32 exec_lo, exec_lo, s7
.LBB40_123:
	s_delay_alu instid0(SALU_CYCLE_1)
	s_or_b32 exec_lo, exec_lo, s6
.LBB40_124:
	s_delay_alu instid0(SALU_CYCLE_1)
	s_or_b32 exec_lo, exec_lo, s3
.LBB40_125:
	s_delay_alu instid0(SALU_CYCLE_1) | instskip(SKIP_3) | instid1(VALU_DEP_2)
	s_or_b32 exec_lo, exec_lo, s2
	v_dual_mul_f32 v36, v10, v34 :: v_dual_mov_b32 v35, 7
	v_mov_b32_e32 v34, 7
	s_mov_b32 s2, exec_lo
	v_cmpx_nle_f32_e64 0x40a00000, |v36|
	s_cbranch_execz .LBB40_137
; %bb.126:
	v_mov_b32_e32 v35, 6
	s_mov_b32 s3, exec_lo
	v_cmpx_nle_f32_e64 0x40600000, |v36|
	s_cbranch_execz .LBB40_136
; %bb.127:
	;; [unrolled: 5-line block ×5, first 2 shown]
	v_mov_b32_e32 v35, 2
	s_mov_b32 s9, exec_lo
	v_cmpx_nle_f32_e64 0x3f400000, |v36|
; %bb.131:
	v_cmp_le_f32_e64 s10, 0x3e800000, |v36|
	s_delay_alu instid0(VALU_DEP_1)
	v_cndmask_b32_e64 v35, 0, 1, s10
; %bb.132:
	s_or_b32 exec_lo, exec_lo, s9
.LBB40_133:
	s_delay_alu instid0(SALU_CYCLE_1)
	s_or_b32 exec_lo, exec_lo, s8
.LBB40_134:
	s_delay_alu instid0(SALU_CYCLE_1)
	s_or_b32 exec_lo, exec_lo, s7
.LBB40_135:
	s_delay_alu instid0(SALU_CYCLE_1)
	s_or_b32 exec_lo, exec_lo, s6
.LBB40_136:
	s_delay_alu instid0(SALU_CYCLE_1)
	s_or_b32 exec_lo, exec_lo, s3
.LBB40_137:
	s_delay_alu instid0(SALU_CYCLE_1) | instskip(SKIP_2) | instid1(VALU_DEP_1)
	s_or_b32 exec_lo, exec_lo, s2
	v_mul_f32_e32 v37, v10, v37
	s_mov_b32 s2, exec_lo
	v_cmpx_nle_f32_e64 0x40a00000, |v37|
	s_cbranch_execz .LBB40_149
; %bb.138:
	v_mov_b32_e32 v34, 6
	s_mov_b32 s3, exec_lo
	v_cmpx_nle_f32_e64 0x40600000, |v37|
	s_cbranch_execz .LBB40_148
; %bb.139:
	v_mov_b32_e32 v34, 5
	s_mov_b32 s6, exec_lo
	v_cmpx_nle_f32_e64 0x40200000, |v37|
	s_cbranch_execz .LBB40_147
; %bb.140:
	v_mov_b32_e32 v34, 4
	s_mov_b32 s7, exec_lo
	v_cmpx_nle_f32_e64 0x3fe00000, |v37|
	s_cbranch_execz .LBB40_146
; %bb.141:
	v_mov_b32_e32 v34, 3
	s_mov_b32 s8, exec_lo
	v_cmpx_nle_f32_e64 0x3fa00000, |v37|
	s_cbranch_execz .LBB40_145
; %bb.142:
	v_mov_b32_e32 v34, 2
	s_mov_b32 s9, exec_lo
	v_cmpx_nle_f32_e64 0x3f400000, |v37|
; %bb.143:
	v_cmp_le_f32_e64 s10, 0x3e800000, |v37|
	s_delay_alu instid0(VALU_DEP_1)
	v_cndmask_b32_e64 v34, 0, 1, s10
; %bb.144:
	s_or_b32 exec_lo, exec_lo, s9
.LBB40_145:
	s_delay_alu instid0(SALU_CYCLE_1)
	s_or_b32 exec_lo, exec_lo, s8
.LBB40_146:
	s_delay_alu instid0(SALU_CYCLE_1)
	s_or_b32 exec_lo, exec_lo, s7
.LBB40_147:
	s_delay_alu instid0(SALU_CYCLE_1)
	s_or_b32 exec_lo, exec_lo, s6
.LBB40_148:
	s_delay_alu instid0(SALU_CYCLE_1)
	s_or_b32 exec_lo, exec_lo, s3
.LBB40_149:
	s_delay_alu instid0(SALU_CYCLE_1) | instskip(SKIP_3) | instid1(VALU_DEP_2)
	s_or_b32 exec_lo, exec_lo, s2
	v_dual_mul_f32 v43, v10, v39 :: v_dual_mov_b32 v44, 7
	v_mov_b32_e32 v39, 7
	s_mov_b32 s2, exec_lo
	v_cmpx_nle_f32_e64 0x40a00000, |v43|
	s_cbranch_execz .LBB40_161
; %bb.150:
	v_mov_b32_e32 v44, 6
	s_mov_b32 s3, exec_lo
	v_cmpx_nle_f32_e64 0x40600000, |v43|
	s_cbranch_execz .LBB40_160
; %bb.151:
	;; [unrolled: 5-line block ×5, first 2 shown]
	v_mov_b32_e32 v44, 2
	s_mov_b32 s9, exec_lo
	v_cmpx_nle_f32_e64 0x3f400000, |v43|
; %bb.155:
	v_cmp_le_f32_e64 s10, 0x3e800000, |v43|
	s_delay_alu instid0(VALU_DEP_1)
	v_cndmask_b32_e64 v44, 0, 1, s10
; %bb.156:
	s_or_b32 exec_lo, exec_lo, s9
.LBB40_157:
	s_delay_alu instid0(SALU_CYCLE_1)
	s_or_b32 exec_lo, exec_lo, s8
.LBB40_158:
	s_delay_alu instid0(SALU_CYCLE_1)
	s_or_b32 exec_lo, exec_lo, s7
.LBB40_159:
	s_delay_alu instid0(SALU_CYCLE_1)
	s_or_b32 exec_lo, exec_lo, s6
.LBB40_160:
	s_delay_alu instid0(SALU_CYCLE_1)
	s_or_b32 exec_lo, exec_lo, s3
.LBB40_161:
	s_delay_alu instid0(SALU_CYCLE_1) | instskip(SKIP_2) | instid1(VALU_DEP_1)
	s_or_b32 exec_lo, exec_lo, s2
	v_mul_f32_e32 v41, v10, v41
	s_mov_b32 s2, exec_lo
	v_cmpx_nle_f32_e64 0x40a00000, |v41|
	s_cbranch_execz .LBB40_173
; %bb.162:
	v_mov_b32_e32 v39, 6
	s_mov_b32 s3, exec_lo
	v_cmpx_nle_f32_e64 0x40600000, |v41|
	s_cbranch_execz .LBB40_172
; %bb.163:
	v_mov_b32_e32 v39, 5
	;; [unrolled: 5-line block ×5, first 2 shown]
	s_mov_b32 s9, exec_lo
	v_cmpx_nle_f32_e64 0x3f400000, |v41|
; %bb.167:
	v_cmp_le_f32_e64 s10, 0x3e800000, |v41|
	s_delay_alu instid0(VALU_DEP_1)
	v_cndmask_b32_e64 v39, 0, 1, s10
; %bb.168:
	s_or_b32 exec_lo, exec_lo, s9
.LBB40_169:
	s_delay_alu instid0(SALU_CYCLE_1)
	s_or_b32 exec_lo, exec_lo, s8
.LBB40_170:
	s_delay_alu instid0(SALU_CYCLE_1)
	s_or_b32 exec_lo, exec_lo, s7
.LBB40_171:
	s_delay_alu instid0(SALU_CYCLE_1)
	s_or_b32 exec_lo, exec_lo, s6
.LBB40_172:
	s_delay_alu instid0(SALU_CYCLE_1)
	s_or_b32 exec_lo, exec_lo, s3
.LBB40_173:
	s_delay_alu instid0(SALU_CYCLE_1) | instskip(SKIP_3) | instid1(VALU_DEP_2)
	s_or_b32 exec_lo, exec_lo, s2
	v_dual_mul_f32 v50, v10, v45 :: v_dual_mov_b32 v45, 7
	v_mov_b32_e32 v49, 7
	s_mov_b32 s2, exec_lo
	v_cmpx_nle_f32_e64 0x40a00000, |v50|
	s_cbranch_execz .LBB40_185
; %bb.174:
	v_mov_b32_e32 v49, 6
	s_mov_b32 s3, exec_lo
	v_cmpx_nle_f32_e64 0x40600000, |v50|
	s_cbranch_execz .LBB40_184
; %bb.175:
	;; [unrolled: 5-line block ×5, first 2 shown]
	v_mov_b32_e32 v49, 2
	s_mov_b32 s9, exec_lo
	v_cmpx_nle_f32_e64 0x3f400000, |v50|
; %bb.179:
	v_cmp_le_f32_e64 s10, 0x3e800000, |v50|
	s_delay_alu instid0(VALU_DEP_1)
	v_cndmask_b32_e64 v49, 0, 1, s10
; %bb.180:
	s_or_b32 exec_lo, exec_lo, s9
.LBB40_181:
	s_delay_alu instid0(SALU_CYCLE_1)
	s_or_b32 exec_lo, exec_lo, s8
.LBB40_182:
	s_delay_alu instid0(SALU_CYCLE_1)
	s_or_b32 exec_lo, exec_lo, s7
.LBB40_183:
	s_delay_alu instid0(SALU_CYCLE_1)
	s_or_b32 exec_lo, exec_lo, s6
.LBB40_184:
	s_delay_alu instid0(SALU_CYCLE_1)
	s_or_b32 exec_lo, exec_lo, s3
.LBB40_185:
	s_delay_alu instid0(SALU_CYCLE_1) | instskip(SKIP_2) | instid1(VALU_DEP_1)
	s_or_b32 exec_lo, exec_lo, s2
	v_mul_f32_e32 v47, v10, v47
	s_mov_b32 s2, exec_lo
	v_cmpx_nle_f32_e64 0x40a00000, |v47|
	s_cbranch_execz .LBB40_197
; %bb.186:
	v_mov_b32_e32 v45, 6
	s_mov_b32 s3, exec_lo
	v_cmpx_nle_f32_e64 0x40600000, |v47|
	s_cbranch_execz .LBB40_196
; %bb.187:
	v_mov_b32_e32 v45, 5
	;; [unrolled: 5-line block ×5, first 2 shown]
	s_mov_b32 s9, exec_lo
	v_cmpx_nle_f32_e64 0x3f400000, |v47|
; %bb.191:
	v_cmp_le_f32_e64 s10, 0x3e800000, |v47|
	s_delay_alu instid0(VALU_DEP_1)
	v_cndmask_b32_e64 v45, 0, 1, s10
; %bb.192:
	s_or_b32 exec_lo, exec_lo, s9
.LBB40_193:
	s_delay_alu instid0(SALU_CYCLE_1)
	s_or_b32 exec_lo, exec_lo, s8
.LBB40_194:
	s_delay_alu instid0(SALU_CYCLE_1)
	s_or_b32 exec_lo, exec_lo, s7
.LBB40_195:
	s_delay_alu instid0(SALU_CYCLE_1)
	s_or_b32 exec_lo, exec_lo, s6
.LBB40_196:
	s_delay_alu instid0(SALU_CYCLE_1)
	s_or_b32 exec_lo, exec_lo, s3
.LBB40_197:
	s_delay_alu instid0(SALU_CYCLE_1) | instskip(SKIP_3) | instid1(VALU_DEP_2)
	s_or_b32 exec_lo, exec_lo, s2
	v_dual_mul_f32 v54, v10, v51 :: v_dual_mov_b32 v51, 7
	v_mov_b32_e32 v53, 7
	s_mov_b32 s2, exec_lo
	v_cmpx_nle_f32_e64 0x40a00000, |v54|
	s_cbranch_execz .LBB40_209
; %bb.198:
	v_mov_b32_e32 v53, 6
	s_mov_b32 s3, exec_lo
	v_cmpx_nle_f32_e64 0x40600000, |v54|
	s_cbranch_execz .LBB40_208
; %bb.199:
	;; [unrolled: 5-line block ×5, first 2 shown]
	v_mov_b32_e32 v53, 2
	s_mov_b32 s9, exec_lo
	v_cmpx_nle_f32_e64 0x3f400000, |v54|
; %bb.203:
	v_cmp_le_f32_e64 s10, 0x3e800000, |v54|
	s_delay_alu instid0(VALU_DEP_1)
	v_cndmask_b32_e64 v53, 0, 1, s10
; %bb.204:
	s_or_b32 exec_lo, exec_lo, s9
.LBB40_205:
	s_delay_alu instid0(SALU_CYCLE_1)
	s_or_b32 exec_lo, exec_lo, s8
.LBB40_206:
	s_delay_alu instid0(SALU_CYCLE_1)
	s_or_b32 exec_lo, exec_lo, s7
.LBB40_207:
	s_delay_alu instid0(SALU_CYCLE_1)
	s_or_b32 exec_lo, exec_lo, s6
.LBB40_208:
	s_delay_alu instid0(SALU_CYCLE_1)
	s_or_b32 exec_lo, exec_lo, s3
.LBB40_209:
	s_delay_alu instid0(SALU_CYCLE_1) | instskip(SKIP_2) | instid1(VALU_DEP_1)
	s_or_b32 exec_lo, exec_lo, s2
	v_mul_f32_e32 v52, v10, v52
	s_mov_b32 s2, exec_lo
	v_cmpx_nle_f32_e64 0x40a00000, |v52|
	s_cbranch_execz .LBB40_221
; %bb.210:
	v_mov_b32_e32 v51, 6
	s_mov_b32 s3, exec_lo
	v_cmpx_nle_f32_e64 0x40600000, |v52|
	s_cbranch_execz .LBB40_220
; %bb.211:
	v_mov_b32_e32 v51, 5
	s_mov_b32 s6, exec_lo
	v_cmpx_nle_f32_e64 0x40200000, |v52|
	s_cbranch_execz .LBB40_219
; %bb.212:
	v_mov_b32_e32 v51, 4
	s_mov_b32 s7, exec_lo
	v_cmpx_nle_f32_e64 0x3fe00000, |v52|
	s_cbranch_execz .LBB40_218
; %bb.213:
	v_mov_b32_e32 v51, 3
	s_mov_b32 s8, exec_lo
	v_cmpx_nle_f32_e64 0x3fa00000, |v52|
	s_cbranch_execz .LBB40_217
; %bb.214:
	v_mov_b32_e32 v51, 2
	s_mov_b32 s9, exec_lo
	v_cmpx_nle_f32_e64 0x3f400000, |v52|
; %bb.215:
	v_cmp_le_f32_e64 s10, 0x3e800000, |v52|
	s_delay_alu instid0(VALU_DEP_1)
	v_cndmask_b32_e64 v51, 0, 1, s10
; %bb.216:
	s_or_b32 exec_lo, exec_lo, s9
.LBB40_217:
	s_delay_alu instid0(SALU_CYCLE_1)
	s_or_b32 exec_lo, exec_lo, s8
.LBB40_218:
	s_delay_alu instid0(SALU_CYCLE_1)
	s_or_b32 exec_lo, exec_lo, s7
.LBB40_219:
	s_delay_alu instid0(SALU_CYCLE_1)
	s_or_b32 exec_lo, exec_lo, s6
.LBB40_220:
	s_delay_alu instid0(SALU_CYCLE_1)
	s_or_b32 exec_lo, exec_lo, s3
.LBB40_221:
	s_delay_alu instid0(SALU_CYCLE_1) | instskip(SKIP_3) | instid1(VALU_DEP_2)
	s_or_b32 exec_lo, exec_lo, s2
	v_dual_mul_f32 v56, v10, v48 :: v_dual_mov_b32 v55, 7
	v_mov_b32_e32 v48, 7
	s_mov_b32 s2, exec_lo
	v_cmpx_nle_f32_e64 0x40a00000, |v56|
	s_cbranch_execz .LBB40_233
; %bb.222:
	v_mov_b32_e32 v55, 6
	s_mov_b32 s3, exec_lo
	v_cmpx_nle_f32_e64 0x40600000, |v56|
	s_cbranch_execz .LBB40_232
; %bb.223:
	v_mov_b32_e32 v55, 5
	s_mov_b32 s6, exec_lo
	v_cmpx_nle_f32_e64 0x40200000, |v56|
	s_cbranch_execz .LBB40_231
; %bb.224:
	v_mov_b32_e32 v55, 4
	s_mov_b32 s7, exec_lo
	v_cmpx_nle_f32_e64 0x3fe00000, |v56|
	s_cbranch_execz .LBB40_230
; %bb.225:
	v_mov_b32_e32 v55, 3
	s_mov_b32 s8, exec_lo
	v_cmpx_nle_f32_e64 0x3fa00000, |v56|
	s_cbranch_execz .LBB40_229
; %bb.226:
	v_mov_b32_e32 v55, 2
	s_mov_b32 s9, exec_lo
	v_cmpx_nle_f32_e64 0x3f400000, |v56|
; %bb.227:
	v_cmp_le_f32_e64 s10, 0x3e800000, |v56|
	s_delay_alu instid0(VALU_DEP_1)
	v_cndmask_b32_e64 v55, 0, 1, s10
; %bb.228:
	s_or_b32 exec_lo, exec_lo, s9
.LBB40_229:
	s_delay_alu instid0(SALU_CYCLE_1)
	s_or_b32 exec_lo, exec_lo, s8
.LBB40_230:
	s_delay_alu instid0(SALU_CYCLE_1)
	s_or_b32 exec_lo, exec_lo, s7
.LBB40_231:
	s_delay_alu instid0(SALU_CYCLE_1)
	s_or_b32 exec_lo, exec_lo, s6
.LBB40_232:
	s_delay_alu instid0(SALU_CYCLE_1)
	s_or_b32 exec_lo, exec_lo, s3
.LBB40_233:
	s_delay_alu instid0(SALU_CYCLE_1) | instskip(SKIP_2) | instid1(VALU_DEP_1)
	s_or_b32 exec_lo, exec_lo, s2
	v_mul_f32_e32 v46, v10, v46
	s_mov_b32 s2, exec_lo
	v_cmpx_nle_f32_e64 0x40a00000, |v46|
	s_cbranch_execz .LBB40_245
; %bb.234:
	v_mov_b32_e32 v48, 6
	s_mov_b32 s3, exec_lo
	v_cmpx_nle_f32_e64 0x40600000, |v46|
	s_cbranch_execz .LBB40_244
; %bb.235:
	v_mov_b32_e32 v48, 5
	;; [unrolled: 5-line block ×5, first 2 shown]
	s_mov_b32 s9, exec_lo
	v_cmpx_nle_f32_e64 0x3f400000, |v46|
; %bb.239:
	v_cmp_le_f32_e64 s10, 0x3e800000, |v46|
	s_delay_alu instid0(VALU_DEP_1)
	v_cndmask_b32_e64 v48, 0, 1, s10
; %bb.240:
	s_or_b32 exec_lo, exec_lo, s9
.LBB40_241:
	s_delay_alu instid0(SALU_CYCLE_1)
	s_or_b32 exec_lo, exec_lo, s8
.LBB40_242:
	s_delay_alu instid0(SALU_CYCLE_1)
	s_or_b32 exec_lo, exec_lo, s7
.LBB40_243:
	s_delay_alu instid0(SALU_CYCLE_1)
	s_or_b32 exec_lo, exec_lo, s6
.LBB40_244:
	s_delay_alu instid0(SALU_CYCLE_1)
	s_or_b32 exec_lo, exec_lo, s3
.LBB40_245:
	s_delay_alu instid0(SALU_CYCLE_1) | instskip(SKIP_3) | instid1(VALU_DEP_2)
	s_or_b32 exec_lo, exec_lo, s2
	v_dual_mul_f32 v58, v10, v42 :: v_dual_mov_b32 v57, 7
	v_mov_b32_e32 v42, 7
	s_mov_b32 s2, exec_lo
	v_cmpx_nle_f32_e64 0x40a00000, |v58|
	s_cbranch_execz .LBB40_257
; %bb.246:
	v_mov_b32_e32 v57, 6
	s_mov_b32 s3, exec_lo
	v_cmpx_nle_f32_e64 0x40600000, |v58|
	s_cbranch_execz .LBB40_256
; %bb.247:
	;; [unrolled: 5-line block ×5, first 2 shown]
	v_mov_b32_e32 v57, 2
	s_mov_b32 s9, exec_lo
	v_cmpx_nle_f32_e64 0x3f400000, |v58|
; %bb.251:
	v_cmp_le_f32_e64 s10, 0x3e800000, |v58|
	s_delay_alu instid0(VALU_DEP_1)
	v_cndmask_b32_e64 v57, 0, 1, s10
; %bb.252:
	s_or_b32 exec_lo, exec_lo, s9
.LBB40_253:
	s_delay_alu instid0(SALU_CYCLE_1)
	s_or_b32 exec_lo, exec_lo, s8
.LBB40_254:
	s_delay_alu instid0(SALU_CYCLE_1)
	s_or_b32 exec_lo, exec_lo, s7
.LBB40_255:
	s_delay_alu instid0(SALU_CYCLE_1)
	s_or_b32 exec_lo, exec_lo, s6
.LBB40_256:
	s_delay_alu instid0(SALU_CYCLE_1)
	s_or_b32 exec_lo, exec_lo, s3
.LBB40_257:
	s_delay_alu instid0(SALU_CYCLE_1) | instskip(SKIP_2) | instid1(VALU_DEP_1)
	s_or_b32 exec_lo, exec_lo, s2
	v_mul_f32_e32 v40, v10, v40
	s_mov_b32 s2, exec_lo
	v_cmpx_nle_f32_e64 0x40a00000, |v40|
	s_cbranch_execz .LBB40_269
; %bb.258:
	v_mov_b32_e32 v42, 6
	s_mov_b32 s3, exec_lo
	v_cmpx_nle_f32_e64 0x40600000, |v40|
	s_cbranch_execz .LBB40_268
; %bb.259:
	v_mov_b32_e32 v42, 5
	s_mov_b32 s6, exec_lo
	v_cmpx_nle_f32_e64 0x40200000, |v40|
	s_cbranch_execz .LBB40_267
; %bb.260:
	v_mov_b32_e32 v42, 4
	s_mov_b32 s7, exec_lo
	v_cmpx_nle_f32_e64 0x3fe00000, |v40|
	s_cbranch_execz .LBB40_266
; %bb.261:
	v_mov_b32_e32 v42, 3
	s_mov_b32 s8, exec_lo
	v_cmpx_nle_f32_e64 0x3fa00000, |v40|
	s_cbranch_execz .LBB40_265
; %bb.262:
	v_mov_b32_e32 v42, 2
	s_mov_b32 s9, exec_lo
	v_cmpx_nle_f32_e64 0x3f400000, |v40|
; %bb.263:
	v_cmp_le_f32_e64 s10, 0x3e800000, |v40|
	s_delay_alu instid0(VALU_DEP_1)
	v_cndmask_b32_e64 v42, 0, 1, s10
; %bb.264:
	s_or_b32 exec_lo, exec_lo, s9
.LBB40_265:
	s_delay_alu instid0(SALU_CYCLE_1)
	s_or_b32 exec_lo, exec_lo, s8
.LBB40_266:
	s_delay_alu instid0(SALU_CYCLE_1)
	s_or_b32 exec_lo, exec_lo, s7
.LBB40_267:
	s_delay_alu instid0(SALU_CYCLE_1)
	s_or_b32 exec_lo, exec_lo, s6
.LBB40_268:
	s_delay_alu instid0(SALU_CYCLE_1)
	s_or_b32 exec_lo, exec_lo, s3
.LBB40_269:
	s_delay_alu instid0(SALU_CYCLE_1) | instskip(SKIP_3) | instid1(VALU_DEP_2)
	s_or_b32 exec_lo, exec_lo, s2
	v_dual_mul_f32 v59, v10, v38 :: v_dual_mov_b32 v38, 7
	v_mov_b32_e32 v60, 7
	s_mov_b32 s2, exec_lo
	v_cmpx_nle_f32_e64 0x40a00000, |v59|
	s_cbranch_execz .LBB40_281
; %bb.270:
	v_mov_b32_e32 v60, 6
	s_mov_b32 s3, exec_lo
	v_cmpx_nle_f32_e64 0x40600000, |v59|
	s_cbranch_execz .LBB40_280
; %bb.271:
	;; [unrolled: 5-line block ×5, first 2 shown]
	v_mov_b32_e32 v60, 2
	s_mov_b32 s9, exec_lo
	v_cmpx_nle_f32_e64 0x3f400000, |v59|
; %bb.275:
	v_cmp_le_f32_e64 s10, 0x3e800000, |v59|
	s_delay_alu instid0(VALU_DEP_1)
	v_cndmask_b32_e64 v60, 0, 1, s10
; %bb.276:
	s_or_b32 exec_lo, exec_lo, s9
.LBB40_277:
	s_delay_alu instid0(SALU_CYCLE_1)
	s_or_b32 exec_lo, exec_lo, s8
.LBB40_278:
	s_delay_alu instid0(SALU_CYCLE_1)
	s_or_b32 exec_lo, exec_lo, s7
.LBB40_279:
	s_delay_alu instid0(SALU_CYCLE_1)
	s_or_b32 exec_lo, exec_lo, s6
.LBB40_280:
	s_delay_alu instid0(SALU_CYCLE_1)
	s_or_b32 exec_lo, exec_lo, s3
.LBB40_281:
	s_delay_alu instid0(SALU_CYCLE_1) | instskip(SKIP_2) | instid1(VALU_DEP_1)
	s_or_b32 exec_lo, exec_lo, s2
	v_mul_f32_e32 v33, v10, v33
	s_mov_b32 s2, exec_lo
	v_cmpx_nle_f32_e64 0x40a00000, |v33|
	s_cbranch_execz .LBB40_293
; %bb.282:
	v_mov_b32_e32 v38, 6
	s_mov_b32 s3, exec_lo
	v_cmpx_nle_f32_e64 0x40600000, |v33|
	s_cbranch_execz .LBB40_292
; %bb.283:
	v_mov_b32_e32 v38, 5
	s_mov_b32 s6, exec_lo
	v_cmpx_nle_f32_e64 0x40200000, |v33|
	s_cbranch_execz .LBB40_291
; %bb.284:
	v_mov_b32_e32 v38, 4
	s_mov_b32 s7, exec_lo
	v_cmpx_nle_f32_e64 0x3fe00000, |v33|
	s_cbranch_execz .LBB40_290
; %bb.285:
	v_mov_b32_e32 v38, 3
	s_mov_b32 s8, exec_lo
	v_cmpx_nle_f32_e64 0x3fa00000, |v33|
	s_cbranch_execz .LBB40_289
; %bb.286:
	v_mov_b32_e32 v38, 2
	s_mov_b32 s9, exec_lo
	v_cmpx_nle_f32_e64 0x3f400000, |v33|
; %bb.287:
	v_cmp_le_f32_e64 s10, 0x3e800000, |v33|
	s_delay_alu instid0(VALU_DEP_1)
	v_cndmask_b32_e64 v38, 0, 1, s10
; %bb.288:
	s_or_b32 exec_lo, exec_lo, s9
.LBB40_289:
	s_delay_alu instid0(SALU_CYCLE_1)
	s_or_b32 exec_lo, exec_lo, s8
.LBB40_290:
	s_delay_alu instid0(SALU_CYCLE_1)
	s_or_b32 exec_lo, exec_lo, s7
.LBB40_291:
	s_delay_alu instid0(SALU_CYCLE_1)
	s_or_b32 exec_lo, exec_lo, s6
.LBB40_292:
	s_delay_alu instid0(SALU_CYCLE_1)
	s_or_b32 exec_lo, exec_lo, s3
.LBB40_293:
	s_delay_alu instid0(SALU_CYCLE_1) | instskip(SKIP_3) | instid1(VALU_DEP_2)
	s_or_b32 exec_lo, exec_lo, s2
	v_dual_mul_f32 v62, v10, v32 :: v_dual_mov_b32 v61, 7
	v_mov_b32_e32 v32, 7
	s_mov_b32 s2, exec_lo
	v_cmpx_nle_f32_e64 0x40a00000, |v62|
	s_cbranch_execz .LBB40_305
; %bb.294:
	v_mov_b32_e32 v61, 6
	s_mov_b32 s3, exec_lo
	v_cmpx_nle_f32_e64 0x40600000, |v62|
	s_cbranch_execz .LBB40_304
; %bb.295:
	;; [unrolled: 5-line block ×5, first 2 shown]
	v_mov_b32_e32 v61, 2
	s_mov_b32 s9, exec_lo
	v_cmpx_nle_f32_e64 0x3f400000, |v62|
; %bb.299:
	v_cmp_le_f32_e64 s10, 0x3e800000, |v62|
	s_delay_alu instid0(VALU_DEP_1)
	v_cndmask_b32_e64 v61, 0, 1, s10
; %bb.300:
	s_or_b32 exec_lo, exec_lo, s9
.LBB40_301:
	s_delay_alu instid0(SALU_CYCLE_1)
	s_or_b32 exec_lo, exec_lo, s8
.LBB40_302:
	s_delay_alu instid0(SALU_CYCLE_1)
	s_or_b32 exec_lo, exec_lo, s7
.LBB40_303:
	s_delay_alu instid0(SALU_CYCLE_1)
	s_or_b32 exec_lo, exec_lo, s6
.LBB40_304:
	s_delay_alu instid0(SALU_CYCLE_1)
	s_or_b32 exec_lo, exec_lo, s3
.LBB40_305:
	s_delay_alu instid0(SALU_CYCLE_1) | instskip(SKIP_2) | instid1(VALU_DEP_1)
	s_or_b32 exec_lo, exec_lo, s2
	v_mul_f32_e32 v27, v10, v27
	s_mov_b32 s2, exec_lo
	v_cmpx_nle_f32_e64 0x40a00000, |v27|
	s_cbranch_execz .LBB40_317
; %bb.306:
	v_mov_b32_e32 v32, 6
	s_mov_b32 s3, exec_lo
	v_cmpx_nle_f32_e64 0x40600000, |v27|
	s_cbranch_execz .LBB40_316
; %bb.307:
	v_mov_b32_e32 v32, 5
	;; [unrolled: 5-line block ×5, first 2 shown]
	s_mov_b32 s9, exec_lo
	v_cmpx_nle_f32_e64 0x3f400000, |v27|
; %bb.311:
	v_cmp_le_f32_e64 s10, 0x3e800000, |v27|
	s_delay_alu instid0(VALU_DEP_1)
	v_cndmask_b32_e64 v32, 0, 1, s10
; %bb.312:
	s_or_b32 exec_lo, exec_lo, s9
.LBB40_313:
	s_delay_alu instid0(SALU_CYCLE_1)
	s_or_b32 exec_lo, exec_lo, s8
.LBB40_314:
	s_delay_alu instid0(SALU_CYCLE_1)
	s_or_b32 exec_lo, exec_lo, s7
.LBB40_315:
	s_delay_alu instid0(SALU_CYCLE_1)
	s_or_b32 exec_lo, exec_lo, s6
.LBB40_316:
	s_delay_alu instid0(SALU_CYCLE_1)
	s_or_b32 exec_lo, exec_lo, s3
.LBB40_317:
	s_delay_alu instid0(SALU_CYCLE_1) | instskip(SKIP_3) | instid1(VALU_DEP_2)
	s_or_b32 exec_lo, exec_lo, s2
	v_dual_mul_f32 v64, v10, v26 :: v_dual_mov_b32 v63, 7
	v_mov_b32_e32 v26, 7
	s_mov_b32 s2, exec_lo
	v_cmpx_nle_f32_e64 0x40a00000, |v64|
	s_cbranch_execz .LBB40_329
; %bb.318:
	v_mov_b32_e32 v63, 6
	s_mov_b32 s3, exec_lo
	v_cmpx_nle_f32_e64 0x40600000, |v64|
	s_cbranch_execz .LBB40_328
; %bb.319:
	;; [unrolled: 5-line block ×5, first 2 shown]
	v_mov_b32_e32 v63, 2
	s_mov_b32 s9, exec_lo
	v_cmpx_nle_f32_e64 0x3f400000, |v64|
; %bb.323:
	v_cmp_le_f32_e64 s10, 0x3e800000, |v64|
	s_delay_alu instid0(VALU_DEP_1)
	v_cndmask_b32_e64 v63, 0, 1, s10
; %bb.324:
	s_or_b32 exec_lo, exec_lo, s9
.LBB40_325:
	s_delay_alu instid0(SALU_CYCLE_1)
	s_or_b32 exec_lo, exec_lo, s8
.LBB40_326:
	s_delay_alu instid0(SALU_CYCLE_1)
	s_or_b32 exec_lo, exec_lo, s7
.LBB40_327:
	s_delay_alu instid0(SALU_CYCLE_1)
	s_or_b32 exec_lo, exec_lo, s6
.LBB40_328:
	s_delay_alu instid0(SALU_CYCLE_1)
	s_or_b32 exec_lo, exec_lo, s3
.LBB40_329:
	s_delay_alu instid0(SALU_CYCLE_1) | instskip(SKIP_2) | instid1(VALU_DEP_1)
	s_or_b32 exec_lo, exec_lo, s2
	v_mul_f32_e32 v21, v10, v21
	s_mov_b32 s2, exec_lo
	v_cmpx_nle_f32_e64 0x40a00000, |v21|
	s_cbranch_execz .LBB40_341
; %bb.330:
	v_mov_b32_e32 v26, 6
	s_mov_b32 s3, exec_lo
	v_cmpx_nle_f32_e64 0x40600000, |v21|
	s_cbranch_execz .LBB40_340
; %bb.331:
	v_mov_b32_e32 v26, 5
	;; [unrolled: 5-line block ×5, first 2 shown]
	s_mov_b32 s9, exec_lo
	v_cmpx_nle_f32_e64 0x3f400000, |v21|
; %bb.335:
	v_cmp_le_f32_e64 s10, 0x3e800000, |v21|
	s_delay_alu instid0(VALU_DEP_1)
	v_cndmask_b32_e64 v26, 0, 1, s10
; %bb.336:
	s_or_b32 exec_lo, exec_lo, s9
.LBB40_337:
	s_delay_alu instid0(SALU_CYCLE_1)
	s_or_b32 exec_lo, exec_lo, s8
.LBB40_338:
	s_delay_alu instid0(SALU_CYCLE_1)
	s_or_b32 exec_lo, exec_lo, s7
.LBB40_339:
	s_delay_alu instid0(SALU_CYCLE_1)
	s_or_b32 exec_lo, exec_lo, s6
.LBB40_340:
	s_delay_alu instid0(SALU_CYCLE_1)
	s_or_b32 exec_lo, exec_lo, s3
.LBB40_341:
	s_delay_alu instid0(SALU_CYCLE_1) | instskip(SKIP_3) | instid1(VALU_DEP_2)
	s_or_b32 exec_lo, exec_lo, s2
	v_dual_mul_f32 v65, v10, v19 :: v_dual_mov_b32 v66, 7
	v_mov_b32_e32 v19, 7
	s_mov_b32 s2, exec_lo
	v_cmpx_nle_f32_e64 0x40a00000, |v65|
	s_cbranch_execz .LBB40_353
; %bb.342:
	v_mov_b32_e32 v66, 6
	s_mov_b32 s3, exec_lo
	v_cmpx_nle_f32_e64 0x40600000, |v65|
	s_cbranch_execz .LBB40_352
; %bb.343:
	v_mov_b32_e32 v66, 5
	s_mov_b32 s6, exec_lo
	v_cmpx_nle_f32_e64 0x40200000, |v65|
	s_cbranch_execz .LBB40_351
; %bb.344:
	v_mov_b32_e32 v66, 4
	s_mov_b32 s7, exec_lo
	v_cmpx_nle_f32_e64 0x3fe00000, |v65|
	s_cbranch_execz .LBB40_350
; %bb.345:
	v_mov_b32_e32 v66, 3
	s_mov_b32 s8, exec_lo
	v_cmpx_nle_f32_e64 0x3fa00000, |v65|
	s_cbranch_execz .LBB40_349
; %bb.346:
	v_mov_b32_e32 v66, 2
	s_mov_b32 s9, exec_lo
	v_cmpx_nle_f32_e64 0x3f400000, |v65|
; %bb.347:
	v_cmp_le_f32_e64 s10, 0x3e800000, |v65|
	s_delay_alu instid0(VALU_DEP_1)
	v_cndmask_b32_e64 v66, 0, 1, s10
; %bb.348:
	s_or_b32 exec_lo, exec_lo, s9
.LBB40_349:
	s_delay_alu instid0(SALU_CYCLE_1)
	s_or_b32 exec_lo, exec_lo, s8
.LBB40_350:
	s_delay_alu instid0(SALU_CYCLE_1)
	s_or_b32 exec_lo, exec_lo, s7
.LBB40_351:
	s_delay_alu instid0(SALU_CYCLE_1)
	s_or_b32 exec_lo, exec_lo, s6
.LBB40_352:
	s_delay_alu instid0(SALU_CYCLE_1)
	s_or_b32 exec_lo, exec_lo, s3
.LBB40_353:
	s_delay_alu instid0(SALU_CYCLE_1) | instskip(SKIP_2) | instid1(VALU_DEP_1)
	s_or_b32 exec_lo, exec_lo, s2
	v_mul_f32_e32 v15, v10, v15
	s_mov_b32 s2, exec_lo
	v_cmpx_nle_f32_e64 0x40a00000, |v15|
	s_cbranch_execz .LBB40_365
; %bb.354:
	v_mov_b32_e32 v19, 6
	s_mov_b32 s3, exec_lo
	v_cmpx_nle_f32_e64 0x40600000, |v15|
	s_cbranch_execz .LBB40_364
; %bb.355:
	v_mov_b32_e32 v19, 5
	s_mov_b32 s6, exec_lo
	v_cmpx_nle_f32_e64 0x40200000, |v15|
	s_cbranch_execz .LBB40_363
; %bb.356:
	v_mov_b32_e32 v19, 4
	s_mov_b32 s7, exec_lo
	v_cmpx_nle_f32_e64 0x3fe00000, |v15|
	s_cbranch_execz .LBB40_362
; %bb.357:
	v_mov_b32_e32 v19, 3
	s_mov_b32 s8, exec_lo
	v_cmpx_nle_f32_e64 0x3fa00000, |v15|
	s_cbranch_execz .LBB40_361
; %bb.358:
	v_mov_b32_e32 v19, 2
	s_mov_b32 s9, exec_lo
	v_cmpx_nle_f32_e64 0x3f400000, |v15|
; %bb.359:
	v_cmp_le_f32_e64 s10, 0x3e800000, |v15|
	s_delay_alu instid0(VALU_DEP_1)
	v_cndmask_b32_e64 v19, 0, 1, s10
; %bb.360:
	s_or_b32 exec_lo, exec_lo, s9
.LBB40_361:
	s_delay_alu instid0(SALU_CYCLE_1)
	s_or_b32 exec_lo, exec_lo, s8
.LBB40_362:
	s_delay_alu instid0(SALU_CYCLE_1)
	s_or_b32 exec_lo, exec_lo, s7
.LBB40_363:
	s_delay_alu instid0(SALU_CYCLE_1)
	s_or_b32 exec_lo, exec_lo, s6
.LBB40_364:
	s_delay_alu instid0(SALU_CYCLE_1)
	s_or_b32 exec_lo, exec_lo, s3
.LBB40_365:
	s_delay_alu instid0(SALU_CYCLE_1) | instskip(SKIP_4) | instid1(VALU_DEP_2)
	s_or_b32 exec_lo, exec_lo, s2
	s_load_b64 s[2:3], s[0:1], 0x10
	v_dual_mul_f32 v68, v10, v13 :: v_dual_mov_b32 v13, 7
	v_mov_b32_e32 v67, 7
	s_mov_b32 s6, exec_lo
	v_cmpx_nle_f32_e64 0x40a00000, |v68|
	s_cbranch_execz .LBB40_377
; %bb.366:
	v_mov_b32_e32 v67, 6
	s_mov_b32 s7, exec_lo
	v_cmpx_nle_f32_e64 0x40600000, |v68|
	s_cbranch_execz .LBB40_376
; %bb.367:
	;; [unrolled: 5-line block ×5, first 2 shown]
	v_mov_b32_e32 v67, 2
	s_mov_b32 s11, exec_lo
	v_cmpx_nle_f32_e64 0x3f400000, |v68|
; %bb.371:
	v_cmp_le_f32_e64 s12, 0x3e800000, |v68|
	s_delay_alu instid0(VALU_DEP_1)
	v_cndmask_b32_e64 v67, 0, 1, s12
; %bb.372:
	s_or_b32 exec_lo, exec_lo, s11
.LBB40_373:
	s_delay_alu instid0(SALU_CYCLE_1)
	s_or_b32 exec_lo, exec_lo, s10
.LBB40_374:
	s_delay_alu instid0(SALU_CYCLE_1)
	s_or_b32 exec_lo, exec_lo, s9
.LBB40_375:
	s_delay_alu instid0(SALU_CYCLE_1)
	s_or_b32 exec_lo, exec_lo, s8
.LBB40_376:
	s_delay_alu instid0(SALU_CYCLE_1)
	s_or_b32 exec_lo, exec_lo, s7
.LBB40_377:
	s_delay_alu instid0(SALU_CYCLE_1) | instskip(SKIP_3) | instid1(VALU_DEP_1)
	s_or_b32 exec_lo, exec_lo, s6
	s_load_b64 s[0:1], s[0:1], 0x8
	v_mul_f32_e32 v8, v10, v8
	s_mov_b32 s6, exec_lo
	v_cmpx_nle_f32_e64 0x40a00000, |v8|
	s_cbranch_execz .LBB40_389
; %bb.378:
	v_mov_b32_e32 v13, 6
	s_mov_b32 s7, exec_lo
	v_cmpx_nle_f32_e64 0x40600000, |v8|
	s_cbranch_execz .LBB40_388
; %bb.379:
	v_mov_b32_e32 v13, 5
	;; [unrolled: 5-line block ×5, first 2 shown]
	s_mov_b32 s11, exec_lo
	v_cmpx_nle_f32_e64 0x3f400000, |v8|
; %bb.383:
	v_cmp_le_f32_e64 s12, 0x3e800000, |v8|
	s_delay_alu instid0(VALU_DEP_1)
	v_cndmask_b32_e64 v13, 0, 1, s12
; %bb.384:
	s_or_b32 exec_lo, exec_lo, s11
.LBB40_385:
	s_delay_alu instid0(SALU_CYCLE_1)
	s_or_b32 exec_lo, exec_lo, s10
.LBB40_386:
	s_delay_alu instid0(SALU_CYCLE_1)
	s_or_b32 exec_lo, exec_lo, s9
.LBB40_387:
	s_delay_alu instid0(SALU_CYCLE_1)
	s_or_b32 exec_lo, exec_lo, s8
.LBB40_388:
	s_delay_alu instid0(SALU_CYCLE_1)
	s_or_b32 exec_lo, exec_lo, s7
.LBB40_389:
	s_delay_alu instid0(SALU_CYCLE_1)
	s_or_b32 exec_lo, exec_lo, s6
	v_cmp_gt_f32_e32 vcc_lo, 0, v68
	v_lshlrev_b16 v6, 4, v6
	v_lshlrev_b16 v9, 4, v9
	;; [unrolled: 1-line block ×4, first 2 shown]
	v_cndmask_b32_e64 v10, 0, 1, vcc_lo
	v_cmp_gt_f32_e32 vcc_lo, 0, v65
	s_lshr_b32 s6, s4, 31
	s_delay_alu instid0(SALU_CYCLE_1) | instskip(NEXT) | instid1(VALU_DEP_2)
	s_add_i32 s4, s4, s6
	v_lshlrev_b16 v10, 3, v10
	v_cndmask_b32_e64 v65, 0, 1, vcc_lo
	v_cmp_gt_f32_e32 vcc_lo, 0, v64
	s_ashr_i32 s4, s4, 1
	s_delay_alu instid0(SALU_CYCLE_1) | instskip(NEXT) | instid1(VALU_DEP_2)
	s_ashr_i32 s6, s4, 31
	v_lshlrev_b16 v65, 3, v65
	v_cndmask_b32_e64 v64, 0, 1, vcc_lo
	v_cmp_gt_f32_e32 vcc_lo, 0, v62
	v_or_b32_e32 v10, v10, v67
	v_mul_lo_u32 v1, v1, s4
	v_or_b32_e32 v65, v65, v66
	v_lshlrev_b16 v64, 3, v64
	v_cndmask_b32_e64 v62, 0, 1, vcc_lo
	v_cmp_gt_f32_e32 vcc_lo, 0, v59
	s_delay_alu instid0(VALU_DEP_3) | instskip(NEXT) | instid1(VALU_DEP_3)
	v_or_b32_e32 v63, v64, v63
	v_lshlrev_b16 v62, 3, v62
	v_cndmask_b32_e64 v59, 0, 1, vcc_lo
	v_cmp_gt_f32_e32 vcc_lo, 0, v58
	s_delay_alu instid0(VALU_DEP_3) | instskip(NEXT) | instid1(VALU_DEP_3)
	;; [unrolled: 5-line block ×11, first 2 shown]
	v_or_b32_e32 v11, v11, v12
	v_lshlrev_b16 v24, 3, v24
	v_cndmask_b32_e64 v18, 0, 1, vcc_lo
	v_cmp_gt_f32_e32 vcc_lo, 0, v5
	s_delay_alu instid0(VALU_DEP_2) | instskip(SKIP_2) | instid1(VALU_DEP_2)
	v_lshlrev_b16 v18, 3, v18
	v_cndmask_b32_e64 v5, 0, 1, vcc_lo
	v_cmp_gt_f32_e32 vcc_lo, 0, v7
	v_lshlrev_b16 v5, 3, v5
	v_cndmask_b32_e64 v7, 0, 1, vcc_lo
	v_cmp_gt_f32_e32 vcc_lo, 0, v14
	s_delay_alu instid0(VALU_DEP_3) | instskip(NEXT) | instid1(VALU_DEP_3)
	v_or_b32_e32 v4, v5, v4
	v_lshlrev_b16 v7, 7, v7
	v_cndmask_b32_e64 v12, 0, 1, vcc_lo
	v_cmp_gt_f32_e32 vcc_lo, 0, v20
	s_delay_alu instid0(VALU_DEP_3) | instskip(NEXT) | instid1(VALU_DEP_3)
	v_or_b32_e32 v5, v7, v6
	v_lshlrev_b16 v12, 7, v12
	v_cndmask_b32_e64 v14, 0, 1, vcc_lo
	v_lshlrev_b16 v7, 4, v17
	v_cmp_gt_f32_e32 vcc_lo, 0, v25
	v_or_b32_e32 v4, v5, v4
	v_or_b32_e32 v6, v12, v9
	v_lshlrev_b16 v9, 7, v14
	v_or_b32_e32 v14, v18, v16
	v_lshlrev_b16 v17, 4, v28
	v_lshlrev_b16 v18, 4, v34
	v_or_b32_e32 v5, v6, v11
	v_or_b32_e32 v6, v9, v7
	v_cndmask_b32_e64 v9, 0, 1, vcc_lo
	v_cmp_gt_f32_e32 vcc_lo, 0, v31
	v_lshlrev_b16 v7, 4, v22
	v_or_b32_e32 v12, v24, v23
	v_or_b32_e32 v6, v6, v14
	v_lshlrev_b16 v9, 7, v9
	v_cndmask_b32_e64 v11, 0, 1, vcc_lo
	v_cmp_gt_f32_e32 vcc_lo, 0, v37
	v_lshlrev_b16 v14, 4, v45
	v_lshlrev_b16 v22, 4, v48
	v_or_b32_e32 v7, v9, v7
	v_lshlrev_b16 v11, 7, v11
	v_cndmask_b32_e64 v16, 0, 1, vcc_lo
	v_cmp_gt_f32_e32 vcc_lo, 0, v41
	v_lshlrev_b16 v25, 4, v26
	v_or_b32_e32 v7, v7, v12
	v_or_b32_e32 v9, v11, v17
	v_lshlrev_b16 v16, 7, v16
	v_cndmask_b32_e64 v20, 0, 1, vcc_lo
	v_cmp_gt_f32_e32 vcc_lo, 0, v47
	v_lshlrev_b16 v5, 8, v5
	v_or_b32_e32 v9, v9, v29
	v_or_b32_e32 v11, v16, v18
	v_lshlrev_b16 v16, 4, v39
	v_lshlrev_b16 v17, 7, v20
	v_lshlrev_b16 v20, 4, v51
	v_or_b32_e32 v4, v4, v5
	v_or_b32_e32 v11, v11, v35
	v_lshlrev_b16 v5, 8, v7
	v_or_b32_e32 v12, v17, v16
	v_cndmask_b32_e64 v16, 0, 1, vcc_lo
	v_cmp_gt_f32_e32 vcc_lo, 0, v52
	v_lshlrev_b16 v11, 8, v11
	s_delay_alu instid0(VALU_DEP_4) | instskip(NEXT) | instid1(VALU_DEP_4)
	v_or_b32_e32 v12, v12, v43
	v_lshlrev_b16 v16, 7, v16
	v_cndmask_b32_e64 v17, 0, 1, vcc_lo
	v_cmp_gt_f32_e32 vcc_lo, 0, v46
	v_or_b32_e32 v9, v9, v11
	s_delay_alu instid0(VALU_DEP_4) | instskip(NEXT) | instid1(VALU_DEP_4)
	v_or_b32_e32 v14, v16, v14
	v_lshlrev_b16 v17, 7, v17
	v_cndmask_b32_e64 v18, 0, 1, vcc_lo
	v_cmp_gt_f32_e32 vcc_lo, 0, v40
	s_delay_alu instid0(VALU_DEP_4) | instskip(NEXT) | instid1(VALU_DEP_4)
	v_or_b32_e32 v14, v14, v49
	v_or_b32_e32 v16, v17, v20
	s_delay_alu instid0(VALU_DEP_4)
	v_lshlrev_b16 v18, 7, v18
	v_cndmask_b32_e64 v23, 0, 1, vcc_lo
	v_cmp_gt_f32_e32 vcc_lo, 0, v33
	v_lshlrev_b16 v11, 8, v14
	v_or_b32_e32 v16, v16, v53
	v_or_b32_e32 v17, v18, v22
	v_lshlrev_b16 v18, 4, v42
	v_cndmask_b32_e64 v22, 0, 1, vcc_lo
	v_cmp_gt_f32_e32 vcc_lo, 0, v21
	v_lshlrev_b16 v20, 7, v23
	v_lshlrev_b16 v23, 4, v32
	v_or_b32_e32 v17, v17, v55
	v_and_b32_e32 v14, 0xffff, v9
	v_cndmask_b32_e64 v21, 0, 1, vcc_lo
	v_cmp_gt_f32_e32 vcc_lo, 0, v27
	v_or_b32_e32 v18, v20, v18
	v_lshlrev_b16 v20, 4, v38
	s_delay_alu instid0(VALU_DEP_4) | instskip(SKIP_3) | instid1(VALU_DEP_4)
	v_lshlrev_b16 v21, 7, v21
	v_cndmask_b32_e64 v24, 0, 1, vcc_lo
	v_cmp_gt_f32_e32 vcc_lo, 0, v8
	v_or_b32_e32 v18, v18, v57
	v_or_b32_e32 v21, v21, v25
	s_delay_alu instid0(VALU_DEP_4) | instskip(SKIP_2) | instid1(VALU_DEP_2)
	v_lshlrev_b16 v24, 7, v24
	v_cndmask_b32_e64 v8, 0, 1, vcc_lo
	v_cmp_gt_f32_e32 vcc_lo, 0, v15
	v_lshlrev_b16 v8, 7, v8
	v_cndmask_b32_e64 v15, 0, 1, vcc_lo
	s_delay_alu instid0(VALU_DEP_2) | instskip(NEXT) | instid1(VALU_DEP_2)
	v_or_b32_e32 v8, v8, v13
	v_lshlrev_b16 v15, 7, v15
	v_lshlrev_b16 v13, 7, v22
	v_or_b32_e32 v22, v24, v23
	s_delay_alu instid0(VALU_DEP_4) | instskip(NEXT) | instid1(VALU_DEP_4)
	v_or_b32_e32 v8, v8, v10
	v_or_b32_e32 v15, v15, v19
	;; [unrolled: 1-line block ×5, first 2 shown]
	v_lshlrev_b16 v8, 8, v8
	v_or_b32_e32 v15, v15, v65
	v_lshlrev_b16 v19, 8, v19
	v_lshrrev_b32_e32 v20, 23, v3
	v_or_b32_e32 v10, v10, v59
	s_delay_alu instid0(VALU_DEP_4) | instskip(NEXT) | instid1(VALU_DEP_4)
	v_or_b32_e32 v8, v15, v8
	v_or_b32_e32 v3, v13, v19
	v_lshlrev_b16 v13, 8, v17
	s_delay_alu instid0(VALU_DEP_4) | instskip(NEXT) | instid1(VALU_DEP_4)
	v_lshlrev_b16 v10, 8, v10
	v_lshlrev_b32_e32 v15, 16, v8
	s_delay_alu instid0(VALU_DEP_4) | instskip(NEXT) | instid1(VALU_DEP_4)
	v_and_b32_e32 v3, 0xffff, v3
	v_or_b32_e32 v8, v16, v13
	v_mul_lo_u32 v16, v0, s6
	v_or_b32_e32 v10, v18, v10
	s_delay_alu instid0(VALU_DEP_3)
	v_and_b32_e32 v13, 0xffff, v8
	v_or_b32_e32 v8, v12, v11
	v_and_b32_e32 v12, 0xffff, v4
	v_or_b32_e32 v4, v6, v5
	s_waitcnt lgkmcnt(0)
	v_mad_u64_u32 v[6:7], null, v0, s4, s[0:1]
	v_lshlrev_b32_e32 v11, 16, v8
	v_mad_u64_u32 v[8:9], null, v0, s5, v[2:3]
	v_lshlrev_b32_e32 v0, 16, v4
	v_lshlrev_b32_e32 v9, 4, v2
	;; [unrolled: 1-line block ×3, first 2 shown]
	v_add3_u32 v1, v1, v7, v16
	v_or_b32_e32 v5, v3, v15
	v_or_b32_e32 v2, v12, v0
	v_ashrrev_i32_e32 v7, 31, v8
	v_add_co_u32 v0, vcc_lo, v6, v9
	v_add_co_ci_u32_e32 v1, vcc_lo, 0, v1, vcc_lo
	v_add_co_u32 v6, vcc_lo, s2, v8
	v_or_b32_e32 v4, v13, v10
	v_or_b32_e32 v3, v14, v11
	v_add_co_ci_u32_e32 v7, vcc_lo, s3, v7, vcc_lo
	global_store_b128 v[0:1], v[2:5], off
	global_store_b8 v[6:7], v20, off
.LBB40_390:
	s_nop 0
	s_sendmsg sendmsg(MSG_DEALLOC_VGPRS)
	s_endpgm
	.section	.rodata,"a",@progbits
	.p2align	6, 0x0
	.amdhsa_kernel _ZN5aiter18quant_mxfp4_kernelI12hip_bfloat16LNS_16MxScaleRoundModeE3ELb0ELb0ELb0EEEvPKT_PhPfliiib
		.amdhsa_group_segment_fixed_size 0
		.amdhsa_private_segment_fixed_size 0
		.amdhsa_kernarg_size 304
		.amdhsa_user_sgpr_count 15
		.amdhsa_user_sgpr_dispatch_ptr 0
		.amdhsa_user_sgpr_queue_ptr 0
		.amdhsa_user_sgpr_kernarg_segment_ptr 1
		.amdhsa_user_sgpr_dispatch_id 0
		.amdhsa_user_sgpr_private_segment_size 0
		.amdhsa_wavefront_size32 1
		.amdhsa_uses_dynamic_stack 0
		.amdhsa_enable_private_segment 0
		.amdhsa_system_sgpr_workgroup_id_x 1
		.amdhsa_system_sgpr_workgroup_id_y 0
		.amdhsa_system_sgpr_workgroup_id_z 0
		.amdhsa_system_sgpr_workgroup_info 0
		.amdhsa_system_vgpr_workitem_id 0
		.amdhsa_next_free_vgpr 69
		.amdhsa_next_free_sgpr 16
		.amdhsa_reserve_vcc 1
		.amdhsa_float_round_mode_32 0
		.amdhsa_float_round_mode_16_64 0
		.amdhsa_float_denorm_mode_32 3
		.amdhsa_float_denorm_mode_16_64 3
		.amdhsa_dx10_clamp 1
		.amdhsa_ieee_mode 1
		.amdhsa_fp16_overflow 0
		.amdhsa_workgroup_processor_mode 1
		.amdhsa_memory_ordered 1
		.amdhsa_forward_progress 0
		.amdhsa_shared_vgpr_count 0
		.amdhsa_exception_fp_ieee_invalid_op 0
		.amdhsa_exception_fp_denorm_src 0
		.amdhsa_exception_fp_ieee_div_zero 0
		.amdhsa_exception_fp_ieee_overflow 0
		.amdhsa_exception_fp_ieee_underflow 0
		.amdhsa_exception_fp_ieee_inexact 0
		.amdhsa_exception_int_div_zero 0
	.end_amdhsa_kernel
	.section	.text._ZN5aiter18quant_mxfp4_kernelI12hip_bfloat16LNS_16MxScaleRoundModeE3ELb0ELb0ELb0EEEvPKT_PhPfliiib,"axG",@progbits,_ZN5aiter18quant_mxfp4_kernelI12hip_bfloat16LNS_16MxScaleRoundModeE3ELb0ELb0ELb0EEEvPKT_PhPfliiib,comdat
.Lfunc_end40:
	.size	_ZN5aiter18quant_mxfp4_kernelI12hip_bfloat16LNS_16MxScaleRoundModeE3ELb0ELb0ELb0EEEvPKT_PhPfliiib, .Lfunc_end40-_ZN5aiter18quant_mxfp4_kernelI12hip_bfloat16LNS_16MxScaleRoundModeE3ELb0ELb0ELb0EEEvPKT_PhPfliiib
                                        ; -- End function
	.section	.AMDGPU.csdata,"",@progbits
; Kernel info:
; codeLenInByte = 9952
; NumSgprs: 18
; NumVgprs: 69
; ScratchSize: 0
; MemoryBound: 0
; FloatMode: 240
; IeeeMode: 1
; LDSByteSize: 0 bytes/workgroup (compile time only)
; SGPRBlocks: 2
; VGPRBlocks: 8
; NumSGPRsForWavesPerEU: 18
; NumVGPRsForWavesPerEU: 69
; Occupancy: 16
; WaveLimiterHint : 0
; COMPUTE_PGM_RSRC2:SCRATCH_EN: 0
; COMPUTE_PGM_RSRC2:USER_SGPR: 15
; COMPUTE_PGM_RSRC2:TRAP_HANDLER: 0
; COMPUTE_PGM_RSRC2:TGID_X_EN: 1
; COMPUTE_PGM_RSRC2:TGID_Y_EN: 0
; COMPUTE_PGM_RSRC2:TGID_Z_EN: 0
; COMPUTE_PGM_RSRC2:TIDIG_COMP_CNT: 0
	.text
	.p2alignl 7, 3214868480
	.fill 96, 4, 3214868480
	.type	__hip_cuid_b02779cba38b01c8,@object ; @__hip_cuid_b02779cba38b01c8
	.section	.bss,"aw",@nobits
	.globl	__hip_cuid_b02779cba38b01c8
__hip_cuid_b02779cba38b01c8:
	.byte	0                               ; 0x0
	.size	__hip_cuid_b02779cba38b01c8, 1

	.ident	"AMD clang version 19.0.0git (https://github.com/RadeonOpenCompute/llvm-project roc-6.4.0 25133 c7fe45cf4b819c5991fe208aaa96edf142730f1d)"
	.section	".note.GNU-stack","",@progbits
	.addrsig
	.addrsig_sym __hip_cuid_b02779cba38b01c8
	.amdgpu_metadata
---
amdhsa.kernels:
  - .args:           []
    .group_segment_fixed_size: 0
    .kernarg_segment_align: 4
    .kernarg_segment_size: 0
    .language:       OpenCL C
    .language_version:
      - 2
      - 0
    .max_flat_workgroup_size: 1024
    .name:           _ZN7ck_tileL11flush_cacheEv
    .private_segment_fixed_size: 0
    .sgpr_count:     0
    .sgpr_spill_count: 0
    .symbol:         _ZN7ck_tileL11flush_cacheEv.kd
    .uniform_work_group_size: 1
    .uses_dynamic_stack: false
    .vgpr_count:     0
    .vgpr_spill_count: 0
    .wavefront_size: 32
    .workgroup_processor_mode: 1
  - .args:
      - .actual_access:  read_only
        .address_space:  global
        .offset:         0
        .size:           8
        .value_kind:     global_buffer
      - .actual_access:  write_only
        .address_space:  global
        .offset:         8
        .size:           8
        .value_kind:     global_buffer
      - .actual_access:  write_only
        .address_space:  global
        .offset:         16
        .size:           8
        .value_kind:     global_buffer
      - .offset:         24
        .size:           8
        .value_kind:     by_value
      - .offset:         32
        .size:           4
        .value_kind:     by_value
      - .offset:         36
        .size:           4
        .value_kind:     by_value
      - .offset:         40
        .size:           4
        .value_kind:     by_value
      - .offset:         44
        .size:           1
        .value_kind:     by_value
      - .offset:         48
        .size:           4
        .value_kind:     hidden_block_count_x
      - .offset:         52
        .size:           4
        .value_kind:     hidden_block_count_y
      - .offset:         56
        .size:           4
        .value_kind:     hidden_block_count_z
      - .offset:         60
        .size:           2
        .value_kind:     hidden_group_size_x
      - .offset:         62
        .size:           2
        .value_kind:     hidden_group_size_y
      - .offset:         64
        .size:           2
        .value_kind:     hidden_group_size_z
      - .offset:         66
        .size:           2
        .value_kind:     hidden_remainder_x
      - .offset:         68
        .size:           2
        .value_kind:     hidden_remainder_y
      - .offset:         70
        .size:           2
        .value_kind:     hidden_remainder_z
      - .offset:         88
        .size:           8
        .value_kind:     hidden_global_offset_x
      - .offset:         96
        .size:           8
        .value_kind:     hidden_global_offset_y
      - .offset:         104
        .size:           8
        .value_kind:     hidden_global_offset_z
      - .offset:         112
        .size:           2
        .value_kind:     hidden_grid_dims
    .group_segment_fixed_size: 0
    .kernarg_segment_align: 8
    .kernarg_segment_size: 304
    .language:       OpenCL C
    .language_version:
      - 2
      - 0
    .max_flat_workgroup_size: 256
    .name:           _ZN5aiter18quant_mxfp4_kernelI6__halfLNS_16MxScaleRoundModeE0ELb1ELb0ELb1EEEvPKT_PhPfliiib
    .private_segment_fixed_size: 0
    .sgpr_count:     18
    .sgpr_spill_count: 0
    .symbol:         _ZN5aiter18quant_mxfp4_kernelI6__halfLNS_16MxScaleRoundModeE0ELb1ELb0ELb1EEEvPKT_PhPfliiib.kd
    .uniform_work_group_size: 1
    .uses_dynamic_stack: false
    .vgpr_count:     69
    .vgpr_spill_count: 0
    .wavefront_size: 32
    .workgroup_processor_mode: 1
  - .args:
      - .actual_access:  read_only
        .address_space:  global
        .offset:         0
        .size:           8
        .value_kind:     global_buffer
      - .actual_access:  write_only
        .address_space:  global
        .offset:         8
        .size:           8
        .value_kind:     global_buffer
      - .actual_access:  write_only
        .address_space:  global
        .offset:         16
        .size:           8
        .value_kind:     global_buffer
      - .offset:         24
        .size:           8
        .value_kind:     by_value
      - .offset:         32
        .size:           4
        .value_kind:     by_value
      - .offset:         36
        .size:           4
        .value_kind:     by_value
      - .offset:         40
        .size:           4
        .value_kind:     by_value
      - .offset:         44
        .size:           1
        .value_kind:     by_value
      - .offset:         48
        .size:           4
        .value_kind:     hidden_block_count_x
      - .offset:         52
        .size:           4
        .value_kind:     hidden_block_count_y
      - .offset:         56
        .size:           4
        .value_kind:     hidden_block_count_z
      - .offset:         60
        .size:           2
        .value_kind:     hidden_group_size_x
      - .offset:         62
        .size:           2
        .value_kind:     hidden_group_size_y
      - .offset:         64
        .size:           2
        .value_kind:     hidden_group_size_z
      - .offset:         66
        .size:           2
        .value_kind:     hidden_remainder_x
      - .offset:         68
        .size:           2
        .value_kind:     hidden_remainder_y
      - .offset:         70
        .size:           2
        .value_kind:     hidden_remainder_z
      - .offset:         88
        .size:           8
        .value_kind:     hidden_global_offset_x
      - .offset:         96
        .size:           8
        .value_kind:     hidden_global_offset_y
      - .offset:         104
        .size:           8
        .value_kind:     hidden_global_offset_z
      - .offset:         112
        .size:           2
        .value_kind:     hidden_grid_dims
    .group_segment_fixed_size: 0
    .kernarg_segment_align: 8
    .kernarg_segment_size: 304
    .language:       OpenCL C
    .language_version:
      - 2
      - 0
    .max_flat_workgroup_size: 256
    .name:           _ZN5aiter18quant_mxfp4_kernelI6__halfLNS_16MxScaleRoundModeE0ELb1ELb0ELb0EEEvPKT_PhPfliiib
    .private_segment_fixed_size: 0
    .sgpr_count:     18
    .sgpr_spill_count: 0
    .symbol:         _ZN5aiter18quant_mxfp4_kernelI6__halfLNS_16MxScaleRoundModeE0ELb1ELb0ELb0EEEvPKT_PhPfliiib.kd
    .uniform_work_group_size: 1
    .uses_dynamic_stack: false
    .vgpr_count:     69
    .vgpr_spill_count: 0
    .wavefront_size: 32
    .workgroup_processor_mode: 1
  - .args:
      - .actual_access:  read_only
        .address_space:  global
        .offset:         0
        .size:           8
        .value_kind:     global_buffer
      - .actual_access:  write_only
        .address_space:  global
        .offset:         8
        .size:           8
        .value_kind:     global_buffer
      - .actual_access:  write_only
        .address_space:  global
        .offset:         16
        .size:           8
        .value_kind:     global_buffer
      - .offset:         24
        .size:           8
        .value_kind:     by_value
      - .offset:         32
        .size:           4
        .value_kind:     by_value
      - .offset:         36
        .size:           4
        .value_kind:     by_value
      - .offset:         40
        .size:           4
        .value_kind:     by_value
      - .offset:         44
        .size:           1
        .value_kind:     by_value
      - .offset:         48
        .size:           4
        .value_kind:     hidden_block_count_x
      - .offset:         52
        .size:           4
        .value_kind:     hidden_block_count_y
      - .offset:         56
        .size:           4
        .value_kind:     hidden_block_count_z
      - .offset:         60
        .size:           2
        .value_kind:     hidden_group_size_x
      - .offset:         62
        .size:           2
        .value_kind:     hidden_group_size_y
      - .offset:         64
        .size:           2
        .value_kind:     hidden_group_size_z
      - .offset:         66
        .size:           2
        .value_kind:     hidden_remainder_x
      - .offset:         68
        .size:           2
        .value_kind:     hidden_remainder_y
      - .offset:         70
        .size:           2
        .value_kind:     hidden_remainder_z
      - .offset:         88
        .size:           8
        .value_kind:     hidden_global_offset_x
      - .offset:         96
        .size:           8
        .value_kind:     hidden_global_offset_y
      - .offset:         104
        .size:           8
        .value_kind:     hidden_global_offset_z
      - .offset:         112
        .size:           2
        .value_kind:     hidden_grid_dims
    .group_segment_fixed_size: 0
    .kernarg_segment_align: 8
    .kernarg_segment_size: 304
    .language:       OpenCL C
    .language_version:
      - 2
      - 0
    .max_flat_workgroup_size: 256
    .name:           _ZN5aiter18quant_mxfp4_kernelI6__halfLNS_16MxScaleRoundModeE0ELb0ELb1ELb1EEEvPKT_PhPfliiib
    .private_segment_fixed_size: 0
    .sgpr_count:     18
    .sgpr_spill_count: 0
    .symbol:         _ZN5aiter18quant_mxfp4_kernelI6__halfLNS_16MxScaleRoundModeE0ELb0ELb1ELb1EEEvPKT_PhPfliiib.kd
    .uniform_work_group_size: 1
    .uses_dynamic_stack: false
    .vgpr_count:     77
    .vgpr_spill_count: 0
    .wavefront_size: 32
    .workgroup_processor_mode: 1
  - .args:
      - .actual_access:  read_only
        .address_space:  global
        .offset:         0
        .size:           8
        .value_kind:     global_buffer
      - .actual_access:  write_only
        .address_space:  global
        .offset:         8
        .size:           8
        .value_kind:     global_buffer
      - .actual_access:  write_only
        .address_space:  global
        .offset:         16
        .size:           8
        .value_kind:     global_buffer
      - .offset:         24
        .size:           8
        .value_kind:     by_value
      - .offset:         32
        .size:           4
        .value_kind:     by_value
      - .offset:         36
        .size:           4
        .value_kind:     by_value
      - .offset:         40
        .size:           4
        .value_kind:     by_value
      - .offset:         44
        .size:           1
        .value_kind:     by_value
      - .offset:         48
        .size:           4
        .value_kind:     hidden_block_count_x
      - .offset:         52
        .size:           4
        .value_kind:     hidden_block_count_y
      - .offset:         56
        .size:           4
        .value_kind:     hidden_block_count_z
      - .offset:         60
        .size:           2
        .value_kind:     hidden_group_size_x
      - .offset:         62
        .size:           2
        .value_kind:     hidden_group_size_y
      - .offset:         64
        .size:           2
        .value_kind:     hidden_group_size_z
      - .offset:         66
        .size:           2
        .value_kind:     hidden_remainder_x
      - .offset:         68
        .size:           2
        .value_kind:     hidden_remainder_y
      - .offset:         70
        .size:           2
        .value_kind:     hidden_remainder_z
      - .offset:         88
        .size:           8
        .value_kind:     hidden_global_offset_x
      - .offset:         96
        .size:           8
        .value_kind:     hidden_global_offset_y
      - .offset:         104
        .size:           8
        .value_kind:     hidden_global_offset_z
      - .offset:         112
        .size:           2
        .value_kind:     hidden_grid_dims
    .group_segment_fixed_size: 0
    .kernarg_segment_align: 8
    .kernarg_segment_size: 304
    .language:       OpenCL C
    .language_version:
      - 2
      - 0
    .max_flat_workgroup_size: 256
    .name:           _ZN5aiter18quant_mxfp4_kernelI6__halfLNS_16MxScaleRoundModeE0ELb0ELb1ELb0EEEvPKT_PhPfliiib
    .private_segment_fixed_size: 0
    .sgpr_count:     18
    .sgpr_spill_count: 0
    .symbol:         _ZN5aiter18quant_mxfp4_kernelI6__halfLNS_16MxScaleRoundModeE0ELb0ELb1ELb0EEEvPKT_PhPfliiib.kd
    .uniform_work_group_size: 1
    .uses_dynamic_stack: false
    .vgpr_count:     70
    .vgpr_spill_count: 0
    .wavefront_size: 32
    .workgroup_processor_mode: 1
  - .args:
      - .actual_access:  read_only
        .address_space:  global
        .offset:         0
        .size:           8
        .value_kind:     global_buffer
      - .actual_access:  write_only
        .address_space:  global
        .offset:         8
        .size:           8
        .value_kind:     global_buffer
      - .actual_access:  write_only
        .address_space:  global
        .offset:         16
        .size:           8
        .value_kind:     global_buffer
      - .offset:         24
        .size:           8
        .value_kind:     by_value
      - .offset:         32
        .size:           4
        .value_kind:     by_value
      - .offset:         36
        .size:           4
        .value_kind:     by_value
      - .offset:         40
        .size:           4
        .value_kind:     by_value
      - .offset:         44
        .size:           1
        .value_kind:     by_value
      - .offset:         48
        .size:           4
        .value_kind:     hidden_block_count_x
      - .offset:         52
        .size:           4
        .value_kind:     hidden_block_count_y
      - .offset:         56
        .size:           4
        .value_kind:     hidden_block_count_z
      - .offset:         60
        .size:           2
        .value_kind:     hidden_group_size_x
      - .offset:         62
        .size:           2
        .value_kind:     hidden_group_size_y
      - .offset:         64
        .size:           2
        .value_kind:     hidden_group_size_z
      - .offset:         66
        .size:           2
        .value_kind:     hidden_remainder_x
      - .offset:         68
        .size:           2
        .value_kind:     hidden_remainder_y
      - .offset:         70
        .size:           2
        .value_kind:     hidden_remainder_z
      - .offset:         88
        .size:           8
        .value_kind:     hidden_global_offset_x
      - .offset:         96
        .size:           8
        .value_kind:     hidden_global_offset_y
      - .offset:         104
        .size:           8
        .value_kind:     hidden_global_offset_z
      - .offset:         112
        .size:           2
        .value_kind:     hidden_grid_dims
    .group_segment_fixed_size: 0
    .kernarg_segment_align: 8
    .kernarg_segment_size: 304
    .language:       OpenCL C
    .language_version:
      - 2
      - 0
    .max_flat_workgroup_size: 256
    .name:           _ZN5aiter18quant_mxfp4_kernelI6__halfLNS_16MxScaleRoundModeE0ELb0ELb0ELb0EEEvPKT_PhPfliiib
    .private_segment_fixed_size: 0
    .sgpr_count:     18
    .sgpr_spill_count: 0
    .symbol:         _ZN5aiter18quant_mxfp4_kernelI6__halfLNS_16MxScaleRoundModeE0ELb0ELb0ELb0EEEvPKT_PhPfliiib.kd
    .uniform_work_group_size: 1
    .uses_dynamic_stack: false
    .vgpr_count:     69
    .vgpr_spill_count: 0
    .wavefront_size: 32
    .workgroup_processor_mode: 1
  - .args:
      - .actual_access:  read_only
        .address_space:  global
        .offset:         0
        .size:           8
        .value_kind:     global_buffer
      - .actual_access:  write_only
        .address_space:  global
        .offset:         8
        .size:           8
        .value_kind:     global_buffer
      - .actual_access:  write_only
        .address_space:  global
        .offset:         16
        .size:           8
        .value_kind:     global_buffer
      - .offset:         24
        .size:           8
        .value_kind:     by_value
      - .offset:         32
        .size:           4
        .value_kind:     by_value
      - .offset:         36
        .size:           4
        .value_kind:     by_value
      - .offset:         40
        .size:           4
        .value_kind:     by_value
      - .offset:         44
        .size:           1
        .value_kind:     by_value
      - .offset:         48
        .size:           4
        .value_kind:     hidden_block_count_x
      - .offset:         52
        .size:           4
        .value_kind:     hidden_block_count_y
      - .offset:         56
        .size:           4
        .value_kind:     hidden_block_count_z
      - .offset:         60
        .size:           2
        .value_kind:     hidden_group_size_x
      - .offset:         62
        .size:           2
        .value_kind:     hidden_group_size_y
      - .offset:         64
        .size:           2
        .value_kind:     hidden_group_size_z
      - .offset:         66
        .size:           2
        .value_kind:     hidden_remainder_x
      - .offset:         68
        .size:           2
        .value_kind:     hidden_remainder_y
      - .offset:         70
        .size:           2
        .value_kind:     hidden_remainder_z
      - .offset:         88
        .size:           8
        .value_kind:     hidden_global_offset_x
      - .offset:         96
        .size:           8
        .value_kind:     hidden_global_offset_y
      - .offset:         104
        .size:           8
        .value_kind:     hidden_global_offset_z
      - .offset:         112
        .size:           2
        .value_kind:     hidden_grid_dims
    .group_segment_fixed_size: 0
    .kernarg_segment_align: 8
    .kernarg_segment_size: 304
    .language:       OpenCL C
    .language_version:
      - 2
      - 0
    .max_flat_workgroup_size: 256
    .name:           _ZN5aiter18quant_mxfp4_kernelI6__halfLNS_16MxScaleRoundModeE1ELb1ELb0ELb1EEEvPKT_PhPfliiib
    .private_segment_fixed_size: 0
    .sgpr_count:     18
    .sgpr_spill_count: 0
    .symbol:         _ZN5aiter18quant_mxfp4_kernelI6__halfLNS_16MxScaleRoundModeE1ELb1ELb0ELb1EEEvPKT_PhPfliiib.kd
    .uniform_work_group_size: 1
    .uses_dynamic_stack: false
    .vgpr_count:     69
    .vgpr_spill_count: 0
    .wavefront_size: 32
    .workgroup_processor_mode: 1
  - .args:
      - .actual_access:  read_only
        .address_space:  global
        .offset:         0
        .size:           8
        .value_kind:     global_buffer
      - .actual_access:  write_only
        .address_space:  global
        .offset:         8
        .size:           8
        .value_kind:     global_buffer
      - .actual_access:  write_only
        .address_space:  global
        .offset:         16
        .size:           8
        .value_kind:     global_buffer
      - .offset:         24
        .size:           8
        .value_kind:     by_value
      - .offset:         32
        .size:           4
        .value_kind:     by_value
      - .offset:         36
        .size:           4
        .value_kind:     by_value
      - .offset:         40
        .size:           4
        .value_kind:     by_value
      - .offset:         44
        .size:           1
        .value_kind:     by_value
      - .offset:         48
        .size:           4
        .value_kind:     hidden_block_count_x
      - .offset:         52
        .size:           4
        .value_kind:     hidden_block_count_y
      - .offset:         56
        .size:           4
        .value_kind:     hidden_block_count_z
      - .offset:         60
        .size:           2
        .value_kind:     hidden_group_size_x
      - .offset:         62
        .size:           2
        .value_kind:     hidden_group_size_y
      - .offset:         64
        .size:           2
        .value_kind:     hidden_group_size_z
      - .offset:         66
        .size:           2
        .value_kind:     hidden_remainder_x
      - .offset:         68
        .size:           2
        .value_kind:     hidden_remainder_y
      - .offset:         70
        .size:           2
        .value_kind:     hidden_remainder_z
      - .offset:         88
        .size:           8
        .value_kind:     hidden_global_offset_x
      - .offset:         96
        .size:           8
        .value_kind:     hidden_global_offset_y
      - .offset:         104
        .size:           8
        .value_kind:     hidden_global_offset_z
      - .offset:         112
        .size:           2
        .value_kind:     hidden_grid_dims
    .group_segment_fixed_size: 0
    .kernarg_segment_align: 8
    .kernarg_segment_size: 304
    .language:       OpenCL C
    .language_version:
      - 2
      - 0
    .max_flat_workgroup_size: 256
    .name:           _ZN5aiter18quant_mxfp4_kernelI6__halfLNS_16MxScaleRoundModeE1ELb1ELb0ELb0EEEvPKT_PhPfliiib
    .private_segment_fixed_size: 0
    .sgpr_count:     18
    .sgpr_spill_count: 0
    .symbol:         _ZN5aiter18quant_mxfp4_kernelI6__halfLNS_16MxScaleRoundModeE1ELb1ELb0ELb0EEEvPKT_PhPfliiib.kd
    .uniform_work_group_size: 1
    .uses_dynamic_stack: false
    .vgpr_count:     69
    .vgpr_spill_count: 0
    .wavefront_size: 32
    .workgroup_processor_mode: 1
  - .args:
      - .actual_access:  read_only
        .address_space:  global
        .offset:         0
        .size:           8
        .value_kind:     global_buffer
      - .actual_access:  write_only
        .address_space:  global
        .offset:         8
        .size:           8
        .value_kind:     global_buffer
      - .actual_access:  write_only
        .address_space:  global
        .offset:         16
        .size:           8
        .value_kind:     global_buffer
      - .offset:         24
        .size:           8
        .value_kind:     by_value
      - .offset:         32
        .size:           4
        .value_kind:     by_value
      - .offset:         36
        .size:           4
        .value_kind:     by_value
      - .offset:         40
        .size:           4
        .value_kind:     by_value
      - .offset:         44
        .size:           1
        .value_kind:     by_value
      - .offset:         48
        .size:           4
        .value_kind:     hidden_block_count_x
      - .offset:         52
        .size:           4
        .value_kind:     hidden_block_count_y
      - .offset:         56
        .size:           4
        .value_kind:     hidden_block_count_z
      - .offset:         60
        .size:           2
        .value_kind:     hidden_group_size_x
      - .offset:         62
        .size:           2
        .value_kind:     hidden_group_size_y
      - .offset:         64
        .size:           2
        .value_kind:     hidden_group_size_z
      - .offset:         66
        .size:           2
        .value_kind:     hidden_remainder_x
      - .offset:         68
        .size:           2
        .value_kind:     hidden_remainder_y
      - .offset:         70
        .size:           2
        .value_kind:     hidden_remainder_z
      - .offset:         88
        .size:           8
        .value_kind:     hidden_global_offset_x
      - .offset:         96
        .size:           8
        .value_kind:     hidden_global_offset_y
      - .offset:         104
        .size:           8
        .value_kind:     hidden_global_offset_z
      - .offset:         112
        .size:           2
        .value_kind:     hidden_grid_dims
    .group_segment_fixed_size: 0
    .kernarg_segment_align: 8
    .kernarg_segment_size: 304
    .language:       OpenCL C
    .language_version:
      - 2
      - 0
    .max_flat_workgroup_size: 256
    .name:           _ZN5aiter18quant_mxfp4_kernelI6__halfLNS_16MxScaleRoundModeE1ELb0ELb1ELb1EEEvPKT_PhPfliiib
    .private_segment_fixed_size: 0
    .sgpr_count:     18
    .sgpr_spill_count: 0
    .symbol:         _ZN5aiter18quant_mxfp4_kernelI6__halfLNS_16MxScaleRoundModeE1ELb0ELb1ELb1EEEvPKT_PhPfliiib.kd
    .uniform_work_group_size: 1
    .uses_dynamic_stack: false
    .vgpr_count:     77
    .vgpr_spill_count: 0
    .wavefront_size: 32
    .workgroup_processor_mode: 1
  - .args:
      - .actual_access:  read_only
        .address_space:  global
        .offset:         0
        .size:           8
        .value_kind:     global_buffer
      - .actual_access:  write_only
        .address_space:  global
        .offset:         8
        .size:           8
        .value_kind:     global_buffer
      - .actual_access:  write_only
        .address_space:  global
        .offset:         16
        .size:           8
        .value_kind:     global_buffer
      - .offset:         24
        .size:           8
        .value_kind:     by_value
      - .offset:         32
        .size:           4
        .value_kind:     by_value
      - .offset:         36
        .size:           4
        .value_kind:     by_value
      - .offset:         40
        .size:           4
        .value_kind:     by_value
      - .offset:         44
        .size:           1
        .value_kind:     by_value
      - .offset:         48
        .size:           4
        .value_kind:     hidden_block_count_x
      - .offset:         52
        .size:           4
        .value_kind:     hidden_block_count_y
      - .offset:         56
        .size:           4
        .value_kind:     hidden_block_count_z
      - .offset:         60
        .size:           2
        .value_kind:     hidden_group_size_x
      - .offset:         62
        .size:           2
        .value_kind:     hidden_group_size_y
      - .offset:         64
        .size:           2
        .value_kind:     hidden_group_size_z
      - .offset:         66
        .size:           2
        .value_kind:     hidden_remainder_x
      - .offset:         68
        .size:           2
        .value_kind:     hidden_remainder_y
      - .offset:         70
        .size:           2
        .value_kind:     hidden_remainder_z
      - .offset:         88
        .size:           8
        .value_kind:     hidden_global_offset_x
      - .offset:         96
        .size:           8
        .value_kind:     hidden_global_offset_y
      - .offset:         104
        .size:           8
        .value_kind:     hidden_global_offset_z
      - .offset:         112
        .size:           2
        .value_kind:     hidden_grid_dims
    .group_segment_fixed_size: 0
    .kernarg_segment_align: 8
    .kernarg_segment_size: 304
    .language:       OpenCL C
    .language_version:
      - 2
      - 0
    .max_flat_workgroup_size: 256
    .name:           _ZN5aiter18quant_mxfp4_kernelI6__halfLNS_16MxScaleRoundModeE1ELb0ELb1ELb0EEEvPKT_PhPfliiib
    .private_segment_fixed_size: 0
    .sgpr_count:     18
    .sgpr_spill_count: 0
    .symbol:         _ZN5aiter18quant_mxfp4_kernelI6__halfLNS_16MxScaleRoundModeE1ELb0ELb1ELb0EEEvPKT_PhPfliiib.kd
    .uniform_work_group_size: 1
    .uses_dynamic_stack: false
    .vgpr_count:     70
    .vgpr_spill_count: 0
    .wavefront_size: 32
    .workgroup_processor_mode: 1
  - .args:
      - .actual_access:  read_only
        .address_space:  global
        .offset:         0
        .size:           8
        .value_kind:     global_buffer
      - .actual_access:  write_only
        .address_space:  global
        .offset:         8
        .size:           8
        .value_kind:     global_buffer
      - .actual_access:  write_only
        .address_space:  global
        .offset:         16
        .size:           8
        .value_kind:     global_buffer
      - .offset:         24
        .size:           8
        .value_kind:     by_value
      - .offset:         32
        .size:           4
        .value_kind:     by_value
      - .offset:         36
        .size:           4
        .value_kind:     by_value
      - .offset:         40
        .size:           4
        .value_kind:     by_value
      - .offset:         44
        .size:           1
        .value_kind:     by_value
      - .offset:         48
        .size:           4
        .value_kind:     hidden_block_count_x
      - .offset:         52
        .size:           4
        .value_kind:     hidden_block_count_y
      - .offset:         56
        .size:           4
        .value_kind:     hidden_block_count_z
      - .offset:         60
        .size:           2
        .value_kind:     hidden_group_size_x
      - .offset:         62
        .size:           2
        .value_kind:     hidden_group_size_y
      - .offset:         64
        .size:           2
        .value_kind:     hidden_group_size_z
      - .offset:         66
        .size:           2
        .value_kind:     hidden_remainder_x
      - .offset:         68
        .size:           2
        .value_kind:     hidden_remainder_y
      - .offset:         70
        .size:           2
        .value_kind:     hidden_remainder_z
      - .offset:         88
        .size:           8
        .value_kind:     hidden_global_offset_x
      - .offset:         96
        .size:           8
        .value_kind:     hidden_global_offset_y
      - .offset:         104
        .size:           8
        .value_kind:     hidden_global_offset_z
      - .offset:         112
        .size:           2
        .value_kind:     hidden_grid_dims
    .group_segment_fixed_size: 0
    .kernarg_segment_align: 8
    .kernarg_segment_size: 304
    .language:       OpenCL C
    .language_version:
      - 2
      - 0
    .max_flat_workgroup_size: 256
    .name:           _ZN5aiter18quant_mxfp4_kernelI6__halfLNS_16MxScaleRoundModeE1ELb0ELb0ELb0EEEvPKT_PhPfliiib
    .private_segment_fixed_size: 0
    .sgpr_count:     18
    .sgpr_spill_count: 0
    .symbol:         _ZN5aiter18quant_mxfp4_kernelI6__halfLNS_16MxScaleRoundModeE1ELb0ELb0ELb0EEEvPKT_PhPfliiib.kd
    .uniform_work_group_size: 1
    .uses_dynamic_stack: false
    .vgpr_count:     69
    .vgpr_spill_count: 0
    .wavefront_size: 32
    .workgroup_processor_mode: 1
  - .args:
      - .actual_access:  read_only
        .address_space:  global
        .offset:         0
        .size:           8
        .value_kind:     global_buffer
      - .actual_access:  write_only
        .address_space:  global
        .offset:         8
        .size:           8
        .value_kind:     global_buffer
      - .actual_access:  write_only
        .address_space:  global
        .offset:         16
        .size:           8
        .value_kind:     global_buffer
      - .offset:         24
        .size:           8
        .value_kind:     by_value
      - .offset:         32
        .size:           4
        .value_kind:     by_value
      - .offset:         36
        .size:           4
        .value_kind:     by_value
      - .offset:         40
        .size:           4
        .value_kind:     by_value
      - .offset:         44
        .size:           1
        .value_kind:     by_value
      - .offset:         48
        .size:           4
        .value_kind:     hidden_block_count_x
      - .offset:         52
        .size:           4
        .value_kind:     hidden_block_count_y
      - .offset:         56
        .size:           4
        .value_kind:     hidden_block_count_z
      - .offset:         60
        .size:           2
        .value_kind:     hidden_group_size_x
      - .offset:         62
        .size:           2
        .value_kind:     hidden_group_size_y
      - .offset:         64
        .size:           2
        .value_kind:     hidden_group_size_z
      - .offset:         66
        .size:           2
        .value_kind:     hidden_remainder_x
      - .offset:         68
        .size:           2
        .value_kind:     hidden_remainder_y
      - .offset:         70
        .size:           2
        .value_kind:     hidden_remainder_z
      - .offset:         88
        .size:           8
        .value_kind:     hidden_global_offset_x
      - .offset:         96
        .size:           8
        .value_kind:     hidden_global_offset_y
      - .offset:         104
        .size:           8
        .value_kind:     hidden_global_offset_z
      - .offset:         112
        .size:           2
        .value_kind:     hidden_grid_dims
    .group_segment_fixed_size: 0
    .kernarg_segment_align: 8
    .kernarg_segment_size: 304
    .language:       OpenCL C
    .language_version:
      - 2
      - 0
    .max_flat_workgroup_size: 256
    .name:           _ZN5aiter18quant_mxfp4_kernelI6__halfLNS_16MxScaleRoundModeE2ELb1ELb0ELb1EEEvPKT_PhPfliiib
    .private_segment_fixed_size: 0
    .sgpr_count:     18
    .sgpr_spill_count: 0
    .symbol:         _ZN5aiter18quant_mxfp4_kernelI6__halfLNS_16MxScaleRoundModeE2ELb1ELb0ELb1EEEvPKT_PhPfliiib.kd
    .uniform_work_group_size: 1
    .uses_dynamic_stack: false
    .vgpr_count:     69
    .vgpr_spill_count: 0
    .wavefront_size: 32
    .workgroup_processor_mode: 1
  - .args:
      - .actual_access:  read_only
        .address_space:  global
        .offset:         0
        .size:           8
        .value_kind:     global_buffer
      - .actual_access:  write_only
        .address_space:  global
        .offset:         8
        .size:           8
        .value_kind:     global_buffer
      - .actual_access:  write_only
        .address_space:  global
        .offset:         16
        .size:           8
        .value_kind:     global_buffer
      - .offset:         24
        .size:           8
        .value_kind:     by_value
      - .offset:         32
        .size:           4
        .value_kind:     by_value
      - .offset:         36
        .size:           4
        .value_kind:     by_value
      - .offset:         40
        .size:           4
        .value_kind:     by_value
      - .offset:         44
        .size:           1
        .value_kind:     by_value
      - .offset:         48
        .size:           4
        .value_kind:     hidden_block_count_x
      - .offset:         52
        .size:           4
        .value_kind:     hidden_block_count_y
      - .offset:         56
        .size:           4
        .value_kind:     hidden_block_count_z
      - .offset:         60
        .size:           2
        .value_kind:     hidden_group_size_x
      - .offset:         62
        .size:           2
        .value_kind:     hidden_group_size_y
      - .offset:         64
        .size:           2
        .value_kind:     hidden_group_size_z
      - .offset:         66
        .size:           2
        .value_kind:     hidden_remainder_x
      - .offset:         68
        .size:           2
        .value_kind:     hidden_remainder_y
      - .offset:         70
        .size:           2
        .value_kind:     hidden_remainder_z
      - .offset:         88
        .size:           8
        .value_kind:     hidden_global_offset_x
      - .offset:         96
        .size:           8
        .value_kind:     hidden_global_offset_y
      - .offset:         104
        .size:           8
        .value_kind:     hidden_global_offset_z
      - .offset:         112
        .size:           2
        .value_kind:     hidden_grid_dims
    .group_segment_fixed_size: 0
    .kernarg_segment_align: 8
    .kernarg_segment_size: 304
    .language:       OpenCL C
    .language_version:
      - 2
      - 0
    .max_flat_workgroup_size: 256
    .name:           _ZN5aiter18quant_mxfp4_kernelI6__halfLNS_16MxScaleRoundModeE2ELb1ELb0ELb0EEEvPKT_PhPfliiib
    .private_segment_fixed_size: 0
    .sgpr_count:     18
    .sgpr_spill_count: 0
    .symbol:         _ZN5aiter18quant_mxfp4_kernelI6__halfLNS_16MxScaleRoundModeE2ELb1ELb0ELb0EEEvPKT_PhPfliiib.kd
    .uniform_work_group_size: 1
    .uses_dynamic_stack: false
    .vgpr_count:     69
    .vgpr_spill_count: 0
    .wavefront_size: 32
    .workgroup_processor_mode: 1
  - .args:
      - .actual_access:  read_only
        .address_space:  global
        .offset:         0
        .size:           8
        .value_kind:     global_buffer
      - .actual_access:  write_only
        .address_space:  global
        .offset:         8
        .size:           8
        .value_kind:     global_buffer
      - .actual_access:  write_only
        .address_space:  global
        .offset:         16
        .size:           8
        .value_kind:     global_buffer
      - .offset:         24
        .size:           8
        .value_kind:     by_value
      - .offset:         32
        .size:           4
        .value_kind:     by_value
      - .offset:         36
        .size:           4
        .value_kind:     by_value
      - .offset:         40
        .size:           4
        .value_kind:     by_value
      - .offset:         44
        .size:           1
        .value_kind:     by_value
      - .offset:         48
        .size:           4
        .value_kind:     hidden_block_count_x
      - .offset:         52
        .size:           4
        .value_kind:     hidden_block_count_y
      - .offset:         56
        .size:           4
        .value_kind:     hidden_block_count_z
      - .offset:         60
        .size:           2
        .value_kind:     hidden_group_size_x
      - .offset:         62
        .size:           2
        .value_kind:     hidden_group_size_y
      - .offset:         64
        .size:           2
        .value_kind:     hidden_group_size_z
      - .offset:         66
        .size:           2
        .value_kind:     hidden_remainder_x
      - .offset:         68
        .size:           2
        .value_kind:     hidden_remainder_y
      - .offset:         70
        .size:           2
        .value_kind:     hidden_remainder_z
      - .offset:         88
        .size:           8
        .value_kind:     hidden_global_offset_x
      - .offset:         96
        .size:           8
        .value_kind:     hidden_global_offset_y
      - .offset:         104
        .size:           8
        .value_kind:     hidden_global_offset_z
      - .offset:         112
        .size:           2
        .value_kind:     hidden_grid_dims
    .group_segment_fixed_size: 0
    .kernarg_segment_align: 8
    .kernarg_segment_size: 304
    .language:       OpenCL C
    .language_version:
      - 2
      - 0
    .max_flat_workgroup_size: 256
    .name:           _ZN5aiter18quant_mxfp4_kernelI6__halfLNS_16MxScaleRoundModeE2ELb0ELb1ELb1EEEvPKT_PhPfliiib
    .private_segment_fixed_size: 0
    .sgpr_count:     18
    .sgpr_spill_count: 0
    .symbol:         _ZN5aiter18quant_mxfp4_kernelI6__halfLNS_16MxScaleRoundModeE2ELb0ELb1ELb1EEEvPKT_PhPfliiib.kd
    .uniform_work_group_size: 1
    .uses_dynamic_stack: false
    .vgpr_count:     77
    .vgpr_spill_count: 0
    .wavefront_size: 32
    .workgroup_processor_mode: 1
  - .args:
      - .actual_access:  read_only
        .address_space:  global
        .offset:         0
        .size:           8
        .value_kind:     global_buffer
      - .actual_access:  write_only
        .address_space:  global
        .offset:         8
        .size:           8
        .value_kind:     global_buffer
      - .actual_access:  write_only
        .address_space:  global
        .offset:         16
        .size:           8
        .value_kind:     global_buffer
      - .offset:         24
        .size:           8
        .value_kind:     by_value
      - .offset:         32
        .size:           4
        .value_kind:     by_value
      - .offset:         36
        .size:           4
        .value_kind:     by_value
      - .offset:         40
        .size:           4
        .value_kind:     by_value
      - .offset:         44
        .size:           1
        .value_kind:     by_value
      - .offset:         48
        .size:           4
        .value_kind:     hidden_block_count_x
      - .offset:         52
        .size:           4
        .value_kind:     hidden_block_count_y
      - .offset:         56
        .size:           4
        .value_kind:     hidden_block_count_z
      - .offset:         60
        .size:           2
        .value_kind:     hidden_group_size_x
      - .offset:         62
        .size:           2
        .value_kind:     hidden_group_size_y
      - .offset:         64
        .size:           2
        .value_kind:     hidden_group_size_z
      - .offset:         66
        .size:           2
        .value_kind:     hidden_remainder_x
      - .offset:         68
        .size:           2
        .value_kind:     hidden_remainder_y
      - .offset:         70
        .size:           2
        .value_kind:     hidden_remainder_z
      - .offset:         88
        .size:           8
        .value_kind:     hidden_global_offset_x
      - .offset:         96
        .size:           8
        .value_kind:     hidden_global_offset_y
      - .offset:         104
        .size:           8
        .value_kind:     hidden_global_offset_z
      - .offset:         112
        .size:           2
        .value_kind:     hidden_grid_dims
    .group_segment_fixed_size: 0
    .kernarg_segment_align: 8
    .kernarg_segment_size: 304
    .language:       OpenCL C
    .language_version:
      - 2
      - 0
    .max_flat_workgroup_size: 256
    .name:           _ZN5aiter18quant_mxfp4_kernelI6__halfLNS_16MxScaleRoundModeE2ELb0ELb1ELb0EEEvPKT_PhPfliiib
    .private_segment_fixed_size: 0
    .sgpr_count:     18
    .sgpr_spill_count: 0
    .symbol:         _ZN5aiter18quant_mxfp4_kernelI6__halfLNS_16MxScaleRoundModeE2ELb0ELb1ELb0EEEvPKT_PhPfliiib.kd
    .uniform_work_group_size: 1
    .uses_dynamic_stack: false
    .vgpr_count:     70
    .vgpr_spill_count: 0
    .wavefront_size: 32
    .workgroup_processor_mode: 1
  - .args:
      - .actual_access:  read_only
        .address_space:  global
        .offset:         0
        .size:           8
        .value_kind:     global_buffer
      - .actual_access:  write_only
        .address_space:  global
        .offset:         8
        .size:           8
        .value_kind:     global_buffer
      - .actual_access:  write_only
        .address_space:  global
        .offset:         16
        .size:           8
        .value_kind:     global_buffer
      - .offset:         24
        .size:           8
        .value_kind:     by_value
      - .offset:         32
        .size:           4
        .value_kind:     by_value
      - .offset:         36
        .size:           4
        .value_kind:     by_value
      - .offset:         40
        .size:           4
        .value_kind:     by_value
      - .offset:         44
        .size:           1
        .value_kind:     by_value
      - .offset:         48
        .size:           4
        .value_kind:     hidden_block_count_x
      - .offset:         52
        .size:           4
        .value_kind:     hidden_block_count_y
      - .offset:         56
        .size:           4
        .value_kind:     hidden_block_count_z
      - .offset:         60
        .size:           2
        .value_kind:     hidden_group_size_x
      - .offset:         62
        .size:           2
        .value_kind:     hidden_group_size_y
      - .offset:         64
        .size:           2
        .value_kind:     hidden_group_size_z
      - .offset:         66
        .size:           2
        .value_kind:     hidden_remainder_x
      - .offset:         68
        .size:           2
        .value_kind:     hidden_remainder_y
      - .offset:         70
        .size:           2
        .value_kind:     hidden_remainder_z
      - .offset:         88
        .size:           8
        .value_kind:     hidden_global_offset_x
      - .offset:         96
        .size:           8
        .value_kind:     hidden_global_offset_y
      - .offset:         104
        .size:           8
        .value_kind:     hidden_global_offset_z
      - .offset:         112
        .size:           2
        .value_kind:     hidden_grid_dims
    .group_segment_fixed_size: 0
    .kernarg_segment_align: 8
    .kernarg_segment_size: 304
    .language:       OpenCL C
    .language_version:
      - 2
      - 0
    .max_flat_workgroup_size: 256
    .name:           _ZN5aiter18quant_mxfp4_kernelI6__halfLNS_16MxScaleRoundModeE2ELb0ELb0ELb0EEEvPKT_PhPfliiib
    .private_segment_fixed_size: 0
    .sgpr_count:     18
    .sgpr_spill_count: 0
    .symbol:         _ZN5aiter18quant_mxfp4_kernelI6__halfLNS_16MxScaleRoundModeE2ELb0ELb0ELb0EEEvPKT_PhPfliiib.kd
    .uniform_work_group_size: 1
    .uses_dynamic_stack: false
    .vgpr_count:     69
    .vgpr_spill_count: 0
    .wavefront_size: 32
    .workgroup_processor_mode: 1
  - .args:
      - .actual_access:  read_only
        .address_space:  global
        .offset:         0
        .size:           8
        .value_kind:     global_buffer
      - .actual_access:  write_only
        .address_space:  global
        .offset:         8
        .size:           8
        .value_kind:     global_buffer
      - .actual_access:  write_only
        .address_space:  global
        .offset:         16
        .size:           8
        .value_kind:     global_buffer
      - .offset:         24
        .size:           8
        .value_kind:     by_value
      - .offset:         32
        .size:           4
        .value_kind:     by_value
      - .offset:         36
        .size:           4
        .value_kind:     by_value
      - .offset:         40
        .size:           4
        .value_kind:     by_value
      - .offset:         44
        .size:           1
        .value_kind:     by_value
      - .offset:         48
        .size:           4
        .value_kind:     hidden_block_count_x
      - .offset:         52
        .size:           4
        .value_kind:     hidden_block_count_y
      - .offset:         56
        .size:           4
        .value_kind:     hidden_block_count_z
      - .offset:         60
        .size:           2
        .value_kind:     hidden_group_size_x
      - .offset:         62
        .size:           2
        .value_kind:     hidden_group_size_y
      - .offset:         64
        .size:           2
        .value_kind:     hidden_group_size_z
      - .offset:         66
        .size:           2
        .value_kind:     hidden_remainder_x
      - .offset:         68
        .size:           2
        .value_kind:     hidden_remainder_y
      - .offset:         70
        .size:           2
        .value_kind:     hidden_remainder_z
      - .offset:         88
        .size:           8
        .value_kind:     hidden_global_offset_x
      - .offset:         96
        .size:           8
        .value_kind:     hidden_global_offset_y
      - .offset:         104
        .size:           8
        .value_kind:     hidden_global_offset_z
      - .offset:         112
        .size:           2
        .value_kind:     hidden_grid_dims
    .group_segment_fixed_size: 0
    .kernarg_segment_align: 8
    .kernarg_segment_size: 304
    .language:       OpenCL C
    .language_version:
      - 2
      - 0
    .max_flat_workgroup_size: 256
    .name:           _ZN5aiter18quant_mxfp4_kernelI6__halfLNS_16MxScaleRoundModeE3ELb1ELb0ELb1EEEvPKT_PhPfliiib
    .private_segment_fixed_size: 0
    .sgpr_count:     18
    .sgpr_spill_count: 0
    .symbol:         _ZN5aiter18quant_mxfp4_kernelI6__halfLNS_16MxScaleRoundModeE3ELb1ELb0ELb1EEEvPKT_PhPfliiib.kd
    .uniform_work_group_size: 1
    .uses_dynamic_stack: false
    .vgpr_count:     69
    .vgpr_spill_count: 0
    .wavefront_size: 32
    .workgroup_processor_mode: 1
  - .args:
      - .actual_access:  read_only
        .address_space:  global
        .offset:         0
        .size:           8
        .value_kind:     global_buffer
      - .actual_access:  write_only
        .address_space:  global
        .offset:         8
        .size:           8
        .value_kind:     global_buffer
      - .actual_access:  write_only
        .address_space:  global
        .offset:         16
        .size:           8
        .value_kind:     global_buffer
      - .offset:         24
        .size:           8
        .value_kind:     by_value
      - .offset:         32
        .size:           4
        .value_kind:     by_value
      - .offset:         36
        .size:           4
        .value_kind:     by_value
      - .offset:         40
        .size:           4
        .value_kind:     by_value
      - .offset:         44
        .size:           1
        .value_kind:     by_value
      - .offset:         48
        .size:           4
        .value_kind:     hidden_block_count_x
      - .offset:         52
        .size:           4
        .value_kind:     hidden_block_count_y
      - .offset:         56
        .size:           4
        .value_kind:     hidden_block_count_z
      - .offset:         60
        .size:           2
        .value_kind:     hidden_group_size_x
      - .offset:         62
        .size:           2
        .value_kind:     hidden_group_size_y
      - .offset:         64
        .size:           2
        .value_kind:     hidden_group_size_z
      - .offset:         66
        .size:           2
        .value_kind:     hidden_remainder_x
      - .offset:         68
        .size:           2
        .value_kind:     hidden_remainder_y
      - .offset:         70
        .size:           2
        .value_kind:     hidden_remainder_z
      - .offset:         88
        .size:           8
        .value_kind:     hidden_global_offset_x
      - .offset:         96
        .size:           8
        .value_kind:     hidden_global_offset_y
      - .offset:         104
        .size:           8
        .value_kind:     hidden_global_offset_z
      - .offset:         112
        .size:           2
        .value_kind:     hidden_grid_dims
    .group_segment_fixed_size: 0
    .kernarg_segment_align: 8
    .kernarg_segment_size: 304
    .language:       OpenCL C
    .language_version:
      - 2
      - 0
    .max_flat_workgroup_size: 256
    .name:           _ZN5aiter18quant_mxfp4_kernelI6__halfLNS_16MxScaleRoundModeE3ELb1ELb0ELb0EEEvPKT_PhPfliiib
    .private_segment_fixed_size: 0
    .sgpr_count:     18
    .sgpr_spill_count: 0
    .symbol:         _ZN5aiter18quant_mxfp4_kernelI6__halfLNS_16MxScaleRoundModeE3ELb1ELb0ELb0EEEvPKT_PhPfliiib.kd
    .uniform_work_group_size: 1
    .uses_dynamic_stack: false
    .vgpr_count:     69
    .vgpr_spill_count: 0
    .wavefront_size: 32
    .workgroup_processor_mode: 1
  - .args:
      - .actual_access:  read_only
        .address_space:  global
        .offset:         0
        .size:           8
        .value_kind:     global_buffer
      - .actual_access:  write_only
        .address_space:  global
        .offset:         8
        .size:           8
        .value_kind:     global_buffer
      - .actual_access:  write_only
        .address_space:  global
        .offset:         16
        .size:           8
        .value_kind:     global_buffer
      - .offset:         24
        .size:           8
        .value_kind:     by_value
      - .offset:         32
        .size:           4
        .value_kind:     by_value
      - .offset:         36
        .size:           4
        .value_kind:     by_value
      - .offset:         40
        .size:           4
        .value_kind:     by_value
      - .offset:         44
        .size:           1
        .value_kind:     by_value
      - .offset:         48
        .size:           4
        .value_kind:     hidden_block_count_x
      - .offset:         52
        .size:           4
        .value_kind:     hidden_block_count_y
      - .offset:         56
        .size:           4
        .value_kind:     hidden_block_count_z
      - .offset:         60
        .size:           2
        .value_kind:     hidden_group_size_x
      - .offset:         62
        .size:           2
        .value_kind:     hidden_group_size_y
      - .offset:         64
        .size:           2
        .value_kind:     hidden_group_size_z
      - .offset:         66
        .size:           2
        .value_kind:     hidden_remainder_x
      - .offset:         68
        .size:           2
        .value_kind:     hidden_remainder_y
      - .offset:         70
        .size:           2
        .value_kind:     hidden_remainder_z
      - .offset:         88
        .size:           8
        .value_kind:     hidden_global_offset_x
      - .offset:         96
        .size:           8
        .value_kind:     hidden_global_offset_y
      - .offset:         104
        .size:           8
        .value_kind:     hidden_global_offset_z
      - .offset:         112
        .size:           2
        .value_kind:     hidden_grid_dims
    .group_segment_fixed_size: 0
    .kernarg_segment_align: 8
    .kernarg_segment_size: 304
    .language:       OpenCL C
    .language_version:
      - 2
      - 0
    .max_flat_workgroup_size: 256
    .name:           _ZN5aiter18quant_mxfp4_kernelI6__halfLNS_16MxScaleRoundModeE3ELb0ELb1ELb1EEEvPKT_PhPfliiib
    .private_segment_fixed_size: 0
    .sgpr_count:     18
    .sgpr_spill_count: 0
    .symbol:         _ZN5aiter18quant_mxfp4_kernelI6__halfLNS_16MxScaleRoundModeE3ELb0ELb1ELb1EEEvPKT_PhPfliiib.kd
    .uniform_work_group_size: 1
    .uses_dynamic_stack: false
    .vgpr_count:     77
    .vgpr_spill_count: 0
    .wavefront_size: 32
    .workgroup_processor_mode: 1
  - .args:
      - .actual_access:  read_only
        .address_space:  global
        .offset:         0
        .size:           8
        .value_kind:     global_buffer
      - .actual_access:  write_only
        .address_space:  global
        .offset:         8
        .size:           8
        .value_kind:     global_buffer
      - .actual_access:  write_only
        .address_space:  global
        .offset:         16
        .size:           8
        .value_kind:     global_buffer
      - .offset:         24
        .size:           8
        .value_kind:     by_value
      - .offset:         32
        .size:           4
        .value_kind:     by_value
      - .offset:         36
        .size:           4
        .value_kind:     by_value
      - .offset:         40
        .size:           4
        .value_kind:     by_value
      - .offset:         44
        .size:           1
        .value_kind:     by_value
      - .offset:         48
        .size:           4
        .value_kind:     hidden_block_count_x
      - .offset:         52
        .size:           4
        .value_kind:     hidden_block_count_y
      - .offset:         56
        .size:           4
        .value_kind:     hidden_block_count_z
      - .offset:         60
        .size:           2
        .value_kind:     hidden_group_size_x
      - .offset:         62
        .size:           2
        .value_kind:     hidden_group_size_y
      - .offset:         64
        .size:           2
        .value_kind:     hidden_group_size_z
      - .offset:         66
        .size:           2
        .value_kind:     hidden_remainder_x
      - .offset:         68
        .size:           2
        .value_kind:     hidden_remainder_y
      - .offset:         70
        .size:           2
        .value_kind:     hidden_remainder_z
      - .offset:         88
        .size:           8
        .value_kind:     hidden_global_offset_x
      - .offset:         96
        .size:           8
        .value_kind:     hidden_global_offset_y
      - .offset:         104
        .size:           8
        .value_kind:     hidden_global_offset_z
      - .offset:         112
        .size:           2
        .value_kind:     hidden_grid_dims
    .group_segment_fixed_size: 0
    .kernarg_segment_align: 8
    .kernarg_segment_size: 304
    .language:       OpenCL C
    .language_version:
      - 2
      - 0
    .max_flat_workgroup_size: 256
    .name:           _ZN5aiter18quant_mxfp4_kernelI6__halfLNS_16MxScaleRoundModeE3ELb0ELb1ELb0EEEvPKT_PhPfliiib
    .private_segment_fixed_size: 0
    .sgpr_count:     18
    .sgpr_spill_count: 0
    .symbol:         _ZN5aiter18quant_mxfp4_kernelI6__halfLNS_16MxScaleRoundModeE3ELb0ELb1ELb0EEEvPKT_PhPfliiib.kd
    .uniform_work_group_size: 1
    .uses_dynamic_stack: false
    .vgpr_count:     70
    .vgpr_spill_count: 0
    .wavefront_size: 32
    .workgroup_processor_mode: 1
  - .args:
      - .actual_access:  read_only
        .address_space:  global
        .offset:         0
        .size:           8
        .value_kind:     global_buffer
      - .actual_access:  write_only
        .address_space:  global
        .offset:         8
        .size:           8
        .value_kind:     global_buffer
      - .actual_access:  write_only
        .address_space:  global
        .offset:         16
        .size:           8
        .value_kind:     global_buffer
      - .offset:         24
        .size:           8
        .value_kind:     by_value
      - .offset:         32
        .size:           4
        .value_kind:     by_value
      - .offset:         36
        .size:           4
        .value_kind:     by_value
      - .offset:         40
        .size:           4
        .value_kind:     by_value
      - .offset:         44
        .size:           1
        .value_kind:     by_value
      - .offset:         48
        .size:           4
        .value_kind:     hidden_block_count_x
      - .offset:         52
        .size:           4
        .value_kind:     hidden_block_count_y
      - .offset:         56
        .size:           4
        .value_kind:     hidden_block_count_z
      - .offset:         60
        .size:           2
        .value_kind:     hidden_group_size_x
      - .offset:         62
        .size:           2
        .value_kind:     hidden_group_size_y
      - .offset:         64
        .size:           2
        .value_kind:     hidden_group_size_z
      - .offset:         66
        .size:           2
        .value_kind:     hidden_remainder_x
      - .offset:         68
        .size:           2
        .value_kind:     hidden_remainder_y
      - .offset:         70
        .size:           2
        .value_kind:     hidden_remainder_z
      - .offset:         88
        .size:           8
        .value_kind:     hidden_global_offset_x
      - .offset:         96
        .size:           8
        .value_kind:     hidden_global_offset_y
      - .offset:         104
        .size:           8
        .value_kind:     hidden_global_offset_z
      - .offset:         112
        .size:           2
        .value_kind:     hidden_grid_dims
    .group_segment_fixed_size: 0
    .kernarg_segment_align: 8
    .kernarg_segment_size: 304
    .language:       OpenCL C
    .language_version:
      - 2
      - 0
    .max_flat_workgroup_size: 256
    .name:           _ZN5aiter18quant_mxfp4_kernelI6__halfLNS_16MxScaleRoundModeE3ELb0ELb0ELb0EEEvPKT_PhPfliiib
    .private_segment_fixed_size: 0
    .sgpr_count:     18
    .sgpr_spill_count: 0
    .symbol:         _ZN5aiter18quant_mxfp4_kernelI6__halfLNS_16MxScaleRoundModeE3ELb0ELb0ELb0EEEvPKT_PhPfliiib.kd
    .uniform_work_group_size: 1
    .uses_dynamic_stack: false
    .vgpr_count:     69
    .vgpr_spill_count: 0
    .wavefront_size: 32
    .workgroup_processor_mode: 1
  - .args:
      - .actual_access:  read_only
        .address_space:  global
        .offset:         0
        .size:           8
        .value_kind:     global_buffer
      - .actual_access:  write_only
        .address_space:  global
        .offset:         8
        .size:           8
        .value_kind:     global_buffer
      - .actual_access:  write_only
        .address_space:  global
        .offset:         16
        .size:           8
        .value_kind:     global_buffer
      - .offset:         24
        .size:           8
        .value_kind:     by_value
      - .offset:         32
        .size:           4
        .value_kind:     by_value
      - .offset:         36
        .size:           4
        .value_kind:     by_value
      - .offset:         40
        .size:           4
        .value_kind:     by_value
      - .offset:         44
        .size:           1
        .value_kind:     by_value
      - .offset:         48
        .size:           4
        .value_kind:     hidden_block_count_x
      - .offset:         52
        .size:           4
        .value_kind:     hidden_block_count_y
      - .offset:         56
        .size:           4
        .value_kind:     hidden_block_count_z
      - .offset:         60
        .size:           2
        .value_kind:     hidden_group_size_x
      - .offset:         62
        .size:           2
        .value_kind:     hidden_group_size_y
      - .offset:         64
        .size:           2
        .value_kind:     hidden_group_size_z
      - .offset:         66
        .size:           2
        .value_kind:     hidden_remainder_x
      - .offset:         68
        .size:           2
        .value_kind:     hidden_remainder_y
      - .offset:         70
        .size:           2
        .value_kind:     hidden_remainder_z
      - .offset:         88
        .size:           8
        .value_kind:     hidden_global_offset_x
      - .offset:         96
        .size:           8
        .value_kind:     hidden_global_offset_y
      - .offset:         104
        .size:           8
        .value_kind:     hidden_global_offset_z
      - .offset:         112
        .size:           2
        .value_kind:     hidden_grid_dims
    .group_segment_fixed_size: 0
    .kernarg_segment_align: 8
    .kernarg_segment_size: 304
    .language:       OpenCL C
    .language_version:
      - 2
      - 0
    .max_flat_workgroup_size: 256
    .name:           _ZN5aiter18quant_mxfp4_kernelI12hip_bfloat16LNS_16MxScaleRoundModeE0ELb1ELb0ELb1EEEvPKT_PhPfliiib
    .private_segment_fixed_size: 0
    .sgpr_count:     18
    .sgpr_spill_count: 0
    .symbol:         _ZN5aiter18quant_mxfp4_kernelI12hip_bfloat16LNS_16MxScaleRoundModeE0ELb1ELb0ELb1EEEvPKT_PhPfliiib.kd
    .uniform_work_group_size: 1
    .uses_dynamic_stack: false
    .vgpr_count:     69
    .vgpr_spill_count: 0
    .wavefront_size: 32
    .workgroup_processor_mode: 1
  - .args:
      - .actual_access:  read_only
        .address_space:  global
        .offset:         0
        .size:           8
        .value_kind:     global_buffer
      - .actual_access:  write_only
        .address_space:  global
        .offset:         8
        .size:           8
        .value_kind:     global_buffer
      - .actual_access:  write_only
        .address_space:  global
        .offset:         16
        .size:           8
        .value_kind:     global_buffer
      - .offset:         24
        .size:           8
        .value_kind:     by_value
      - .offset:         32
        .size:           4
        .value_kind:     by_value
      - .offset:         36
        .size:           4
        .value_kind:     by_value
      - .offset:         40
        .size:           4
        .value_kind:     by_value
      - .offset:         44
        .size:           1
        .value_kind:     by_value
      - .offset:         48
        .size:           4
        .value_kind:     hidden_block_count_x
      - .offset:         52
        .size:           4
        .value_kind:     hidden_block_count_y
      - .offset:         56
        .size:           4
        .value_kind:     hidden_block_count_z
      - .offset:         60
        .size:           2
        .value_kind:     hidden_group_size_x
      - .offset:         62
        .size:           2
        .value_kind:     hidden_group_size_y
      - .offset:         64
        .size:           2
        .value_kind:     hidden_group_size_z
      - .offset:         66
        .size:           2
        .value_kind:     hidden_remainder_x
      - .offset:         68
        .size:           2
        .value_kind:     hidden_remainder_y
      - .offset:         70
        .size:           2
        .value_kind:     hidden_remainder_z
      - .offset:         88
        .size:           8
        .value_kind:     hidden_global_offset_x
      - .offset:         96
        .size:           8
        .value_kind:     hidden_global_offset_y
      - .offset:         104
        .size:           8
        .value_kind:     hidden_global_offset_z
      - .offset:         112
        .size:           2
        .value_kind:     hidden_grid_dims
    .group_segment_fixed_size: 0
    .kernarg_segment_align: 8
    .kernarg_segment_size: 304
    .language:       OpenCL C
    .language_version:
      - 2
      - 0
    .max_flat_workgroup_size: 256
    .name:           _ZN5aiter18quant_mxfp4_kernelI12hip_bfloat16LNS_16MxScaleRoundModeE0ELb1ELb0ELb0EEEvPKT_PhPfliiib
    .private_segment_fixed_size: 0
    .sgpr_count:     18
    .sgpr_spill_count: 0
    .symbol:         _ZN5aiter18quant_mxfp4_kernelI12hip_bfloat16LNS_16MxScaleRoundModeE0ELb1ELb0ELb0EEEvPKT_PhPfliiib.kd
    .uniform_work_group_size: 1
    .uses_dynamic_stack: false
    .vgpr_count:     69
    .vgpr_spill_count: 0
    .wavefront_size: 32
    .workgroup_processor_mode: 1
  - .args:
      - .actual_access:  read_only
        .address_space:  global
        .offset:         0
        .size:           8
        .value_kind:     global_buffer
      - .actual_access:  write_only
        .address_space:  global
        .offset:         8
        .size:           8
        .value_kind:     global_buffer
      - .actual_access:  write_only
        .address_space:  global
        .offset:         16
        .size:           8
        .value_kind:     global_buffer
      - .offset:         24
        .size:           8
        .value_kind:     by_value
      - .offset:         32
        .size:           4
        .value_kind:     by_value
      - .offset:         36
        .size:           4
        .value_kind:     by_value
      - .offset:         40
        .size:           4
        .value_kind:     by_value
      - .offset:         44
        .size:           1
        .value_kind:     by_value
      - .offset:         48
        .size:           4
        .value_kind:     hidden_block_count_x
      - .offset:         52
        .size:           4
        .value_kind:     hidden_block_count_y
      - .offset:         56
        .size:           4
        .value_kind:     hidden_block_count_z
      - .offset:         60
        .size:           2
        .value_kind:     hidden_group_size_x
      - .offset:         62
        .size:           2
        .value_kind:     hidden_group_size_y
      - .offset:         64
        .size:           2
        .value_kind:     hidden_group_size_z
      - .offset:         66
        .size:           2
        .value_kind:     hidden_remainder_x
      - .offset:         68
        .size:           2
        .value_kind:     hidden_remainder_y
      - .offset:         70
        .size:           2
        .value_kind:     hidden_remainder_z
      - .offset:         88
        .size:           8
        .value_kind:     hidden_global_offset_x
      - .offset:         96
        .size:           8
        .value_kind:     hidden_global_offset_y
      - .offset:         104
        .size:           8
        .value_kind:     hidden_global_offset_z
      - .offset:         112
        .size:           2
        .value_kind:     hidden_grid_dims
    .group_segment_fixed_size: 0
    .kernarg_segment_align: 8
    .kernarg_segment_size: 304
    .language:       OpenCL C
    .language_version:
      - 2
      - 0
    .max_flat_workgroup_size: 256
    .name:           _ZN5aiter18quant_mxfp4_kernelI12hip_bfloat16LNS_16MxScaleRoundModeE0ELb0ELb1ELb1EEEvPKT_PhPfliiib
    .private_segment_fixed_size: 0
    .sgpr_count:     18
    .sgpr_spill_count: 0
    .symbol:         _ZN5aiter18quant_mxfp4_kernelI12hip_bfloat16LNS_16MxScaleRoundModeE0ELb0ELb1ELb1EEEvPKT_PhPfliiib.kd
    .uniform_work_group_size: 1
    .uses_dynamic_stack: false
    .vgpr_count:     77
    .vgpr_spill_count: 0
    .wavefront_size: 32
    .workgroup_processor_mode: 1
  - .args:
      - .actual_access:  read_only
        .address_space:  global
        .offset:         0
        .size:           8
        .value_kind:     global_buffer
      - .actual_access:  write_only
        .address_space:  global
        .offset:         8
        .size:           8
        .value_kind:     global_buffer
      - .actual_access:  write_only
        .address_space:  global
        .offset:         16
        .size:           8
        .value_kind:     global_buffer
      - .offset:         24
        .size:           8
        .value_kind:     by_value
      - .offset:         32
        .size:           4
        .value_kind:     by_value
      - .offset:         36
        .size:           4
        .value_kind:     by_value
      - .offset:         40
        .size:           4
        .value_kind:     by_value
      - .offset:         44
        .size:           1
        .value_kind:     by_value
      - .offset:         48
        .size:           4
        .value_kind:     hidden_block_count_x
      - .offset:         52
        .size:           4
        .value_kind:     hidden_block_count_y
      - .offset:         56
        .size:           4
        .value_kind:     hidden_block_count_z
      - .offset:         60
        .size:           2
        .value_kind:     hidden_group_size_x
      - .offset:         62
        .size:           2
        .value_kind:     hidden_group_size_y
      - .offset:         64
        .size:           2
        .value_kind:     hidden_group_size_z
      - .offset:         66
        .size:           2
        .value_kind:     hidden_remainder_x
      - .offset:         68
        .size:           2
        .value_kind:     hidden_remainder_y
      - .offset:         70
        .size:           2
        .value_kind:     hidden_remainder_z
      - .offset:         88
        .size:           8
        .value_kind:     hidden_global_offset_x
      - .offset:         96
        .size:           8
        .value_kind:     hidden_global_offset_y
      - .offset:         104
        .size:           8
        .value_kind:     hidden_global_offset_z
      - .offset:         112
        .size:           2
        .value_kind:     hidden_grid_dims
    .group_segment_fixed_size: 0
    .kernarg_segment_align: 8
    .kernarg_segment_size: 304
    .language:       OpenCL C
    .language_version:
      - 2
      - 0
    .max_flat_workgroup_size: 256
    .name:           _ZN5aiter18quant_mxfp4_kernelI12hip_bfloat16LNS_16MxScaleRoundModeE0ELb0ELb1ELb0EEEvPKT_PhPfliiib
    .private_segment_fixed_size: 0
    .sgpr_count:     18
    .sgpr_spill_count: 0
    .symbol:         _ZN5aiter18quant_mxfp4_kernelI12hip_bfloat16LNS_16MxScaleRoundModeE0ELb0ELb1ELb0EEEvPKT_PhPfliiib.kd
    .uniform_work_group_size: 1
    .uses_dynamic_stack: false
    .vgpr_count:     70
    .vgpr_spill_count: 0
    .wavefront_size: 32
    .workgroup_processor_mode: 1
  - .args:
      - .actual_access:  read_only
        .address_space:  global
        .offset:         0
        .size:           8
        .value_kind:     global_buffer
      - .actual_access:  write_only
        .address_space:  global
        .offset:         8
        .size:           8
        .value_kind:     global_buffer
      - .actual_access:  write_only
        .address_space:  global
        .offset:         16
        .size:           8
        .value_kind:     global_buffer
      - .offset:         24
        .size:           8
        .value_kind:     by_value
      - .offset:         32
        .size:           4
        .value_kind:     by_value
      - .offset:         36
        .size:           4
        .value_kind:     by_value
      - .offset:         40
        .size:           4
        .value_kind:     by_value
      - .offset:         44
        .size:           1
        .value_kind:     by_value
      - .offset:         48
        .size:           4
        .value_kind:     hidden_block_count_x
      - .offset:         52
        .size:           4
        .value_kind:     hidden_block_count_y
      - .offset:         56
        .size:           4
        .value_kind:     hidden_block_count_z
      - .offset:         60
        .size:           2
        .value_kind:     hidden_group_size_x
      - .offset:         62
        .size:           2
        .value_kind:     hidden_group_size_y
      - .offset:         64
        .size:           2
        .value_kind:     hidden_group_size_z
      - .offset:         66
        .size:           2
        .value_kind:     hidden_remainder_x
      - .offset:         68
        .size:           2
        .value_kind:     hidden_remainder_y
      - .offset:         70
        .size:           2
        .value_kind:     hidden_remainder_z
      - .offset:         88
        .size:           8
        .value_kind:     hidden_global_offset_x
      - .offset:         96
        .size:           8
        .value_kind:     hidden_global_offset_y
      - .offset:         104
        .size:           8
        .value_kind:     hidden_global_offset_z
      - .offset:         112
        .size:           2
        .value_kind:     hidden_grid_dims
    .group_segment_fixed_size: 0
    .kernarg_segment_align: 8
    .kernarg_segment_size: 304
    .language:       OpenCL C
    .language_version:
      - 2
      - 0
    .max_flat_workgroup_size: 256
    .name:           _ZN5aiter18quant_mxfp4_kernelI12hip_bfloat16LNS_16MxScaleRoundModeE0ELb0ELb0ELb0EEEvPKT_PhPfliiib
    .private_segment_fixed_size: 0
    .sgpr_count:     18
    .sgpr_spill_count: 0
    .symbol:         _ZN5aiter18quant_mxfp4_kernelI12hip_bfloat16LNS_16MxScaleRoundModeE0ELb0ELb0ELb0EEEvPKT_PhPfliiib.kd
    .uniform_work_group_size: 1
    .uses_dynamic_stack: false
    .vgpr_count:     69
    .vgpr_spill_count: 0
    .wavefront_size: 32
    .workgroup_processor_mode: 1
  - .args:
      - .actual_access:  read_only
        .address_space:  global
        .offset:         0
        .size:           8
        .value_kind:     global_buffer
      - .actual_access:  write_only
        .address_space:  global
        .offset:         8
        .size:           8
        .value_kind:     global_buffer
      - .actual_access:  write_only
        .address_space:  global
        .offset:         16
        .size:           8
        .value_kind:     global_buffer
      - .offset:         24
        .size:           8
        .value_kind:     by_value
      - .offset:         32
        .size:           4
        .value_kind:     by_value
      - .offset:         36
        .size:           4
        .value_kind:     by_value
      - .offset:         40
        .size:           4
        .value_kind:     by_value
      - .offset:         44
        .size:           1
        .value_kind:     by_value
      - .offset:         48
        .size:           4
        .value_kind:     hidden_block_count_x
      - .offset:         52
        .size:           4
        .value_kind:     hidden_block_count_y
      - .offset:         56
        .size:           4
        .value_kind:     hidden_block_count_z
      - .offset:         60
        .size:           2
        .value_kind:     hidden_group_size_x
      - .offset:         62
        .size:           2
        .value_kind:     hidden_group_size_y
      - .offset:         64
        .size:           2
        .value_kind:     hidden_group_size_z
      - .offset:         66
        .size:           2
        .value_kind:     hidden_remainder_x
      - .offset:         68
        .size:           2
        .value_kind:     hidden_remainder_y
      - .offset:         70
        .size:           2
        .value_kind:     hidden_remainder_z
      - .offset:         88
        .size:           8
        .value_kind:     hidden_global_offset_x
      - .offset:         96
        .size:           8
        .value_kind:     hidden_global_offset_y
      - .offset:         104
        .size:           8
        .value_kind:     hidden_global_offset_z
      - .offset:         112
        .size:           2
        .value_kind:     hidden_grid_dims
    .group_segment_fixed_size: 0
    .kernarg_segment_align: 8
    .kernarg_segment_size: 304
    .language:       OpenCL C
    .language_version:
      - 2
      - 0
    .max_flat_workgroup_size: 256
    .name:           _ZN5aiter18quant_mxfp4_kernelI12hip_bfloat16LNS_16MxScaleRoundModeE1ELb1ELb0ELb1EEEvPKT_PhPfliiib
    .private_segment_fixed_size: 0
    .sgpr_count:     18
    .sgpr_spill_count: 0
    .symbol:         _ZN5aiter18quant_mxfp4_kernelI12hip_bfloat16LNS_16MxScaleRoundModeE1ELb1ELb0ELb1EEEvPKT_PhPfliiib.kd
    .uniform_work_group_size: 1
    .uses_dynamic_stack: false
    .vgpr_count:     69
    .vgpr_spill_count: 0
    .wavefront_size: 32
    .workgroup_processor_mode: 1
  - .args:
      - .actual_access:  read_only
        .address_space:  global
        .offset:         0
        .size:           8
        .value_kind:     global_buffer
      - .actual_access:  write_only
        .address_space:  global
        .offset:         8
        .size:           8
        .value_kind:     global_buffer
      - .actual_access:  write_only
        .address_space:  global
        .offset:         16
        .size:           8
        .value_kind:     global_buffer
      - .offset:         24
        .size:           8
        .value_kind:     by_value
      - .offset:         32
        .size:           4
        .value_kind:     by_value
      - .offset:         36
        .size:           4
        .value_kind:     by_value
      - .offset:         40
        .size:           4
        .value_kind:     by_value
      - .offset:         44
        .size:           1
        .value_kind:     by_value
      - .offset:         48
        .size:           4
        .value_kind:     hidden_block_count_x
      - .offset:         52
        .size:           4
        .value_kind:     hidden_block_count_y
      - .offset:         56
        .size:           4
        .value_kind:     hidden_block_count_z
      - .offset:         60
        .size:           2
        .value_kind:     hidden_group_size_x
      - .offset:         62
        .size:           2
        .value_kind:     hidden_group_size_y
      - .offset:         64
        .size:           2
        .value_kind:     hidden_group_size_z
      - .offset:         66
        .size:           2
        .value_kind:     hidden_remainder_x
      - .offset:         68
        .size:           2
        .value_kind:     hidden_remainder_y
      - .offset:         70
        .size:           2
        .value_kind:     hidden_remainder_z
      - .offset:         88
        .size:           8
        .value_kind:     hidden_global_offset_x
      - .offset:         96
        .size:           8
        .value_kind:     hidden_global_offset_y
      - .offset:         104
        .size:           8
        .value_kind:     hidden_global_offset_z
      - .offset:         112
        .size:           2
        .value_kind:     hidden_grid_dims
    .group_segment_fixed_size: 0
    .kernarg_segment_align: 8
    .kernarg_segment_size: 304
    .language:       OpenCL C
    .language_version:
      - 2
      - 0
    .max_flat_workgroup_size: 256
    .name:           _ZN5aiter18quant_mxfp4_kernelI12hip_bfloat16LNS_16MxScaleRoundModeE1ELb1ELb0ELb0EEEvPKT_PhPfliiib
    .private_segment_fixed_size: 0
    .sgpr_count:     18
    .sgpr_spill_count: 0
    .symbol:         _ZN5aiter18quant_mxfp4_kernelI12hip_bfloat16LNS_16MxScaleRoundModeE1ELb1ELb0ELb0EEEvPKT_PhPfliiib.kd
    .uniform_work_group_size: 1
    .uses_dynamic_stack: false
    .vgpr_count:     69
    .vgpr_spill_count: 0
    .wavefront_size: 32
    .workgroup_processor_mode: 1
  - .args:
      - .actual_access:  read_only
        .address_space:  global
        .offset:         0
        .size:           8
        .value_kind:     global_buffer
      - .actual_access:  write_only
        .address_space:  global
        .offset:         8
        .size:           8
        .value_kind:     global_buffer
      - .actual_access:  write_only
        .address_space:  global
        .offset:         16
        .size:           8
        .value_kind:     global_buffer
      - .offset:         24
        .size:           8
        .value_kind:     by_value
      - .offset:         32
        .size:           4
        .value_kind:     by_value
      - .offset:         36
        .size:           4
        .value_kind:     by_value
      - .offset:         40
        .size:           4
        .value_kind:     by_value
      - .offset:         44
        .size:           1
        .value_kind:     by_value
      - .offset:         48
        .size:           4
        .value_kind:     hidden_block_count_x
      - .offset:         52
        .size:           4
        .value_kind:     hidden_block_count_y
      - .offset:         56
        .size:           4
        .value_kind:     hidden_block_count_z
      - .offset:         60
        .size:           2
        .value_kind:     hidden_group_size_x
      - .offset:         62
        .size:           2
        .value_kind:     hidden_group_size_y
      - .offset:         64
        .size:           2
        .value_kind:     hidden_group_size_z
      - .offset:         66
        .size:           2
        .value_kind:     hidden_remainder_x
      - .offset:         68
        .size:           2
        .value_kind:     hidden_remainder_y
      - .offset:         70
        .size:           2
        .value_kind:     hidden_remainder_z
      - .offset:         88
        .size:           8
        .value_kind:     hidden_global_offset_x
      - .offset:         96
        .size:           8
        .value_kind:     hidden_global_offset_y
      - .offset:         104
        .size:           8
        .value_kind:     hidden_global_offset_z
      - .offset:         112
        .size:           2
        .value_kind:     hidden_grid_dims
    .group_segment_fixed_size: 0
    .kernarg_segment_align: 8
    .kernarg_segment_size: 304
    .language:       OpenCL C
    .language_version:
      - 2
      - 0
    .max_flat_workgroup_size: 256
    .name:           _ZN5aiter18quant_mxfp4_kernelI12hip_bfloat16LNS_16MxScaleRoundModeE1ELb0ELb1ELb1EEEvPKT_PhPfliiib
    .private_segment_fixed_size: 0
    .sgpr_count:     18
    .sgpr_spill_count: 0
    .symbol:         _ZN5aiter18quant_mxfp4_kernelI12hip_bfloat16LNS_16MxScaleRoundModeE1ELb0ELb1ELb1EEEvPKT_PhPfliiib.kd
    .uniform_work_group_size: 1
    .uses_dynamic_stack: false
    .vgpr_count:     77
    .vgpr_spill_count: 0
    .wavefront_size: 32
    .workgroup_processor_mode: 1
  - .args:
      - .actual_access:  read_only
        .address_space:  global
        .offset:         0
        .size:           8
        .value_kind:     global_buffer
      - .actual_access:  write_only
        .address_space:  global
        .offset:         8
        .size:           8
        .value_kind:     global_buffer
      - .actual_access:  write_only
        .address_space:  global
        .offset:         16
        .size:           8
        .value_kind:     global_buffer
      - .offset:         24
        .size:           8
        .value_kind:     by_value
      - .offset:         32
        .size:           4
        .value_kind:     by_value
      - .offset:         36
        .size:           4
        .value_kind:     by_value
      - .offset:         40
        .size:           4
        .value_kind:     by_value
      - .offset:         44
        .size:           1
        .value_kind:     by_value
      - .offset:         48
        .size:           4
        .value_kind:     hidden_block_count_x
      - .offset:         52
        .size:           4
        .value_kind:     hidden_block_count_y
      - .offset:         56
        .size:           4
        .value_kind:     hidden_block_count_z
      - .offset:         60
        .size:           2
        .value_kind:     hidden_group_size_x
      - .offset:         62
        .size:           2
        .value_kind:     hidden_group_size_y
      - .offset:         64
        .size:           2
        .value_kind:     hidden_group_size_z
      - .offset:         66
        .size:           2
        .value_kind:     hidden_remainder_x
      - .offset:         68
        .size:           2
        .value_kind:     hidden_remainder_y
      - .offset:         70
        .size:           2
        .value_kind:     hidden_remainder_z
      - .offset:         88
        .size:           8
        .value_kind:     hidden_global_offset_x
      - .offset:         96
        .size:           8
        .value_kind:     hidden_global_offset_y
      - .offset:         104
        .size:           8
        .value_kind:     hidden_global_offset_z
      - .offset:         112
        .size:           2
        .value_kind:     hidden_grid_dims
    .group_segment_fixed_size: 0
    .kernarg_segment_align: 8
    .kernarg_segment_size: 304
    .language:       OpenCL C
    .language_version:
      - 2
      - 0
    .max_flat_workgroup_size: 256
    .name:           _ZN5aiter18quant_mxfp4_kernelI12hip_bfloat16LNS_16MxScaleRoundModeE1ELb0ELb1ELb0EEEvPKT_PhPfliiib
    .private_segment_fixed_size: 0
    .sgpr_count:     18
    .sgpr_spill_count: 0
    .symbol:         _ZN5aiter18quant_mxfp4_kernelI12hip_bfloat16LNS_16MxScaleRoundModeE1ELb0ELb1ELb0EEEvPKT_PhPfliiib.kd
    .uniform_work_group_size: 1
    .uses_dynamic_stack: false
    .vgpr_count:     70
    .vgpr_spill_count: 0
    .wavefront_size: 32
    .workgroup_processor_mode: 1
  - .args:
      - .actual_access:  read_only
        .address_space:  global
        .offset:         0
        .size:           8
        .value_kind:     global_buffer
      - .actual_access:  write_only
        .address_space:  global
        .offset:         8
        .size:           8
        .value_kind:     global_buffer
      - .actual_access:  write_only
        .address_space:  global
        .offset:         16
        .size:           8
        .value_kind:     global_buffer
      - .offset:         24
        .size:           8
        .value_kind:     by_value
      - .offset:         32
        .size:           4
        .value_kind:     by_value
      - .offset:         36
        .size:           4
        .value_kind:     by_value
      - .offset:         40
        .size:           4
        .value_kind:     by_value
      - .offset:         44
        .size:           1
        .value_kind:     by_value
      - .offset:         48
        .size:           4
        .value_kind:     hidden_block_count_x
      - .offset:         52
        .size:           4
        .value_kind:     hidden_block_count_y
      - .offset:         56
        .size:           4
        .value_kind:     hidden_block_count_z
      - .offset:         60
        .size:           2
        .value_kind:     hidden_group_size_x
      - .offset:         62
        .size:           2
        .value_kind:     hidden_group_size_y
      - .offset:         64
        .size:           2
        .value_kind:     hidden_group_size_z
      - .offset:         66
        .size:           2
        .value_kind:     hidden_remainder_x
      - .offset:         68
        .size:           2
        .value_kind:     hidden_remainder_y
      - .offset:         70
        .size:           2
        .value_kind:     hidden_remainder_z
      - .offset:         88
        .size:           8
        .value_kind:     hidden_global_offset_x
      - .offset:         96
        .size:           8
        .value_kind:     hidden_global_offset_y
      - .offset:         104
        .size:           8
        .value_kind:     hidden_global_offset_z
      - .offset:         112
        .size:           2
        .value_kind:     hidden_grid_dims
    .group_segment_fixed_size: 0
    .kernarg_segment_align: 8
    .kernarg_segment_size: 304
    .language:       OpenCL C
    .language_version:
      - 2
      - 0
    .max_flat_workgroup_size: 256
    .name:           _ZN5aiter18quant_mxfp4_kernelI12hip_bfloat16LNS_16MxScaleRoundModeE1ELb0ELb0ELb0EEEvPKT_PhPfliiib
    .private_segment_fixed_size: 0
    .sgpr_count:     18
    .sgpr_spill_count: 0
    .symbol:         _ZN5aiter18quant_mxfp4_kernelI12hip_bfloat16LNS_16MxScaleRoundModeE1ELb0ELb0ELb0EEEvPKT_PhPfliiib.kd
    .uniform_work_group_size: 1
    .uses_dynamic_stack: false
    .vgpr_count:     69
    .vgpr_spill_count: 0
    .wavefront_size: 32
    .workgroup_processor_mode: 1
  - .args:
      - .actual_access:  read_only
        .address_space:  global
        .offset:         0
        .size:           8
        .value_kind:     global_buffer
      - .actual_access:  write_only
        .address_space:  global
        .offset:         8
        .size:           8
        .value_kind:     global_buffer
      - .actual_access:  write_only
        .address_space:  global
        .offset:         16
        .size:           8
        .value_kind:     global_buffer
      - .offset:         24
        .size:           8
        .value_kind:     by_value
      - .offset:         32
        .size:           4
        .value_kind:     by_value
      - .offset:         36
        .size:           4
        .value_kind:     by_value
      - .offset:         40
        .size:           4
        .value_kind:     by_value
      - .offset:         44
        .size:           1
        .value_kind:     by_value
      - .offset:         48
        .size:           4
        .value_kind:     hidden_block_count_x
      - .offset:         52
        .size:           4
        .value_kind:     hidden_block_count_y
      - .offset:         56
        .size:           4
        .value_kind:     hidden_block_count_z
      - .offset:         60
        .size:           2
        .value_kind:     hidden_group_size_x
      - .offset:         62
        .size:           2
        .value_kind:     hidden_group_size_y
      - .offset:         64
        .size:           2
        .value_kind:     hidden_group_size_z
      - .offset:         66
        .size:           2
        .value_kind:     hidden_remainder_x
      - .offset:         68
        .size:           2
        .value_kind:     hidden_remainder_y
      - .offset:         70
        .size:           2
        .value_kind:     hidden_remainder_z
      - .offset:         88
        .size:           8
        .value_kind:     hidden_global_offset_x
      - .offset:         96
        .size:           8
        .value_kind:     hidden_global_offset_y
      - .offset:         104
        .size:           8
        .value_kind:     hidden_global_offset_z
      - .offset:         112
        .size:           2
        .value_kind:     hidden_grid_dims
    .group_segment_fixed_size: 0
    .kernarg_segment_align: 8
    .kernarg_segment_size: 304
    .language:       OpenCL C
    .language_version:
      - 2
      - 0
    .max_flat_workgroup_size: 256
    .name:           _ZN5aiter18quant_mxfp4_kernelI12hip_bfloat16LNS_16MxScaleRoundModeE2ELb1ELb0ELb1EEEvPKT_PhPfliiib
    .private_segment_fixed_size: 0
    .sgpr_count:     18
    .sgpr_spill_count: 0
    .symbol:         _ZN5aiter18quant_mxfp4_kernelI12hip_bfloat16LNS_16MxScaleRoundModeE2ELb1ELb0ELb1EEEvPKT_PhPfliiib.kd
    .uniform_work_group_size: 1
    .uses_dynamic_stack: false
    .vgpr_count:     69
    .vgpr_spill_count: 0
    .wavefront_size: 32
    .workgroup_processor_mode: 1
  - .args:
      - .actual_access:  read_only
        .address_space:  global
        .offset:         0
        .size:           8
        .value_kind:     global_buffer
      - .actual_access:  write_only
        .address_space:  global
        .offset:         8
        .size:           8
        .value_kind:     global_buffer
      - .actual_access:  write_only
        .address_space:  global
        .offset:         16
        .size:           8
        .value_kind:     global_buffer
      - .offset:         24
        .size:           8
        .value_kind:     by_value
      - .offset:         32
        .size:           4
        .value_kind:     by_value
      - .offset:         36
        .size:           4
        .value_kind:     by_value
      - .offset:         40
        .size:           4
        .value_kind:     by_value
      - .offset:         44
        .size:           1
        .value_kind:     by_value
      - .offset:         48
        .size:           4
        .value_kind:     hidden_block_count_x
      - .offset:         52
        .size:           4
        .value_kind:     hidden_block_count_y
      - .offset:         56
        .size:           4
        .value_kind:     hidden_block_count_z
      - .offset:         60
        .size:           2
        .value_kind:     hidden_group_size_x
      - .offset:         62
        .size:           2
        .value_kind:     hidden_group_size_y
      - .offset:         64
        .size:           2
        .value_kind:     hidden_group_size_z
      - .offset:         66
        .size:           2
        .value_kind:     hidden_remainder_x
      - .offset:         68
        .size:           2
        .value_kind:     hidden_remainder_y
      - .offset:         70
        .size:           2
        .value_kind:     hidden_remainder_z
      - .offset:         88
        .size:           8
        .value_kind:     hidden_global_offset_x
      - .offset:         96
        .size:           8
        .value_kind:     hidden_global_offset_y
      - .offset:         104
        .size:           8
        .value_kind:     hidden_global_offset_z
      - .offset:         112
        .size:           2
        .value_kind:     hidden_grid_dims
    .group_segment_fixed_size: 0
    .kernarg_segment_align: 8
    .kernarg_segment_size: 304
    .language:       OpenCL C
    .language_version:
      - 2
      - 0
    .max_flat_workgroup_size: 256
    .name:           _ZN5aiter18quant_mxfp4_kernelI12hip_bfloat16LNS_16MxScaleRoundModeE2ELb1ELb0ELb0EEEvPKT_PhPfliiib
    .private_segment_fixed_size: 0
    .sgpr_count:     18
    .sgpr_spill_count: 0
    .symbol:         _ZN5aiter18quant_mxfp4_kernelI12hip_bfloat16LNS_16MxScaleRoundModeE2ELb1ELb0ELb0EEEvPKT_PhPfliiib.kd
    .uniform_work_group_size: 1
    .uses_dynamic_stack: false
    .vgpr_count:     69
    .vgpr_spill_count: 0
    .wavefront_size: 32
    .workgroup_processor_mode: 1
  - .args:
      - .actual_access:  read_only
        .address_space:  global
        .offset:         0
        .size:           8
        .value_kind:     global_buffer
      - .actual_access:  write_only
        .address_space:  global
        .offset:         8
        .size:           8
        .value_kind:     global_buffer
      - .actual_access:  write_only
        .address_space:  global
        .offset:         16
        .size:           8
        .value_kind:     global_buffer
      - .offset:         24
        .size:           8
        .value_kind:     by_value
      - .offset:         32
        .size:           4
        .value_kind:     by_value
      - .offset:         36
        .size:           4
        .value_kind:     by_value
      - .offset:         40
        .size:           4
        .value_kind:     by_value
      - .offset:         44
        .size:           1
        .value_kind:     by_value
      - .offset:         48
        .size:           4
        .value_kind:     hidden_block_count_x
      - .offset:         52
        .size:           4
        .value_kind:     hidden_block_count_y
      - .offset:         56
        .size:           4
        .value_kind:     hidden_block_count_z
      - .offset:         60
        .size:           2
        .value_kind:     hidden_group_size_x
      - .offset:         62
        .size:           2
        .value_kind:     hidden_group_size_y
      - .offset:         64
        .size:           2
        .value_kind:     hidden_group_size_z
      - .offset:         66
        .size:           2
        .value_kind:     hidden_remainder_x
      - .offset:         68
        .size:           2
        .value_kind:     hidden_remainder_y
      - .offset:         70
        .size:           2
        .value_kind:     hidden_remainder_z
      - .offset:         88
        .size:           8
        .value_kind:     hidden_global_offset_x
      - .offset:         96
        .size:           8
        .value_kind:     hidden_global_offset_y
      - .offset:         104
        .size:           8
        .value_kind:     hidden_global_offset_z
      - .offset:         112
        .size:           2
        .value_kind:     hidden_grid_dims
    .group_segment_fixed_size: 0
    .kernarg_segment_align: 8
    .kernarg_segment_size: 304
    .language:       OpenCL C
    .language_version:
      - 2
      - 0
    .max_flat_workgroup_size: 256
    .name:           _ZN5aiter18quant_mxfp4_kernelI12hip_bfloat16LNS_16MxScaleRoundModeE2ELb0ELb1ELb1EEEvPKT_PhPfliiib
    .private_segment_fixed_size: 0
    .sgpr_count:     18
    .sgpr_spill_count: 0
    .symbol:         _ZN5aiter18quant_mxfp4_kernelI12hip_bfloat16LNS_16MxScaleRoundModeE2ELb0ELb1ELb1EEEvPKT_PhPfliiib.kd
    .uniform_work_group_size: 1
    .uses_dynamic_stack: false
    .vgpr_count:     77
    .vgpr_spill_count: 0
    .wavefront_size: 32
    .workgroup_processor_mode: 1
  - .args:
      - .actual_access:  read_only
        .address_space:  global
        .offset:         0
        .size:           8
        .value_kind:     global_buffer
      - .actual_access:  write_only
        .address_space:  global
        .offset:         8
        .size:           8
        .value_kind:     global_buffer
      - .actual_access:  write_only
        .address_space:  global
        .offset:         16
        .size:           8
        .value_kind:     global_buffer
      - .offset:         24
        .size:           8
        .value_kind:     by_value
      - .offset:         32
        .size:           4
        .value_kind:     by_value
      - .offset:         36
        .size:           4
        .value_kind:     by_value
      - .offset:         40
        .size:           4
        .value_kind:     by_value
      - .offset:         44
        .size:           1
        .value_kind:     by_value
      - .offset:         48
        .size:           4
        .value_kind:     hidden_block_count_x
      - .offset:         52
        .size:           4
        .value_kind:     hidden_block_count_y
      - .offset:         56
        .size:           4
        .value_kind:     hidden_block_count_z
      - .offset:         60
        .size:           2
        .value_kind:     hidden_group_size_x
      - .offset:         62
        .size:           2
        .value_kind:     hidden_group_size_y
      - .offset:         64
        .size:           2
        .value_kind:     hidden_group_size_z
      - .offset:         66
        .size:           2
        .value_kind:     hidden_remainder_x
      - .offset:         68
        .size:           2
        .value_kind:     hidden_remainder_y
      - .offset:         70
        .size:           2
        .value_kind:     hidden_remainder_z
      - .offset:         88
        .size:           8
        .value_kind:     hidden_global_offset_x
      - .offset:         96
        .size:           8
        .value_kind:     hidden_global_offset_y
      - .offset:         104
        .size:           8
        .value_kind:     hidden_global_offset_z
      - .offset:         112
        .size:           2
        .value_kind:     hidden_grid_dims
    .group_segment_fixed_size: 0
    .kernarg_segment_align: 8
    .kernarg_segment_size: 304
    .language:       OpenCL C
    .language_version:
      - 2
      - 0
    .max_flat_workgroup_size: 256
    .name:           _ZN5aiter18quant_mxfp4_kernelI12hip_bfloat16LNS_16MxScaleRoundModeE2ELb0ELb1ELb0EEEvPKT_PhPfliiib
    .private_segment_fixed_size: 0
    .sgpr_count:     18
    .sgpr_spill_count: 0
    .symbol:         _ZN5aiter18quant_mxfp4_kernelI12hip_bfloat16LNS_16MxScaleRoundModeE2ELb0ELb1ELb0EEEvPKT_PhPfliiib.kd
    .uniform_work_group_size: 1
    .uses_dynamic_stack: false
    .vgpr_count:     70
    .vgpr_spill_count: 0
    .wavefront_size: 32
    .workgroup_processor_mode: 1
  - .args:
      - .actual_access:  read_only
        .address_space:  global
        .offset:         0
        .size:           8
        .value_kind:     global_buffer
      - .actual_access:  write_only
        .address_space:  global
        .offset:         8
        .size:           8
        .value_kind:     global_buffer
      - .actual_access:  write_only
        .address_space:  global
        .offset:         16
        .size:           8
        .value_kind:     global_buffer
      - .offset:         24
        .size:           8
        .value_kind:     by_value
      - .offset:         32
        .size:           4
        .value_kind:     by_value
      - .offset:         36
        .size:           4
        .value_kind:     by_value
      - .offset:         40
        .size:           4
        .value_kind:     by_value
      - .offset:         44
        .size:           1
        .value_kind:     by_value
      - .offset:         48
        .size:           4
        .value_kind:     hidden_block_count_x
      - .offset:         52
        .size:           4
        .value_kind:     hidden_block_count_y
      - .offset:         56
        .size:           4
        .value_kind:     hidden_block_count_z
      - .offset:         60
        .size:           2
        .value_kind:     hidden_group_size_x
      - .offset:         62
        .size:           2
        .value_kind:     hidden_group_size_y
      - .offset:         64
        .size:           2
        .value_kind:     hidden_group_size_z
      - .offset:         66
        .size:           2
        .value_kind:     hidden_remainder_x
      - .offset:         68
        .size:           2
        .value_kind:     hidden_remainder_y
      - .offset:         70
        .size:           2
        .value_kind:     hidden_remainder_z
      - .offset:         88
        .size:           8
        .value_kind:     hidden_global_offset_x
      - .offset:         96
        .size:           8
        .value_kind:     hidden_global_offset_y
      - .offset:         104
        .size:           8
        .value_kind:     hidden_global_offset_z
      - .offset:         112
        .size:           2
        .value_kind:     hidden_grid_dims
    .group_segment_fixed_size: 0
    .kernarg_segment_align: 8
    .kernarg_segment_size: 304
    .language:       OpenCL C
    .language_version:
      - 2
      - 0
    .max_flat_workgroup_size: 256
    .name:           _ZN5aiter18quant_mxfp4_kernelI12hip_bfloat16LNS_16MxScaleRoundModeE2ELb0ELb0ELb0EEEvPKT_PhPfliiib
    .private_segment_fixed_size: 0
    .sgpr_count:     18
    .sgpr_spill_count: 0
    .symbol:         _ZN5aiter18quant_mxfp4_kernelI12hip_bfloat16LNS_16MxScaleRoundModeE2ELb0ELb0ELb0EEEvPKT_PhPfliiib.kd
    .uniform_work_group_size: 1
    .uses_dynamic_stack: false
    .vgpr_count:     69
    .vgpr_spill_count: 0
    .wavefront_size: 32
    .workgroup_processor_mode: 1
  - .args:
      - .actual_access:  read_only
        .address_space:  global
        .offset:         0
        .size:           8
        .value_kind:     global_buffer
      - .actual_access:  write_only
        .address_space:  global
        .offset:         8
        .size:           8
        .value_kind:     global_buffer
      - .actual_access:  write_only
        .address_space:  global
        .offset:         16
        .size:           8
        .value_kind:     global_buffer
      - .offset:         24
        .size:           8
        .value_kind:     by_value
      - .offset:         32
        .size:           4
        .value_kind:     by_value
      - .offset:         36
        .size:           4
        .value_kind:     by_value
      - .offset:         40
        .size:           4
        .value_kind:     by_value
      - .offset:         44
        .size:           1
        .value_kind:     by_value
      - .offset:         48
        .size:           4
        .value_kind:     hidden_block_count_x
      - .offset:         52
        .size:           4
        .value_kind:     hidden_block_count_y
      - .offset:         56
        .size:           4
        .value_kind:     hidden_block_count_z
      - .offset:         60
        .size:           2
        .value_kind:     hidden_group_size_x
      - .offset:         62
        .size:           2
        .value_kind:     hidden_group_size_y
      - .offset:         64
        .size:           2
        .value_kind:     hidden_group_size_z
      - .offset:         66
        .size:           2
        .value_kind:     hidden_remainder_x
      - .offset:         68
        .size:           2
        .value_kind:     hidden_remainder_y
      - .offset:         70
        .size:           2
        .value_kind:     hidden_remainder_z
      - .offset:         88
        .size:           8
        .value_kind:     hidden_global_offset_x
      - .offset:         96
        .size:           8
        .value_kind:     hidden_global_offset_y
      - .offset:         104
        .size:           8
        .value_kind:     hidden_global_offset_z
      - .offset:         112
        .size:           2
        .value_kind:     hidden_grid_dims
    .group_segment_fixed_size: 0
    .kernarg_segment_align: 8
    .kernarg_segment_size: 304
    .language:       OpenCL C
    .language_version:
      - 2
      - 0
    .max_flat_workgroup_size: 256
    .name:           _ZN5aiter18quant_mxfp4_kernelI12hip_bfloat16LNS_16MxScaleRoundModeE3ELb1ELb0ELb1EEEvPKT_PhPfliiib
    .private_segment_fixed_size: 0
    .sgpr_count:     18
    .sgpr_spill_count: 0
    .symbol:         _ZN5aiter18quant_mxfp4_kernelI12hip_bfloat16LNS_16MxScaleRoundModeE3ELb1ELb0ELb1EEEvPKT_PhPfliiib.kd
    .uniform_work_group_size: 1
    .uses_dynamic_stack: false
    .vgpr_count:     69
    .vgpr_spill_count: 0
    .wavefront_size: 32
    .workgroup_processor_mode: 1
  - .args:
      - .actual_access:  read_only
        .address_space:  global
        .offset:         0
        .size:           8
        .value_kind:     global_buffer
      - .actual_access:  write_only
        .address_space:  global
        .offset:         8
        .size:           8
        .value_kind:     global_buffer
      - .actual_access:  write_only
        .address_space:  global
        .offset:         16
        .size:           8
        .value_kind:     global_buffer
      - .offset:         24
        .size:           8
        .value_kind:     by_value
      - .offset:         32
        .size:           4
        .value_kind:     by_value
      - .offset:         36
        .size:           4
        .value_kind:     by_value
      - .offset:         40
        .size:           4
        .value_kind:     by_value
      - .offset:         44
        .size:           1
        .value_kind:     by_value
      - .offset:         48
        .size:           4
        .value_kind:     hidden_block_count_x
      - .offset:         52
        .size:           4
        .value_kind:     hidden_block_count_y
      - .offset:         56
        .size:           4
        .value_kind:     hidden_block_count_z
      - .offset:         60
        .size:           2
        .value_kind:     hidden_group_size_x
      - .offset:         62
        .size:           2
        .value_kind:     hidden_group_size_y
      - .offset:         64
        .size:           2
        .value_kind:     hidden_group_size_z
      - .offset:         66
        .size:           2
        .value_kind:     hidden_remainder_x
      - .offset:         68
        .size:           2
        .value_kind:     hidden_remainder_y
      - .offset:         70
        .size:           2
        .value_kind:     hidden_remainder_z
      - .offset:         88
        .size:           8
        .value_kind:     hidden_global_offset_x
      - .offset:         96
        .size:           8
        .value_kind:     hidden_global_offset_y
      - .offset:         104
        .size:           8
        .value_kind:     hidden_global_offset_z
      - .offset:         112
        .size:           2
        .value_kind:     hidden_grid_dims
    .group_segment_fixed_size: 0
    .kernarg_segment_align: 8
    .kernarg_segment_size: 304
    .language:       OpenCL C
    .language_version:
      - 2
      - 0
    .max_flat_workgroup_size: 256
    .name:           _ZN5aiter18quant_mxfp4_kernelI12hip_bfloat16LNS_16MxScaleRoundModeE3ELb1ELb0ELb0EEEvPKT_PhPfliiib
    .private_segment_fixed_size: 0
    .sgpr_count:     18
    .sgpr_spill_count: 0
    .symbol:         _ZN5aiter18quant_mxfp4_kernelI12hip_bfloat16LNS_16MxScaleRoundModeE3ELb1ELb0ELb0EEEvPKT_PhPfliiib.kd
    .uniform_work_group_size: 1
    .uses_dynamic_stack: false
    .vgpr_count:     69
    .vgpr_spill_count: 0
    .wavefront_size: 32
    .workgroup_processor_mode: 1
  - .args:
      - .actual_access:  read_only
        .address_space:  global
        .offset:         0
        .size:           8
        .value_kind:     global_buffer
      - .actual_access:  write_only
        .address_space:  global
        .offset:         8
        .size:           8
        .value_kind:     global_buffer
      - .actual_access:  write_only
        .address_space:  global
        .offset:         16
        .size:           8
        .value_kind:     global_buffer
      - .offset:         24
        .size:           8
        .value_kind:     by_value
      - .offset:         32
        .size:           4
        .value_kind:     by_value
      - .offset:         36
        .size:           4
        .value_kind:     by_value
      - .offset:         40
        .size:           4
        .value_kind:     by_value
      - .offset:         44
        .size:           1
        .value_kind:     by_value
      - .offset:         48
        .size:           4
        .value_kind:     hidden_block_count_x
      - .offset:         52
        .size:           4
        .value_kind:     hidden_block_count_y
      - .offset:         56
        .size:           4
        .value_kind:     hidden_block_count_z
      - .offset:         60
        .size:           2
        .value_kind:     hidden_group_size_x
      - .offset:         62
        .size:           2
        .value_kind:     hidden_group_size_y
      - .offset:         64
        .size:           2
        .value_kind:     hidden_group_size_z
      - .offset:         66
        .size:           2
        .value_kind:     hidden_remainder_x
      - .offset:         68
        .size:           2
        .value_kind:     hidden_remainder_y
      - .offset:         70
        .size:           2
        .value_kind:     hidden_remainder_z
      - .offset:         88
        .size:           8
        .value_kind:     hidden_global_offset_x
      - .offset:         96
        .size:           8
        .value_kind:     hidden_global_offset_y
      - .offset:         104
        .size:           8
        .value_kind:     hidden_global_offset_z
      - .offset:         112
        .size:           2
        .value_kind:     hidden_grid_dims
    .group_segment_fixed_size: 0
    .kernarg_segment_align: 8
    .kernarg_segment_size: 304
    .language:       OpenCL C
    .language_version:
      - 2
      - 0
    .max_flat_workgroup_size: 256
    .name:           _ZN5aiter18quant_mxfp4_kernelI12hip_bfloat16LNS_16MxScaleRoundModeE3ELb0ELb1ELb1EEEvPKT_PhPfliiib
    .private_segment_fixed_size: 0
    .sgpr_count:     18
    .sgpr_spill_count: 0
    .symbol:         _ZN5aiter18quant_mxfp4_kernelI12hip_bfloat16LNS_16MxScaleRoundModeE3ELb0ELb1ELb1EEEvPKT_PhPfliiib.kd
    .uniform_work_group_size: 1
    .uses_dynamic_stack: false
    .vgpr_count:     77
    .vgpr_spill_count: 0
    .wavefront_size: 32
    .workgroup_processor_mode: 1
  - .args:
      - .actual_access:  read_only
        .address_space:  global
        .offset:         0
        .size:           8
        .value_kind:     global_buffer
      - .actual_access:  write_only
        .address_space:  global
        .offset:         8
        .size:           8
        .value_kind:     global_buffer
      - .actual_access:  write_only
        .address_space:  global
        .offset:         16
        .size:           8
        .value_kind:     global_buffer
      - .offset:         24
        .size:           8
        .value_kind:     by_value
      - .offset:         32
        .size:           4
        .value_kind:     by_value
      - .offset:         36
        .size:           4
        .value_kind:     by_value
      - .offset:         40
        .size:           4
        .value_kind:     by_value
      - .offset:         44
        .size:           1
        .value_kind:     by_value
      - .offset:         48
        .size:           4
        .value_kind:     hidden_block_count_x
      - .offset:         52
        .size:           4
        .value_kind:     hidden_block_count_y
      - .offset:         56
        .size:           4
        .value_kind:     hidden_block_count_z
      - .offset:         60
        .size:           2
        .value_kind:     hidden_group_size_x
      - .offset:         62
        .size:           2
        .value_kind:     hidden_group_size_y
      - .offset:         64
        .size:           2
        .value_kind:     hidden_group_size_z
      - .offset:         66
        .size:           2
        .value_kind:     hidden_remainder_x
      - .offset:         68
        .size:           2
        .value_kind:     hidden_remainder_y
      - .offset:         70
        .size:           2
        .value_kind:     hidden_remainder_z
      - .offset:         88
        .size:           8
        .value_kind:     hidden_global_offset_x
      - .offset:         96
        .size:           8
        .value_kind:     hidden_global_offset_y
      - .offset:         104
        .size:           8
        .value_kind:     hidden_global_offset_z
      - .offset:         112
        .size:           2
        .value_kind:     hidden_grid_dims
    .group_segment_fixed_size: 0
    .kernarg_segment_align: 8
    .kernarg_segment_size: 304
    .language:       OpenCL C
    .language_version:
      - 2
      - 0
    .max_flat_workgroup_size: 256
    .name:           _ZN5aiter18quant_mxfp4_kernelI12hip_bfloat16LNS_16MxScaleRoundModeE3ELb0ELb1ELb0EEEvPKT_PhPfliiib
    .private_segment_fixed_size: 0
    .sgpr_count:     18
    .sgpr_spill_count: 0
    .symbol:         _ZN5aiter18quant_mxfp4_kernelI12hip_bfloat16LNS_16MxScaleRoundModeE3ELb0ELb1ELb0EEEvPKT_PhPfliiib.kd
    .uniform_work_group_size: 1
    .uses_dynamic_stack: false
    .vgpr_count:     70
    .vgpr_spill_count: 0
    .wavefront_size: 32
    .workgroup_processor_mode: 1
  - .args:
      - .actual_access:  read_only
        .address_space:  global
        .offset:         0
        .size:           8
        .value_kind:     global_buffer
      - .actual_access:  write_only
        .address_space:  global
        .offset:         8
        .size:           8
        .value_kind:     global_buffer
      - .actual_access:  write_only
        .address_space:  global
        .offset:         16
        .size:           8
        .value_kind:     global_buffer
      - .offset:         24
        .size:           8
        .value_kind:     by_value
      - .offset:         32
        .size:           4
        .value_kind:     by_value
      - .offset:         36
        .size:           4
        .value_kind:     by_value
      - .offset:         40
        .size:           4
        .value_kind:     by_value
      - .offset:         44
        .size:           1
        .value_kind:     by_value
      - .offset:         48
        .size:           4
        .value_kind:     hidden_block_count_x
      - .offset:         52
        .size:           4
        .value_kind:     hidden_block_count_y
      - .offset:         56
        .size:           4
        .value_kind:     hidden_block_count_z
      - .offset:         60
        .size:           2
        .value_kind:     hidden_group_size_x
      - .offset:         62
        .size:           2
        .value_kind:     hidden_group_size_y
      - .offset:         64
        .size:           2
        .value_kind:     hidden_group_size_z
      - .offset:         66
        .size:           2
        .value_kind:     hidden_remainder_x
      - .offset:         68
        .size:           2
        .value_kind:     hidden_remainder_y
      - .offset:         70
        .size:           2
        .value_kind:     hidden_remainder_z
      - .offset:         88
        .size:           8
        .value_kind:     hidden_global_offset_x
      - .offset:         96
        .size:           8
        .value_kind:     hidden_global_offset_y
      - .offset:         104
        .size:           8
        .value_kind:     hidden_global_offset_z
      - .offset:         112
        .size:           2
        .value_kind:     hidden_grid_dims
    .group_segment_fixed_size: 0
    .kernarg_segment_align: 8
    .kernarg_segment_size: 304
    .language:       OpenCL C
    .language_version:
      - 2
      - 0
    .max_flat_workgroup_size: 256
    .name:           _ZN5aiter18quant_mxfp4_kernelI12hip_bfloat16LNS_16MxScaleRoundModeE3ELb0ELb0ELb0EEEvPKT_PhPfliiib
    .private_segment_fixed_size: 0
    .sgpr_count:     18
    .sgpr_spill_count: 0
    .symbol:         _ZN5aiter18quant_mxfp4_kernelI12hip_bfloat16LNS_16MxScaleRoundModeE3ELb0ELb0ELb0EEEvPKT_PhPfliiib.kd
    .uniform_work_group_size: 1
    .uses_dynamic_stack: false
    .vgpr_count:     69
    .vgpr_spill_count: 0
    .wavefront_size: 32
    .workgroup_processor_mode: 1
amdhsa.target:   amdgcn-amd-amdhsa--gfx1100
amdhsa.version:
  - 1
  - 2
...

	.end_amdgpu_metadata
